;; amdgpu-corpus repo=ROCm/rocBLAS kind=compiled arch=gfx1030 opt=O3
	.amdgcn_target "amdgcn-amd-amdhsa--gfx1030"
	.amdhsa_code_object_version 6
	.section	.text._ZN12_GLOBAL__N_120gemm_ex_scale_kernelILi32ELi32EdPKPKdPKPdEEviiT1_T2_lllT3_llli,"axG",@progbits,_ZN12_GLOBAL__N_120gemm_ex_scale_kernelILi32ELi32EdPKPKdPKPdEEviiT1_T2_lllT3_llli,comdat
	.globl	_ZN12_GLOBAL__N_120gemm_ex_scale_kernelILi32ELi32EdPKPKdPKPdEEviiT1_T2_lllT3_llli ; -- Begin function _ZN12_GLOBAL__N_120gemm_ex_scale_kernelILi32ELi32EdPKPKdPKPdEEviiT1_T2_lllT3_llli
	.p2align	8
	.type	_ZN12_GLOBAL__N_120gemm_ex_scale_kernelILi32ELi32EdPKPKdPKPdEEviiT1_T2_lllT3_llli,@function
_ZN12_GLOBAL__N_120gemm_ex_scale_kernelILi32ELi32EdPKPKdPKPdEEviiT1_T2_lllT3_llli: ; @_ZN12_GLOBAL__N_120gemm_ex_scale_kernelILi32ELi32EdPKPKdPKPdEEviiT1_T2_lllT3_llli
; %bb.0:
	s_load_dwordx8 s[12:19], s[4:5], 0x8
	s_mov_b64 s[10:11], 0
	s_mov_b32 s9, 0
	s_waitcnt lgkmcnt(0)
	v_cmp_eq_f64_e64 s20, s[12:13], 0
	s_and_b32 vcc_lo, exec_lo, s20
	s_cbranch_vccnz .LBB0_2
; %bb.1:
	s_lshl_b64 s[0:1], s[8:9], 3
	s_add_u32 s0, s14, s0
	s_addc_u32 s1, s15, s1
	s_lshl_b64 s[2:3], s[16:17], 3
	s_load_dwordx2 s[0:1], s[0:1], 0x0
	s_waitcnt lgkmcnt(0)
	s_add_u32 s10, s0, s2
	s_addc_u32 s11, s1, s3
.LBB0_2:
	s_load_dwordx2 s[0:1], s[4:5], 0x0
	v_lshl_add_u32 v0, s6, 5, v0
	v_lshl_add_u32 v4, s7, 5, v1
	s_waitcnt lgkmcnt(0)
	v_cmp_gt_u32_e32 vcc_lo, s0, v0
	v_cmp_gt_u32_e64 s0, s1, v4
	s_and_b32 s0, vcc_lo, s0
	s_and_saveexec_b32 s1, s0
	s_cbranch_execz .LBB0_8
; %bb.3:
	s_load_dwordx4 s[0:3], s[4:5], 0x30
	s_lshl_b64 s[6:7], s[8:9], 3
	s_load_dwordx2 s[4:5], s[4:5], 0x40
	v_mov_b32_e32 v1, 0
	s_waitcnt lgkmcnt(0)
	s_add_u32 s0, s0, s6
	s_addc_u32 s1, s1, s7
	s_andn2_b32 vcc_lo, exec_lo, s20
	s_load_dwordx2 s[0:1], s[0:1], 0x0
	s_cbranch_vccnz .LBB0_5
; %bb.4:
	v_mov_b32_e32 v2, 0
	v_mov_b32_e32 v3, 0
	s_cbranch_execz .LBB0_6
	s_branch .LBB0_7
.LBB0_5:
	v_mov_b32_e32 v2, 0
	v_mov_b32_e32 v3, 0
.LBB0_6:
	v_mad_u64_u32 v[2:3], null, s18, v4, 0
	v_mad_u64_u32 v[5:6], null, s19, v4, v[3:4]
	v_mov_b32_e32 v3, v5
	v_lshlrev_b64 v[5:6], 3, v[0:1]
	v_lshlrev_b64 v[2:3], 3, v[2:3]
	v_add_co_u32 v2, vcc_lo, s10, v2
	v_add_co_ci_u32_e64 v3, null, s11, v3, vcc_lo
	v_add_co_u32 v2, vcc_lo, v2, v5
	v_add_co_ci_u32_e64 v3, null, v3, v6, vcc_lo
	flat_load_dwordx2 v[2:3], v[2:3]
	s_waitcnt vmcnt(0) lgkmcnt(0)
	v_mul_f64 v[2:3], s[12:13], v[2:3]
.LBB0_7:
	v_mad_u64_u32 v[5:6], null, s4, v4, 0
	s_lshl_b64 s[2:3], s[2:3], 3
	v_lshlrev_b64 v[0:1], 3, v[0:1]
	s_waitcnt lgkmcnt(0)
	s_add_u32 s0, s0, s2
	s_addc_u32 s1, s1, s3
	v_mad_u64_u32 v[6:7], null, s5, v4, v[6:7]
	v_lshlrev_b64 v[4:5], 3, v[5:6]
	v_add_co_u32 v4, vcc_lo, s0, v4
	v_add_co_ci_u32_e64 v5, null, s1, v5, vcc_lo
	v_add_co_u32 v0, vcc_lo, v4, v0
	v_add_co_ci_u32_e64 v1, null, v5, v1, vcc_lo
	flat_store_dwordx2 v[0:1], v[2:3]
.LBB0_8:
	s_endpgm
	.section	.rodata,"a",@progbits
	.p2align	6, 0x0
	.amdhsa_kernel _ZN12_GLOBAL__N_120gemm_ex_scale_kernelILi32ELi32EdPKPKdPKPdEEviiT1_T2_lllT3_llli
		.amdhsa_group_segment_fixed_size 0
		.amdhsa_private_segment_fixed_size 0
		.amdhsa_kernarg_size 84
		.amdhsa_user_sgpr_count 6
		.amdhsa_user_sgpr_private_segment_buffer 1
		.amdhsa_user_sgpr_dispatch_ptr 0
		.amdhsa_user_sgpr_queue_ptr 0
		.amdhsa_user_sgpr_kernarg_segment_ptr 1
		.amdhsa_user_sgpr_dispatch_id 0
		.amdhsa_user_sgpr_flat_scratch_init 0
		.amdhsa_user_sgpr_private_segment_size 0
		.amdhsa_wavefront_size32 1
		.amdhsa_uses_dynamic_stack 0
		.amdhsa_system_sgpr_private_segment_wavefront_offset 0
		.amdhsa_system_sgpr_workgroup_id_x 1
		.amdhsa_system_sgpr_workgroup_id_y 1
		.amdhsa_system_sgpr_workgroup_id_z 1
		.amdhsa_system_sgpr_workgroup_info 0
		.amdhsa_system_vgpr_workitem_id 1
		.amdhsa_next_free_vgpr 8
		.amdhsa_next_free_sgpr 21
		.amdhsa_reserve_vcc 1
		.amdhsa_reserve_flat_scratch 0
		.amdhsa_float_round_mode_32 0
		.amdhsa_float_round_mode_16_64 0
		.amdhsa_float_denorm_mode_32 3
		.amdhsa_float_denorm_mode_16_64 3
		.amdhsa_dx10_clamp 1
		.amdhsa_ieee_mode 1
		.amdhsa_fp16_overflow 0
		.amdhsa_workgroup_processor_mode 1
		.amdhsa_memory_ordered 1
		.amdhsa_forward_progress 1
		.amdhsa_shared_vgpr_count 0
		.amdhsa_exception_fp_ieee_invalid_op 0
		.amdhsa_exception_fp_denorm_src 0
		.amdhsa_exception_fp_ieee_div_zero 0
		.amdhsa_exception_fp_ieee_overflow 0
		.amdhsa_exception_fp_ieee_underflow 0
		.amdhsa_exception_fp_ieee_inexact 0
		.amdhsa_exception_int_div_zero 0
	.end_amdhsa_kernel
	.section	.text._ZN12_GLOBAL__N_120gemm_ex_scale_kernelILi32ELi32EdPKPKdPKPdEEviiT1_T2_lllT3_llli,"axG",@progbits,_ZN12_GLOBAL__N_120gemm_ex_scale_kernelILi32ELi32EdPKPKdPKPdEEviiT1_T2_lllT3_llli,comdat
.Lfunc_end0:
	.size	_ZN12_GLOBAL__N_120gemm_ex_scale_kernelILi32ELi32EdPKPKdPKPdEEviiT1_T2_lllT3_llli, .Lfunc_end0-_ZN12_GLOBAL__N_120gemm_ex_scale_kernelILi32ELi32EdPKPKdPKPdEEviiT1_T2_lllT3_llli
                                        ; -- End function
	.set _ZN12_GLOBAL__N_120gemm_ex_scale_kernelILi32ELi32EdPKPKdPKPdEEviiT1_T2_lllT3_llli.num_vgpr, 8
	.set _ZN12_GLOBAL__N_120gemm_ex_scale_kernelILi32ELi32EdPKPKdPKPdEEviiT1_T2_lllT3_llli.num_agpr, 0
	.set _ZN12_GLOBAL__N_120gemm_ex_scale_kernelILi32ELi32EdPKPKdPKPdEEviiT1_T2_lllT3_llli.numbered_sgpr, 21
	.set _ZN12_GLOBAL__N_120gemm_ex_scale_kernelILi32ELi32EdPKPKdPKPdEEviiT1_T2_lllT3_llli.num_named_barrier, 0
	.set _ZN12_GLOBAL__N_120gemm_ex_scale_kernelILi32ELi32EdPKPKdPKPdEEviiT1_T2_lllT3_llli.private_seg_size, 0
	.set _ZN12_GLOBAL__N_120gemm_ex_scale_kernelILi32ELi32EdPKPKdPKPdEEviiT1_T2_lllT3_llli.uses_vcc, 1
	.set _ZN12_GLOBAL__N_120gemm_ex_scale_kernelILi32ELi32EdPKPKdPKPdEEviiT1_T2_lllT3_llli.uses_flat_scratch, 0
	.set _ZN12_GLOBAL__N_120gemm_ex_scale_kernelILi32ELi32EdPKPKdPKPdEEviiT1_T2_lllT3_llli.has_dyn_sized_stack, 0
	.set _ZN12_GLOBAL__N_120gemm_ex_scale_kernelILi32ELi32EdPKPKdPKPdEEviiT1_T2_lllT3_llli.has_recursion, 0
	.set _ZN12_GLOBAL__N_120gemm_ex_scale_kernelILi32ELi32EdPKPKdPKPdEEviiT1_T2_lllT3_llli.has_indirect_call, 0
	.section	.AMDGPU.csdata,"",@progbits
; Kernel info:
; codeLenInByte = 380
; TotalNumSgprs: 23
; NumVgprs: 8
; ScratchSize: 0
; MemoryBound: 0
; FloatMode: 240
; IeeeMode: 1
; LDSByteSize: 0 bytes/workgroup (compile time only)
; SGPRBlocks: 0
; VGPRBlocks: 0
; NumSGPRsForWavesPerEU: 23
; NumVGPRsForWavesPerEU: 8
; Occupancy: 16
; WaveLimiterHint : 1
; COMPUTE_PGM_RSRC2:SCRATCH_EN: 0
; COMPUTE_PGM_RSRC2:USER_SGPR: 6
; COMPUTE_PGM_RSRC2:TRAP_HANDLER: 0
; COMPUTE_PGM_RSRC2:TGID_X_EN: 1
; COMPUTE_PGM_RSRC2:TGID_Y_EN: 1
; COMPUTE_PGM_RSRC2:TGID_Z_EN: 1
; COMPUTE_PGM_RSRC2:TIDIG_COMP_CNT: 1
	.section	.text._ZN12_GLOBAL__N_127rocblas_gemm_batched_kernelIdLi16ELi16ELi64ELi64ELi4ELi64ELi4ELi4ELi64ELc78ELc78EKPKdS3_KPdEEvlllT_PT11_llS8_llS6_PT12_llPT13_lli,"axG",@progbits,_ZN12_GLOBAL__N_127rocblas_gemm_batched_kernelIdLi16ELi16ELi64ELi64ELi4ELi64ELi4ELi4ELi64ELc78ELc78EKPKdS3_KPdEEvlllT_PT11_llS8_llS6_PT12_llPT13_lli,comdat
	.globl	_ZN12_GLOBAL__N_127rocblas_gemm_batched_kernelIdLi16ELi16ELi64ELi64ELi4ELi64ELi4ELi4ELi64ELc78ELc78EKPKdS3_KPdEEvlllT_PT11_llS8_llS6_PT12_llPT13_lli ; -- Begin function _ZN12_GLOBAL__N_127rocblas_gemm_batched_kernelIdLi16ELi16ELi64ELi64ELi4ELi64ELi4ELi4ELi64ELc78ELc78EKPKdS3_KPdEEvlllT_PT11_llS8_llS6_PT12_llPT13_lli
	.p2align	8
	.type	_ZN12_GLOBAL__N_127rocblas_gemm_batched_kernelIdLi16ELi16ELi64ELi64ELi4ELi64ELi4ELi4ELi64ELc78ELc78EKPKdS3_KPdEEvlllT_PT11_llS8_llS6_PT12_llPT13_lli,@function
_ZN12_GLOBAL__N_127rocblas_gemm_batched_kernelIdLi16ELi16ELi64ELi64ELi4ELi64ELi4ELi4ELi64ELc78ELc78EKPKdS3_KPdEEvlllT_PT11_llS8_llS6_PT12_llPT13_lli: ; @_ZN12_GLOBAL__N_127rocblas_gemm_batched_kernelIdLi16ELi16ELi64ELi64ELi4ELi64ELi4ELi4ELi64ELc78ELc78EKPKdS3_KPdEEvlllT_PT11_llS8_llS6_PT12_llPT13_lli
; %bb.0:
	s_clause 0x2
	s_load_dwordx8 s[36:43], s[4:5], 0x50
	s_load_dwordx8 s[44:51], s[4:5], 0x70
	s_load_dwordx16 s[12:27], s[4:5], 0x10
	s_mov_b32 s9, 0
	s_mov_b32 s10, s7
	s_lshl_b64 s[0:1], s[8:9], 3
	s_waitcnt lgkmcnt(0)
	s_add_u32 s2, s38, s0
	s_addc_u32 s3, s39, s1
	s_add_u32 s4, s44, s0
	s_addc_u32 s5, s45, s1
	s_load_dwordx2 s[2:3], s[2:3], 0x0
	s_load_dwordx2 s[4:5], s[4:5], 0x0
	v_cmp_lt_i64_e64 s8, s[12:13], 1
	s_ashr_i32 s7, s6, 31
	s_ashr_i32 s11, s10, 31
	s_lshl_b64 s[6:7], s[6:7], 6
	s_and_b32 vcc_lo, exec_lo, s8
	s_lshl_b64 s[8:9], s[10:11], 6
	s_cbranch_vccnz .LBB1_3
; %bb.1:
	v_lshl_add_u32 v4, v1, 4, v0
	v_and_b32_e32 v5, 3, v0
	s_add_u32 s10, s16, s0
	v_mov_b32_e32 v12, 0
	v_mov_b32_e32 v14, 0
	v_lshrrev_b32_e32 v6, 2, v4
	v_lshlrev_b32_e32 v11, 3, v5
	v_lshrrev_b32_e32 v9, 6, v4
	v_and_b32_e32 v10, 63, v4
	v_mov_b32_e32 v22, 0
	v_add_co_u32 v2, s11, v6, s8
	v_add_co_ci_u32_e64 v3, null, 0, s9, s11
	s_addc_u32 s11, s17, s1
	v_mul_lo_u32 v7, s25, v2
	s_add_u32 s0, s22, s0
	v_mul_lo_u32 v8, s24, v3
	v_mad_u64_u32 v[2:3], null, s24, v2, 0
	v_lshl_or_b32 v6, v6, 5, v11
	s_addc_u32 s1, s23, s1
	v_mad_u64_u32 v[4:5], null, s18, v9, s[6:7]
	s_load_dwordx2 s[0:1], s[0:1], 0x0
	s_lshl_b64 s[16:17], s[26:27], 3
	v_add3_u32 v3, v3, v8, v7
	v_lshlrev_b32_e32 v7, 3, v10
	v_add_nc_u32_e32 v41, 0x800, v6
	s_load_dwordx2 s[10:11], s[10:11], 0x0
	v_mov_b32_e32 v20, 0
	v_lshlrev_b64 v[2:3], 3, v[2:3]
	v_lshl_or_b32 v40, v9, 9, v7
	v_mov_b32_e32 v24, 0
	v_mov_b32_e32 v28, 0
	;; [unrolled: 1-line block ×4, first 2 shown]
	v_add_co_u32 v6, vcc_lo, v2, s16
	v_add_co_ci_u32_e64 v7, null, s17, v3, vcc_lo
	v_mov_b32_e32 v18, 0
	v_mad_u64_u32 v[2:3], null, s19, v9, v[5:6]
	v_add_co_u32 v5, vcc_lo, v6, v11
	v_add_co_ci_u32_e64 v6, null, 0, v7, vcc_lo
	v_add_co_u32 v3, vcc_lo, v4, v10
	v_add_co_ci_u32_e64 v4, null, 0, v2, vcc_lo
	s_waitcnt lgkmcnt(0)
	v_add_co_u32 v34, vcc_lo, s0, v5
	v_add_co_ci_u32_e64 v35, null, s1, v6, vcc_lo
	v_lshlrev_b64 v[36:37], 3, v[3:4]
	s_lshl_b64 s[0:1], s[20:21], 3
	v_mov_b32_e32 v2, 0
	s_add_u32 s0, s10, s0
	s_addc_u32 s1, s11, s1
	v_mov_b32_e32 v4, 0
	v_add_co_u32 v36, vcc_lo, s0, v36
	v_mov_b32_e32 v6, 0
	v_mov_b32_e32 v8, 0
	v_mov_b32_e32 v10, 0
	v_mov_b32_e32 v26, 0
	v_mov_b32_e32 v30, 0
	v_lshlrev_b32_e32 v38, 3, v0
	v_lshl_add_u32 v39, v1, 5, 0x800
	v_mov_b32_e32 v3, 0
	v_mov_b32_e32 v5, 0
	;; [unrolled: 1-line block ×16, first 2 shown]
	v_add_co_ci_u32_e64 v37, null, s1, v37, vcc_lo
	s_lshl_b64 s[10:11], s[18:19], 5
	s_mov_b64 s[16:17], 0
.LBB1_2:                                ; =>This Inner Loop Header: Depth=1
	flat_load_dwordx2 v[42:43], v[36:37]
	s_add_u32 s16, s16, 4
	s_addc_u32 s17, s17, 0
	v_add_co_u32 v36, vcc_lo, v36, s10
	v_cmp_lt_i64_e64 s0, s[16:17], s[12:13]
	v_add_co_ci_u32_e64 v37, null, s11, v37, vcc_lo
	s_and_b32 vcc_lo, exec_lo, s0
	s_waitcnt vmcnt(0) lgkmcnt(0)
	ds_write_b64 v40, v[42:43]
	flat_load_dwordx2 v[42:43], v[34:35]
	v_add_co_u32 v34, s0, v34, 32
	v_add_co_ci_u32_e64 v35, null, 0, v35, s0
	s_waitcnt vmcnt(0) lgkmcnt(0)
	ds_write_b64 v41, v[42:43]
	s_waitcnt lgkmcnt(0)
	s_barrier
	buffer_gl0_inv
	ds_read_b128 v[42:45], v39
	ds_read2_b64 v[46:49], v38 offset1:16
	ds_read_b128 v[50:53], v39 offset:512
	ds_read_b128 v[54:57], v39 offset:16
	;; [unrolled: 1-line block ×3, first 2 shown]
	s_waitcnt lgkmcnt(3)
	v_fma_f64 v[70:71], v[46:47], v[42:43], v[30:31]
	v_fma_f64 v[72:73], v[48:49], v[42:43], v[26:27]
	s_waitcnt lgkmcnt(2)
	v_fma_f64 v[74:75], v[46:47], v[50:51], v[32:33]
	v_fma_f64 v[76:77], v[48:49], v[50:51], v[28:29]
	ds_read_b128 v[26:29], v39 offset:1024
	ds_read_b128 v[62:65], v39 offset:1040
	;; [unrolled: 1-line block ×4, first 2 shown]
	s_waitcnt lgkmcnt(3)
	v_fma_f64 v[22:23], v[46:47], v[26:27], v[22:23]
	v_fma_f64 v[14:15], v[48:49], v[26:27], v[14:15]
	s_waitcnt lgkmcnt(1)
	v_fma_f64 v[46:47], v[46:47], v[30:31], v[8:9]
	v_fma_f64 v[48:49], v[48:49], v[30:31], v[6:7]
	ds_read2_b64 v[6:9], v38 offset0:32 offset1:48
	s_waitcnt lgkmcnt(0)
	v_fma_f64 v[18:19], v[6:7], v[42:43], v[18:19]
	v_fma_f64 v[16:17], v[8:9], v[42:43], v[16:17]
	;; [unrolled: 1-line block ×8, first 2 shown]
	ds_read2_b64 v[2:5], v38 offset0:64 offset1:80
	ds_read2_b64 v[6:9], v38 offset0:96 offset1:112
	s_waitcnt lgkmcnt(1)
	v_fma_f64 v[42:43], v[2:3], v[44:45], v[70:71]
	v_fma_f64 v[50:51], v[4:5], v[44:45], v[72:73]
	s_waitcnt lgkmcnt(0)
	v_fma_f64 v[18:19], v[6:7], v[44:45], v[18:19]
	v_fma_f64 v[16:17], v[8:9], v[44:45], v[16:17]
	;; [unrolled: 1-line block ×10, first 2 shown]
	ds_read2_b64 v[2:5], v38 offset0:128 offset1:144
	v_fma_f64 v[24:25], v[6:7], v[52:53], v[24:25]
	v_fma_f64 v[20:21], v[8:9], v[52:53], v[20:21]
	;; [unrolled: 1-line block ×4, first 2 shown]
	s_waitcnt lgkmcnt(0)
	v_fma_f64 v[26:27], v[2:3], v[54:55], v[42:43]
	v_fma_f64 v[32:33], v[4:5], v[54:55], v[50:51]
	;; [unrolled: 1-line block ×8, first 2 shown]
	ds_read2_b64 v[2:5], v38 offset0:160 offset1:176
	ds_read2_b64 v[42:45], v38 offset0:224 offset1:240
	s_waitcnt lgkmcnt(1)
	v_fma_f64 v[18:19], v[2:3], v[54:55], v[18:19]
	v_fma_f64 v[16:17], v[4:5], v[54:55], v[16:17]
	;; [unrolled: 1-line block ×8, first 2 shown]
	ds_read2_b64 v[2:5], v38 offset0:192 offset1:208
	s_waitcnt lgkmcnt(0)
	s_barrier
	buffer_gl0_inv
	v_fma_f64 v[18:19], v[42:43], v[56:57], v[18:19]
	v_fma_f64 v[16:17], v[44:45], v[56:57], v[16:17]
	v_fma_f64 v[24:25], v[42:43], v[60:61], v[24:25]
	v_fma_f64 v[20:21], v[44:45], v[60:61], v[20:21]
	v_fma_f64 v[12:13], v[42:43], v[64:65], v[12:13]
	v_fma_f64 v[10:11], v[44:45], v[64:65], v[10:11]
	v_fma_f64 v[30:31], v[2:3], v[56:57], v[26:27]
	v_fma_f64 v[26:27], v[4:5], v[56:57], v[32:33]
	v_fma_f64 v[32:33], v[2:3], v[60:61], v[48:49]
	v_fma_f64 v[28:29], v[4:5], v[60:61], v[50:51]
	v_fma_f64 v[22:23], v[2:3], v[64:65], v[22:23]
	v_fma_f64 v[14:15], v[4:5], v[64:65], v[14:15]
	v_fma_f64 v[8:9], v[2:3], v[68:69], v[52:53]
	v_fma_f64 v[6:7], v[4:5], v[68:69], v[46:47]
	v_fma_f64 v[4:5], v[42:43], v[68:69], v[54:55]
	v_fma_f64 v[2:3], v[44:45], v[68:69], v[58:59]
	s_cbranch_vccnz .LBB1_2
	s_branch .LBB1_4
.LBB1_3:
	v_mov_b32_e32 v30, 0
	v_mov_b32_e32 v26, 0
	;; [unrolled: 1-line block ×32, first 2 shown]
.LBB1_4:
	v_cmp_neq_f64_e64 s10, s[36:37], 0
	v_add_co_u32 v34, s8, s8, v1
	v_add_co_ci_u32_e64 v37, null, s9, 0, s8
	v_add_co_u32 v0, s6, s6, v0
	v_add_co_ci_u32_e64 v1, null, s7, 0, s6
	v_mul_lo_u32 v35, v37, s46
	v_mul_lo_u32 v36, v34, s47
	s_lshl_b64 s[0:1], s[48:49], 3
	v_lshlrev_b64 v[0:1], 3, v[0:1]
	s_waitcnt lgkmcnt(0)
	s_add_u32 s0, s4, s0
	s_addc_u32 s1, s5, s1
	s_and_b32 vcc_lo, exec_lo, s10
	s_cbranch_vccnz .LBB1_8
; %bb.5:
	v_mad_u64_u32 v[38:39], null, v34, s46, 0
	v_mul_f64 v[40:41], s[14:15], v[30:31]
	v_mul_f64 v[42:43], s[14:15], v[26:27]
	;; [unrolled: 1-line block ×6, first 2 shown]
	v_add3_u32 v39, v39, v36, v35
	v_mul_f64 v[52:53], s[14:15], v[24:25]
	s_lshl_b64 s[4:5], s[46:47], 7
	v_lshlrev_b64 v[38:39], 3, v[38:39]
	v_add_co_u32 v54, vcc_lo, s0, v38
	v_add_co_ci_u32_e64 v55, null, s1, v39, vcc_lo
	v_mul_f64 v[38:39], s[14:15], v[20:21]
	v_add_co_u32 v58, vcc_lo, v54, s4
	v_add_co_ci_u32_e64 v59, null, s5, v55, vcc_lo
	v_add_co_u32 v54, vcc_lo, v54, v0
	v_add_co_ci_u32_e64 v55, null, v55, v1, vcc_lo
	v_add_co_u32 v56, vcc_lo, v58, v0
	v_add_co_ci_u32_e64 v57, null, v59, v1, vcc_lo
	flat_store_dwordx2 v[54:55], v[40:41]
	flat_store_dwordx2 v[54:55], v[42:43] offset:128
	flat_store_dwordx2 v[54:55], v[44:45] offset:256
	;; [unrolled: 1-line block ×3, first 2 shown]
	flat_store_dwordx2 v[56:57], v[48:49]
	flat_store_dwordx2 v[56:57], v[50:51] offset:128
	flat_store_dwordx2 v[56:57], v[52:53] offset:256
	v_mul_f64 v[40:41], s[14:15], v[22:23]
	v_mul_f64 v[54:55], s[14:15], v[2:3]
	;; [unrolled: 1-line block ×7, first 2 shown]
	v_add_co_u32 v58, vcc_lo, v58, s4
	v_mul_f64 v[52:53], s[14:15], v[4:5]
	v_add_co_ci_u32_e64 v59, null, s5, v59, vcc_lo
	flat_store_dwordx2 v[56:57], v[38:39] offset:384
	v_add_co_u32 v56, vcc_lo, v58, s4
	v_add_co_ci_u32_e64 v57, null, s5, v59, vcc_lo
	v_add_co_u32 v38, vcc_lo, v58, v0
	v_add_co_ci_u32_e64 v39, null, v59, v1, vcc_lo
	;; [unrolled: 2-line block ×3, first 2 shown]
	flat_store_dwordx2 v[38:39], v[40:41]
	flat_store_dwordx2 v[38:39], v[42:43] offset:128
	flat_store_dwordx2 v[38:39], v[44:45] offset:256
	;; [unrolled: 1-line block ×3, first 2 shown]
	flat_store_dwordx2 v[56:57], v[48:49]
	flat_store_dwordx2 v[56:57], v[50:51] offset:128
	flat_store_dwordx2 v[56:57], v[52:53] offset:256
	;; [unrolled: 1-line block ×3, first 2 shown]
	s_cbranch_execnz .LBB1_7
.LBB1_6:
	v_mul_lo_u32 v39, v37, s40
	v_mul_lo_u32 v40, v34, s41
	v_mad_u64_u32 v[37:38], null, v34, s40, 0
	s_lshl_b64 s[4:5], s[42:43], 3
	v_mad_u64_u32 v[41:42], null, v34, s46, 0
	s_add_u32 s2, s2, s4
	s_addc_u32 s3, s3, s5
	v_add3_u32 v38, v38, v40, v39
	v_add3_u32 v42, v42, v36, v35
	v_lshlrev_b64 v[37:38], 3, v[37:38]
	v_lshlrev_b64 v[34:35], 3, v[41:42]
	v_add_co_u32 v43, vcc_lo, s2, v37
	v_add_co_ci_u32_e64 v44, null, s3, v38, vcc_lo
	s_lshl_b64 s[2:3], s[46:47], 7
	v_add_co_u32 v37, vcc_lo, v43, v0
	v_add_co_ci_u32_e64 v38, null, v44, v1, vcc_lo
	v_add_co_u32 v36, vcc_lo, s0, v34
	flat_load_dwordx2 v[39:40], v[37:38]
	s_waitcnt vmcnt(0) lgkmcnt(0)
	v_mul_f64 v[39:40], s[36:37], v[39:40]
	v_fma_f64 v[30:31], s[14:15], v[30:31], v[39:40]
	v_add_co_ci_u32_e64 v39, null, s1, v35, vcc_lo
	v_add_co_u32 v34, vcc_lo, v36, v0
	s_lshl_b64 s[0:1], s[40:41], 7
	v_add_co_ci_u32_e64 v35, null, v39, v1, vcc_lo
	flat_store_dwordx2 v[34:35], v[30:31]
	flat_load_dwordx2 v[30:31], v[37:38] offset:128
	s_waitcnt vmcnt(0) lgkmcnt(0)
	v_mul_f64 v[30:31], s[36:37], v[30:31]
	v_fma_f64 v[26:27], s[14:15], v[26:27], v[30:31]
	v_add_co_u32 v30, vcc_lo, v43, s0
	v_add_co_ci_u32_e64 v31, null, s1, v44, vcc_lo
	flat_store_dwordx2 v[34:35], v[26:27] offset:128
	flat_load_dwordx2 v[26:27], v[37:38] offset:256
	s_waitcnt vmcnt(0) lgkmcnt(0)
	v_mul_f64 v[26:27], s[36:37], v[26:27]
	v_fma_f64 v[18:19], s[14:15], v[18:19], v[26:27]
	flat_store_dwordx2 v[34:35], v[18:19] offset:256
	flat_load_dwordx2 v[18:19], v[37:38] offset:384
	s_waitcnt vmcnt(0) lgkmcnt(0)
	v_mul_f64 v[18:19], s[36:37], v[18:19]
	v_fma_f64 v[16:17], s[14:15], v[16:17], v[18:19]
	v_add_co_u32 v18, vcc_lo, v30, v0
	v_add_co_ci_u32_e64 v19, null, v31, v1, vcc_lo
	flat_store_dwordx2 v[34:35], v[16:17] offset:384
	flat_load_dwordx2 v[16:17], v[18:19]
	s_waitcnt vmcnt(0) lgkmcnt(0)
	v_mul_f64 v[16:17], s[36:37], v[16:17]
	v_fma_f64 v[16:17], s[14:15], v[32:33], v[16:17]
	v_add_co_u32 v32, vcc_lo, v36, s2
	v_add_co_ci_u32_e64 v33, null, s3, v39, vcc_lo
	v_add_co_u32 v26, vcc_lo, v32, v0
	v_add_co_ci_u32_e64 v27, null, v33, v1, vcc_lo
	flat_store_dwordx2 v[26:27], v[16:17]
	flat_load_dwordx2 v[16:17], v[18:19] offset:128
	s_waitcnt vmcnt(0) lgkmcnt(0)
	v_mul_f64 v[16:17], s[36:37], v[16:17]
	v_fma_f64 v[16:17], s[14:15], v[28:29], v[16:17]
	flat_store_dwordx2 v[26:27], v[16:17] offset:128
	flat_load_dwordx2 v[16:17], v[18:19] offset:256
	s_waitcnt vmcnt(0) lgkmcnt(0)
	v_mul_f64 v[16:17], s[36:37], v[16:17]
	v_fma_f64 v[16:17], s[14:15], v[24:25], v[16:17]
	v_add_co_u32 v24, vcc_lo, v30, s0
	v_add_co_ci_u32_e64 v25, null, s1, v31, vcc_lo
	flat_store_dwordx2 v[26:27], v[16:17] offset:256
	flat_load_dwordx2 v[16:17], v[18:19] offset:384
	v_add_co_u32 v18, vcc_lo, v24, v0
	v_add_co_ci_u32_e64 v19, null, v25, v1, vcc_lo
	s_waitcnt vmcnt(0) lgkmcnt(0)
	v_mul_f64 v[16:17], s[36:37], v[16:17]
	v_fma_f64 v[16:17], s[14:15], v[20:21], v[16:17]
	flat_store_dwordx2 v[26:27], v[16:17] offset:384
	flat_load_dwordx2 v[16:17], v[18:19]
	s_waitcnt vmcnt(0) lgkmcnt(0)
	v_mul_f64 v[16:17], s[36:37], v[16:17]
	v_fma_f64 v[16:17], s[14:15], v[22:23], v[16:17]
	v_add_co_u32 v22, vcc_lo, v32, s2
	v_add_co_ci_u32_e64 v23, null, s3, v33, vcc_lo
	v_add_co_u32 v20, vcc_lo, v22, v0
	v_add_co_ci_u32_e64 v21, null, v23, v1, vcc_lo
	flat_store_dwordx2 v[20:21], v[16:17]
	flat_load_dwordx2 v[16:17], v[18:19] offset:128
	s_waitcnt vmcnt(0) lgkmcnt(0)
	v_mul_f64 v[16:17], s[36:37], v[16:17]
	v_fma_f64 v[14:15], s[14:15], v[14:15], v[16:17]
	flat_store_dwordx2 v[20:21], v[14:15] offset:128
	flat_load_dwordx2 v[14:15], v[18:19] offset:256
	s_waitcnt vmcnt(0) lgkmcnt(0)
	v_mul_f64 v[14:15], s[36:37], v[14:15]
	v_fma_f64 v[12:13], s[14:15], v[12:13], v[14:15]
	flat_store_dwordx2 v[20:21], v[12:13] offset:256
	flat_load_dwordx2 v[12:13], v[18:19] offset:384
	s_waitcnt vmcnt(0) lgkmcnt(0)
	v_mul_f64 v[12:13], s[36:37], v[12:13]
	v_fma_f64 v[10:11], s[14:15], v[10:11], v[12:13]
	v_add_co_u32 v12, vcc_lo, v24, s0
	v_add_co_ci_u32_e64 v13, null, s1, v25, vcc_lo
	v_add_co_u32 v12, vcc_lo, v12, v0
	v_add_co_ci_u32_e64 v13, null, v13, v1, vcc_lo
	flat_store_dwordx2 v[20:21], v[10:11] offset:384
	flat_load_dwordx2 v[10:11], v[12:13]
	s_waitcnt vmcnt(0) lgkmcnt(0)
	v_mul_f64 v[10:11], s[36:37], v[10:11]
	v_fma_f64 v[8:9], s[14:15], v[8:9], v[10:11]
	v_add_co_u32 v10, vcc_lo, v22, s2
	v_add_co_ci_u32_e64 v11, null, s3, v23, vcc_lo
	v_add_co_u32 v0, vcc_lo, v10, v0
	v_add_co_ci_u32_e64 v1, null, v11, v1, vcc_lo
	flat_store_dwordx2 v[0:1], v[8:9]
	flat_load_dwordx2 v[8:9], v[12:13] offset:128
	s_waitcnt vmcnt(0) lgkmcnt(0)
	v_mul_f64 v[8:9], s[36:37], v[8:9]
	v_fma_f64 v[6:7], s[14:15], v[6:7], v[8:9]
	flat_store_dwordx2 v[0:1], v[6:7] offset:128
	flat_load_dwordx2 v[6:7], v[12:13] offset:256
	s_waitcnt vmcnt(0) lgkmcnt(0)
	v_mul_f64 v[6:7], s[36:37], v[6:7]
	v_fma_f64 v[4:5], s[14:15], v[4:5], v[6:7]
	flat_store_dwordx2 v[0:1], v[4:5] offset:256
	;; [unrolled: 5-line block ×3, first 2 shown]
.LBB1_7:
	s_endpgm
.LBB1_8:
	s_branch .LBB1_6
	.section	.rodata,"a",@progbits
	.p2align	6, 0x0
	.amdhsa_kernel _ZN12_GLOBAL__N_127rocblas_gemm_batched_kernelIdLi16ELi16ELi64ELi64ELi4ELi64ELi4ELi4ELi64ELc78ELc78EKPKdS3_KPdEEvlllT_PT11_llS8_llS6_PT12_llPT13_lli
		.amdhsa_group_segment_fixed_size 4096
		.amdhsa_private_segment_fixed_size 0
		.amdhsa_kernarg_size 140
		.amdhsa_user_sgpr_count 6
		.amdhsa_user_sgpr_private_segment_buffer 1
		.amdhsa_user_sgpr_dispatch_ptr 0
		.amdhsa_user_sgpr_queue_ptr 0
		.amdhsa_user_sgpr_kernarg_segment_ptr 1
		.amdhsa_user_sgpr_dispatch_id 0
		.amdhsa_user_sgpr_flat_scratch_init 0
		.amdhsa_user_sgpr_private_segment_size 0
		.amdhsa_wavefront_size32 1
		.amdhsa_uses_dynamic_stack 0
		.amdhsa_system_sgpr_private_segment_wavefront_offset 0
		.amdhsa_system_sgpr_workgroup_id_x 1
		.amdhsa_system_sgpr_workgroup_id_y 1
		.amdhsa_system_sgpr_workgroup_id_z 1
		.amdhsa_system_sgpr_workgroup_info 0
		.amdhsa_system_vgpr_workitem_id 1
		.amdhsa_next_free_vgpr 78
		.amdhsa_next_free_sgpr 52
		.amdhsa_reserve_vcc 1
		.amdhsa_reserve_flat_scratch 0
		.amdhsa_float_round_mode_32 0
		.amdhsa_float_round_mode_16_64 0
		.amdhsa_float_denorm_mode_32 3
		.amdhsa_float_denorm_mode_16_64 3
		.amdhsa_dx10_clamp 1
		.amdhsa_ieee_mode 1
		.amdhsa_fp16_overflow 0
		.amdhsa_workgroup_processor_mode 1
		.amdhsa_memory_ordered 1
		.amdhsa_forward_progress 1
		.amdhsa_shared_vgpr_count 0
		.amdhsa_exception_fp_ieee_invalid_op 0
		.amdhsa_exception_fp_denorm_src 0
		.amdhsa_exception_fp_ieee_div_zero 0
		.amdhsa_exception_fp_ieee_overflow 0
		.amdhsa_exception_fp_ieee_underflow 0
		.amdhsa_exception_fp_ieee_inexact 0
		.amdhsa_exception_int_div_zero 0
	.end_amdhsa_kernel
	.section	.text._ZN12_GLOBAL__N_127rocblas_gemm_batched_kernelIdLi16ELi16ELi64ELi64ELi4ELi64ELi4ELi4ELi64ELc78ELc78EKPKdS3_KPdEEvlllT_PT11_llS8_llS6_PT12_llPT13_lli,"axG",@progbits,_ZN12_GLOBAL__N_127rocblas_gemm_batched_kernelIdLi16ELi16ELi64ELi64ELi4ELi64ELi4ELi4ELi64ELc78ELc78EKPKdS3_KPdEEvlllT_PT11_llS8_llS6_PT12_llPT13_lli,comdat
.Lfunc_end1:
	.size	_ZN12_GLOBAL__N_127rocblas_gemm_batched_kernelIdLi16ELi16ELi64ELi64ELi4ELi64ELi4ELi4ELi64ELc78ELc78EKPKdS3_KPdEEvlllT_PT11_llS8_llS6_PT12_llPT13_lli, .Lfunc_end1-_ZN12_GLOBAL__N_127rocblas_gemm_batched_kernelIdLi16ELi16ELi64ELi64ELi4ELi64ELi4ELi4ELi64ELc78ELc78EKPKdS3_KPdEEvlllT_PT11_llS8_llS6_PT12_llPT13_lli
                                        ; -- End function
	.set _ZN12_GLOBAL__N_127rocblas_gemm_batched_kernelIdLi16ELi16ELi64ELi64ELi4ELi64ELi4ELi4ELi64ELc78ELc78EKPKdS3_KPdEEvlllT_PT11_llS8_llS6_PT12_llPT13_lli.num_vgpr, 78
	.set _ZN12_GLOBAL__N_127rocblas_gemm_batched_kernelIdLi16ELi16ELi64ELi64ELi4ELi64ELi4ELi4ELi64ELc78ELc78EKPKdS3_KPdEEvlllT_PT11_llS8_llS6_PT12_llPT13_lli.num_agpr, 0
	.set _ZN12_GLOBAL__N_127rocblas_gemm_batched_kernelIdLi16ELi16ELi64ELi64ELi4ELi64ELi4ELi4ELi64ELc78ELc78EKPKdS3_KPdEEvlllT_PT11_llS8_llS6_PT12_llPT13_lli.numbered_sgpr, 52
	.set _ZN12_GLOBAL__N_127rocblas_gemm_batched_kernelIdLi16ELi16ELi64ELi64ELi4ELi64ELi4ELi4ELi64ELc78ELc78EKPKdS3_KPdEEvlllT_PT11_llS8_llS6_PT12_llPT13_lli.num_named_barrier, 0
	.set _ZN12_GLOBAL__N_127rocblas_gemm_batched_kernelIdLi16ELi16ELi64ELi64ELi4ELi64ELi4ELi4ELi64ELc78ELc78EKPKdS3_KPdEEvlllT_PT11_llS8_llS6_PT12_llPT13_lli.private_seg_size, 0
	.set _ZN12_GLOBAL__N_127rocblas_gemm_batched_kernelIdLi16ELi16ELi64ELi64ELi4ELi64ELi4ELi4ELi64ELc78ELc78EKPKdS3_KPdEEvlllT_PT11_llS8_llS6_PT12_llPT13_lli.uses_vcc, 1
	.set _ZN12_GLOBAL__N_127rocblas_gemm_batched_kernelIdLi16ELi16ELi64ELi64ELi4ELi64ELi4ELi4ELi64ELc78ELc78EKPKdS3_KPdEEvlllT_PT11_llS8_llS6_PT12_llPT13_lli.uses_flat_scratch, 0
	.set _ZN12_GLOBAL__N_127rocblas_gemm_batched_kernelIdLi16ELi16ELi64ELi64ELi4ELi64ELi4ELi4ELi64ELc78ELc78EKPKdS3_KPdEEvlllT_PT11_llS8_llS6_PT12_llPT13_lli.has_dyn_sized_stack, 0
	.set _ZN12_GLOBAL__N_127rocblas_gemm_batched_kernelIdLi16ELi16ELi64ELi64ELi4ELi64ELi4ELi4ELi64ELc78ELc78EKPKdS3_KPdEEvlllT_PT11_llS8_llS6_PT12_llPT13_lli.has_recursion, 0
	.set _ZN12_GLOBAL__N_127rocblas_gemm_batched_kernelIdLi16ELi16ELi64ELi64ELi4ELi64ELi4ELi4ELi64ELc78ELc78EKPKdS3_KPdEEvlllT_PT11_llS8_llS6_PT12_llPT13_lli.has_indirect_call, 0
	.section	.AMDGPU.csdata,"",@progbits
; Kernel info:
; codeLenInByte = 2892
; TotalNumSgprs: 54
; NumVgprs: 78
; ScratchSize: 0
; MemoryBound: 0
; FloatMode: 240
; IeeeMode: 1
; LDSByteSize: 4096 bytes/workgroup (compile time only)
; SGPRBlocks: 0
; VGPRBlocks: 9
; NumSGPRsForWavesPerEU: 54
; NumVGPRsForWavesPerEU: 78
; Occupancy: 12
; WaveLimiterHint : 1
; COMPUTE_PGM_RSRC2:SCRATCH_EN: 0
; COMPUTE_PGM_RSRC2:USER_SGPR: 6
; COMPUTE_PGM_RSRC2:TRAP_HANDLER: 0
; COMPUTE_PGM_RSRC2:TGID_X_EN: 1
; COMPUTE_PGM_RSRC2:TGID_Y_EN: 1
; COMPUTE_PGM_RSRC2:TGID_Z_EN: 1
; COMPUTE_PGM_RSRC2:TIDIG_COMP_CNT: 1
	.section	.text._ZN12_GLOBAL__N_127rocblas_gemm_batched_kernelIdLi16ELi16ELi64ELi64ELi4ELi64ELi4ELi4ELi64ELc84ELc78EKPKdS3_KPdEEvlllT_PT11_llS8_llS6_PT12_llPT13_lli,"axG",@progbits,_ZN12_GLOBAL__N_127rocblas_gemm_batched_kernelIdLi16ELi16ELi64ELi64ELi4ELi64ELi4ELi4ELi64ELc84ELc78EKPKdS3_KPdEEvlllT_PT11_llS8_llS6_PT12_llPT13_lli,comdat
	.globl	_ZN12_GLOBAL__N_127rocblas_gemm_batched_kernelIdLi16ELi16ELi64ELi64ELi4ELi64ELi4ELi4ELi64ELc84ELc78EKPKdS3_KPdEEvlllT_PT11_llS8_llS6_PT12_llPT13_lli ; -- Begin function _ZN12_GLOBAL__N_127rocblas_gemm_batched_kernelIdLi16ELi16ELi64ELi64ELi4ELi64ELi4ELi4ELi64ELc84ELc78EKPKdS3_KPdEEvlllT_PT11_llS8_llS6_PT12_llPT13_lli
	.p2align	8
	.type	_ZN12_GLOBAL__N_127rocblas_gemm_batched_kernelIdLi16ELi16ELi64ELi64ELi4ELi64ELi4ELi4ELi64ELc84ELc78EKPKdS3_KPdEEvlllT_PT11_llS8_llS6_PT12_llPT13_lli,@function
_ZN12_GLOBAL__N_127rocblas_gemm_batched_kernelIdLi16ELi16ELi64ELi64ELi4ELi64ELi4ELi4ELi64ELc84ELc78EKPKdS3_KPdEEvlllT_PT11_llS8_llS6_PT12_llPT13_lli: ; @_ZN12_GLOBAL__N_127rocblas_gemm_batched_kernelIdLi16ELi16ELi64ELi64ELi4ELi64ELi4ELi4ELi64ELc84ELc78EKPKdS3_KPdEEvlllT_PT11_llS8_llS6_PT12_llPT13_lli
; %bb.0:
	s_clause 0x2
	s_load_dwordx8 s[36:43], s[4:5], 0x50
	s_load_dwordx8 s[44:51], s[4:5], 0x70
	s_load_dwordx16 s[12:27], s[4:5], 0x10
	s_mov_b32 s9, 0
	s_mov_b32 s10, s7
	s_lshl_b64 s[0:1], s[8:9], 3
	s_waitcnt lgkmcnt(0)
	s_add_u32 s2, s38, s0
	s_addc_u32 s3, s39, s1
	s_add_u32 s4, s44, s0
	s_addc_u32 s5, s45, s1
	s_load_dwordx2 s[2:3], s[2:3], 0x0
	s_load_dwordx2 s[4:5], s[4:5], 0x0
	v_cmp_lt_i64_e64 s8, s[12:13], 1
	s_ashr_i32 s7, s6, 31
	s_ashr_i32 s11, s10, 31
	s_lshl_b64 s[6:7], s[6:7], 6
	s_and_b32 vcc_lo, exec_lo, s8
	s_lshl_b64 s[8:9], s[10:11], 6
	s_cbranch_vccnz .LBB2_3
; %bb.1:
	v_lshl_add_u32 v2, v1, 4, v0
	s_add_u32 s10, s16, s0
	v_and_b32_e32 v4, 3, v0
	s_addc_u32 s11, s17, s1
	s_add_u32 s0, s22, s0
	v_lshrrev_b32_e32 v5, 2, v2
	v_and_b32_e32 v7, 63, v2
	v_lshrrev_b32_e32 v8, 6, v2
	v_lshlrev_b32_e32 v10, 3, v4
	s_addc_u32 s1, s23, s1
	v_add_co_u32 v3, s16, v5, s8
	v_add_co_ci_u32_e64 v6, null, 0, s9, s16
	v_add_co_u32 v4, s16, s6, v7
	v_mul_lo_u32 v9, s25, v3
	v_mul_lo_u32 v6, s24, v6
	v_mad_u64_u32 v[2:3], null, s24, v3, 0
	v_add_co_ci_u32_e64 v11, null, s7, 0, s16
	v_lshl_or_b32 v12, v5, 5, v10
	s_load_dwordx2 s[0:1], s[0:1], 0x0
	v_lshlrev_b32_e32 v7, 3, v7
	s_load_dwordx2 s[10:11], s[10:11], 0x0
	v_add3_u32 v3, v3, v6, v9
	v_mul_lo_u32 v6, s19, v4
	v_mul_lo_u32 v9, s18, v11
	v_mad_u64_u32 v[4:5], null, s18, v4, 0
	v_lshlrev_b64 v[2:3], 3, v[2:3]
	s_lshl_b64 s[16:17], s[26:27], 3
	v_lshl_or_b32 v38, v8, 9, v7
	v_add_nc_u32_e32 v39, 0x800, v12
	v_mov_b32_e32 v12, 0
	v_mov_b32_e32 v14, 0
	v_add3_u32 v5, v5, v9, v6
	v_add_co_u32 v6, vcc_lo, v2, s16
	v_add_co_ci_u32_e64 v7, null, s17, v3, vcc_lo
	v_lshlrev_b64 v[2:3], 3, v[4:5]
	v_add_co_u32 v4, vcc_lo, v6, v10
	s_lshl_b64 s[16:17], s[20:21], 3
	v_add_co_ci_u32_e64 v5, null, 0, v7, vcc_lo
	v_add_co_u32 v2, vcc_lo, v2, s16
	v_lshlrev_b32_e32 v6, 3, v8
	v_add_co_ci_u32_e64 v3, null, s17, v3, vcc_lo
	s_waitcnt lgkmcnt(0)
	v_add_co_u32 v34, vcc_lo, s0, v4
	v_add_co_ci_u32_e64 v35, null, s1, v5, vcc_lo
	v_add_co_u32 v36, vcc_lo, v2, v6
	v_add_co_ci_u32_e64 v37, null, 0, v3, vcc_lo
	v_mov_b32_e32 v2, 0
	v_add_co_u32 v36, vcc_lo, s10, v36
	v_mov_b32_e32 v4, 0
	v_mov_b32_e32 v6, 0
	;; [unrolled: 1-line block ×13, first 2 shown]
	v_lshlrev_b32_e32 v40, 3, v0
	v_lshl_add_u32 v41, v1, 5, 0x800
	v_mov_b32_e32 v3, 0
	v_mov_b32_e32 v5, 0
	;; [unrolled: 1-line block ×16, first 2 shown]
	v_add_co_ci_u32_e64 v37, null, s11, v37, vcc_lo
	s_mov_b64 s[10:11], 0
.LBB2_2:                                ; =>This Inner Loop Header: Depth=1
	flat_load_dwordx2 v[42:43], v[36:37]
	s_add_u32 s10, s10, 4
	s_addc_u32 s11, s11, 0
	v_add_co_u32 v36, vcc_lo, v36, 32
	v_cmp_lt_i64_e64 s0, s[10:11], s[12:13]
	v_add_co_ci_u32_e64 v37, null, 0, v37, vcc_lo
	s_and_b32 vcc_lo, exec_lo, s0
	s_waitcnt vmcnt(0) lgkmcnt(0)
	ds_write_b64 v38, v[42:43]
	flat_load_dwordx2 v[42:43], v[34:35]
	v_add_co_u32 v34, s0, v34, 32
	v_add_co_ci_u32_e64 v35, null, 0, v35, s0
	s_waitcnt vmcnt(0) lgkmcnt(0)
	ds_write_b64 v39, v[42:43]
	s_waitcnt lgkmcnt(0)
	s_barrier
	buffer_gl0_inv
	ds_read_b128 v[42:45], v41
	ds_read2_b64 v[46:49], v40 offset1:16
	ds_read_b128 v[50:53], v41 offset:512
	ds_read_b128 v[54:57], v41 offset:16
	;; [unrolled: 1-line block ×3, first 2 shown]
	s_waitcnt lgkmcnt(3)
	v_fma_f64 v[70:71], v[46:47], v[42:43], v[30:31]
	v_fma_f64 v[72:73], v[48:49], v[42:43], v[26:27]
	s_waitcnt lgkmcnt(2)
	v_fma_f64 v[74:75], v[46:47], v[50:51], v[32:33]
	v_fma_f64 v[76:77], v[48:49], v[50:51], v[28:29]
	ds_read_b128 v[26:29], v41 offset:1024
	ds_read_b128 v[62:65], v41 offset:1040
	;; [unrolled: 1-line block ×4, first 2 shown]
	s_waitcnt lgkmcnt(3)
	v_fma_f64 v[22:23], v[46:47], v[26:27], v[22:23]
	v_fma_f64 v[14:15], v[48:49], v[26:27], v[14:15]
	s_waitcnt lgkmcnt(1)
	v_fma_f64 v[46:47], v[46:47], v[30:31], v[8:9]
	v_fma_f64 v[48:49], v[48:49], v[30:31], v[6:7]
	ds_read2_b64 v[6:9], v40 offset0:32 offset1:48
	s_waitcnt lgkmcnt(0)
	v_fma_f64 v[18:19], v[6:7], v[42:43], v[18:19]
	v_fma_f64 v[16:17], v[8:9], v[42:43], v[16:17]
	;; [unrolled: 1-line block ×8, first 2 shown]
	ds_read2_b64 v[2:5], v40 offset0:64 offset1:80
	ds_read2_b64 v[6:9], v40 offset0:96 offset1:112
	s_waitcnt lgkmcnt(1)
	v_fma_f64 v[42:43], v[2:3], v[44:45], v[70:71]
	v_fma_f64 v[50:51], v[4:5], v[44:45], v[72:73]
	s_waitcnt lgkmcnt(0)
	v_fma_f64 v[18:19], v[6:7], v[44:45], v[18:19]
	v_fma_f64 v[16:17], v[8:9], v[44:45], v[16:17]
	;; [unrolled: 1-line block ×10, first 2 shown]
	ds_read2_b64 v[2:5], v40 offset0:128 offset1:144
	v_fma_f64 v[24:25], v[6:7], v[52:53], v[24:25]
	v_fma_f64 v[20:21], v[8:9], v[52:53], v[20:21]
	;; [unrolled: 1-line block ×4, first 2 shown]
	s_waitcnt lgkmcnt(0)
	v_fma_f64 v[26:27], v[2:3], v[54:55], v[42:43]
	v_fma_f64 v[32:33], v[4:5], v[54:55], v[50:51]
	;; [unrolled: 1-line block ×8, first 2 shown]
	ds_read2_b64 v[2:5], v40 offset0:160 offset1:176
	ds_read2_b64 v[42:45], v40 offset0:224 offset1:240
	s_waitcnt lgkmcnt(1)
	v_fma_f64 v[18:19], v[2:3], v[54:55], v[18:19]
	v_fma_f64 v[16:17], v[4:5], v[54:55], v[16:17]
	;; [unrolled: 1-line block ×8, first 2 shown]
	ds_read2_b64 v[2:5], v40 offset0:192 offset1:208
	s_waitcnt lgkmcnt(0)
	s_barrier
	buffer_gl0_inv
	v_fma_f64 v[18:19], v[42:43], v[56:57], v[18:19]
	v_fma_f64 v[16:17], v[44:45], v[56:57], v[16:17]
	;; [unrolled: 1-line block ×16, first 2 shown]
	s_cbranch_vccnz .LBB2_2
	s_branch .LBB2_4
.LBB2_3:
	v_mov_b32_e32 v30, 0
	v_mov_b32_e32 v26, 0
	;; [unrolled: 1-line block ×32, first 2 shown]
.LBB2_4:
	v_cmp_neq_f64_e64 s10, s[36:37], 0
	v_add_co_u32 v34, s8, s8, v1
	v_add_co_ci_u32_e64 v37, null, s9, 0, s8
	v_add_co_u32 v0, s6, s6, v0
	v_add_co_ci_u32_e64 v1, null, s7, 0, s6
	v_mul_lo_u32 v35, v37, s46
	v_mul_lo_u32 v36, v34, s47
	s_lshl_b64 s[0:1], s[48:49], 3
	v_lshlrev_b64 v[0:1], 3, v[0:1]
	s_waitcnt lgkmcnt(0)
	s_add_u32 s0, s4, s0
	s_addc_u32 s1, s5, s1
	s_and_b32 vcc_lo, exec_lo, s10
	s_cbranch_vccnz .LBB2_8
; %bb.5:
	v_mad_u64_u32 v[38:39], null, v34, s46, 0
	v_mul_f64 v[40:41], s[14:15], v[30:31]
	v_mul_f64 v[42:43], s[14:15], v[26:27]
	;; [unrolled: 1-line block ×6, first 2 shown]
	v_add3_u32 v39, v39, v36, v35
	v_mul_f64 v[52:53], s[14:15], v[24:25]
	s_lshl_b64 s[4:5], s[46:47], 7
	v_lshlrev_b64 v[38:39], 3, v[38:39]
	v_add_co_u32 v54, vcc_lo, s0, v38
	v_add_co_ci_u32_e64 v55, null, s1, v39, vcc_lo
	v_mul_f64 v[38:39], s[14:15], v[20:21]
	v_add_co_u32 v58, vcc_lo, v54, s4
	v_add_co_ci_u32_e64 v59, null, s5, v55, vcc_lo
	v_add_co_u32 v54, vcc_lo, v54, v0
	v_add_co_ci_u32_e64 v55, null, v55, v1, vcc_lo
	;; [unrolled: 2-line block ×3, first 2 shown]
	flat_store_dwordx2 v[54:55], v[40:41]
	flat_store_dwordx2 v[54:55], v[42:43] offset:128
	flat_store_dwordx2 v[54:55], v[44:45] offset:256
	;; [unrolled: 1-line block ×3, first 2 shown]
	flat_store_dwordx2 v[56:57], v[48:49]
	flat_store_dwordx2 v[56:57], v[50:51] offset:128
	flat_store_dwordx2 v[56:57], v[52:53] offset:256
	v_mul_f64 v[40:41], s[14:15], v[22:23]
	v_mul_f64 v[54:55], s[14:15], v[2:3]
	;; [unrolled: 1-line block ×7, first 2 shown]
	v_add_co_u32 v58, vcc_lo, v58, s4
	v_mul_f64 v[52:53], s[14:15], v[4:5]
	v_add_co_ci_u32_e64 v59, null, s5, v59, vcc_lo
	flat_store_dwordx2 v[56:57], v[38:39] offset:384
	v_add_co_u32 v56, vcc_lo, v58, s4
	v_add_co_ci_u32_e64 v57, null, s5, v59, vcc_lo
	v_add_co_u32 v38, vcc_lo, v58, v0
	v_add_co_ci_u32_e64 v39, null, v59, v1, vcc_lo
	;; [unrolled: 2-line block ×3, first 2 shown]
	flat_store_dwordx2 v[38:39], v[40:41]
	flat_store_dwordx2 v[38:39], v[42:43] offset:128
	flat_store_dwordx2 v[38:39], v[44:45] offset:256
	flat_store_dwordx2 v[38:39], v[46:47] offset:384
	flat_store_dwordx2 v[56:57], v[48:49]
	flat_store_dwordx2 v[56:57], v[50:51] offset:128
	flat_store_dwordx2 v[56:57], v[52:53] offset:256
	;; [unrolled: 1-line block ×3, first 2 shown]
	s_cbranch_execnz .LBB2_7
.LBB2_6:
	v_mul_lo_u32 v39, v37, s40
	v_mul_lo_u32 v40, v34, s41
	v_mad_u64_u32 v[37:38], null, v34, s40, 0
	s_lshl_b64 s[4:5], s[42:43], 3
	v_mad_u64_u32 v[41:42], null, v34, s46, 0
	s_add_u32 s2, s2, s4
	s_addc_u32 s3, s3, s5
	v_add3_u32 v38, v38, v40, v39
	v_add3_u32 v42, v42, v36, v35
	v_lshlrev_b64 v[37:38], 3, v[37:38]
	v_lshlrev_b64 v[34:35], 3, v[41:42]
	v_add_co_u32 v43, vcc_lo, s2, v37
	v_add_co_ci_u32_e64 v44, null, s3, v38, vcc_lo
	s_lshl_b64 s[2:3], s[46:47], 7
	v_add_co_u32 v37, vcc_lo, v43, v0
	v_add_co_ci_u32_e64 v38, null, v44, v1, vcc_lo
	v_add_co_u32 v36, vcc_lo, s0, v34
	flat_load_dwordx2 v[39:40], v[37:38]
	s_waitcnt vmcnt(0) lgkmcnt(0)
	v_mul_f64 v[39:40], s[36:37], v[39:40]
	v_fma_f64 v[30:31], s[14:15], v[30:31], v[39:40]
	v_add_co_ci_u32_e64 v39, null, s1, v35, vcc_lo
	v_add_co_u32 v34, vcc_lo, v36, v0
	s_lshl_b64 s[0:1], s[40:41], 7
	v_add_co_ci_u32_e64 v35, null, v39, v1, vcc_lo
	flat_store_dwordx2 v[34:35], v[30:31]
	flat_load_dwordx2 v[30:31], v[37:38] offset:128
	s_waitcnt vmcnt(0) lgkmcnt(0)
	v_mul_f64 v[30:31], s[36:37], v[30:31]
	v_fma_f64 v[26:27], s[14:15], v[26:27], v[30:31]
	v_add_co_u32 v30, vcc_lo, v43, s0
	v_add_co_ci_u32_e64 v31, null, s1, v44, vcc_lo
	flat_store_dwordx2 v[34:35], v[26:27] offset:128
	flat_load_dwordx2 v[26:27], v[37:38] offset:256
	s_waitcnt vmcnt(0) lgkmcnt(0)
	v_mul_f64 v[26:27], s[36:37], v[26:27]
	v_fma_f64 v[18:19], s[14:15], v[18:19], v[26:27]
	flat_store_dwordx2 v[34:35], v[18:19] offset:256
	flat_load_dwordx2 v[18:19], v[37:38] offset:384
	s_waitcnt vmcnt(0) lgkmcnt(0)
	v_mul_f64 v[18:19], s[36:37], v[18:19]
	v_fma_f64 v[16:17], s[14:15], v[16:17], v[18:19]
	v_add_co_u32 v18, vcc_lo, v30, v0
	v_add_co_ci_u32_e64 v19, null, v31, v1, vcc_lo
	flat_store_dwordx2 v[34:35], v[16:17] offset:384
	flat_load_dwordx2 v[16:17], v[18:19]
	s_waitcnt vmcnt(0) lgkmcnt(0)
	v_mul_f64 v[16:17], s[36:37], v[16:17]
	v_fma_f64 v[16:17], s[14:15], v[32:33], v[16:17]
	v_add_co_u32 v32, vcc_lo, v36, s2
	v_add_co_ci_u32_e64 v33, null, s3, v39, vcc_lo
	v_add_co_u32 v26, vcc_lo, v32, v0
	v_add_co_ci_u32_e64 v27, null, v33, v1, vcc_lo
	flat_store_dwordx2 v[26:27], v[16:17]
	flat_load_dwordx2 v[16:17], v[18:19] offset:128
	s_waitcnt vmcnt(0) lgkmcnt(0)
	v_mul_f64 v[16:17], s[36:37], v[16:17]
	v_fma_f64 v[16:17], s[14:15], v[28:29], v[16:17]
	flat_store_dwordx2 v[26:27], v[16:17] offset:128
	flat_load_dwordx2 v[16:17], v[18:19] offset:256
	s_waitcnt vmcnt(0) lgkmcnt(0)
	v_mul_f64 v[16:17], s[36:37], v[16:17]
	v_fma_f64 v[16:17], s[14:15], v[24:25], v[16:17]
	v_add_co_u32 v24, vcc_lo, v30, s0
	v_add_co_ci_u32_e64 v25, null, s1, v31, vcc_lo
	flat_store_dwordx2 v[26:27], v[16:17] offset:256
	flat_load_dwordx2 v[16:17], v[18:19] offset:384
	v_add_co_u32 v18, vcc_lo, v24, v0
	v_add_co_ci_u32_e64 v19, null, v25, v1, vcc_lo
	s_waitcnt vmcnt(0) lgkmcnt(0)
	v_mul_f64 v[16:17], s[36:37], v[16:17]
	v_fma_f64 v[16:17], s[14:15], v[20:21], v[16:17]
	flat_store_dwordx2 v[26:27], v[16:17] offset:384
	flat_load_dwordx2 v[16:17], v[18:19]
	s_waitcnt vmcnt(0) lgkmcnt(0)
	v_mul_f64 v[16:17], s[36:37], v[16:17]
	v_fma_f64 v[16:17], s[14:15], v[22:23], v[16:17]
	v_add_co_u32 v22, vcc_lo, v32, s2
	v_add_co_ci_u32_e64 v23, null, s3, v33, vcc_lo
	v_add_co_u32 v20, vcc_lo, v22, v0
	v_add_co_ci_u32_e64 v21, null, v23, v1, vcc_lo
	flat_store_dwordx2 v[20:21], v[16:17]
	flat_load_dwordx2 v[16:17], v[18:19] offset:128
	s_waitcnt vmcnt(0) lgkmcnt(0)
	v_mul_f64 v[16:17], s[36:37], v[16:17]
	v_fma_f64 v[14:15], s[14:15], v[14:15], v[16:17]
	flat_store_dwordx2 v[20:21], v[14:15] offset:128
	flat_load_dwordx2 v[14:15], v[18:19] offset:256
	s_waitcnt vmcnt(0) lgkmcnt(0)
	v_mul_f64 v[14:15], s[36:37], v[14:15]
	v_fma_f64 v[12:13], s[14:15], v[12:13], v[14:15]
	flat_store_dwordx2 v[20:21], v[12:13] offset:256
	flat_load_dwordx2 v[12:13], v[18:19] offset:384
	s_waitcnt vmcnt(0) lgkmcnt(0)
	v_mul_f64 v[12:13], s[36:37], v[12:13]
	v_fma_f64 v[10:11], s[14:15], v[10:11], v[12:13]
	v_add_co_u32 v12, vcc_lo, v24, s0
	v_add_co_ci_u32_e64 v13, null, s1, v25, vcc_lo
	v_add_co_u32 v12, vcc_lo, v12, v0
	v_add_co_ci_u32_e64 v13, null, v13, v1, vcc_lo
	flat_store_dwordx2 v[20:21], v[10:11] offset:384
	flat_load_dwordx2 v[10:11], v[12:13]
	s_waitcnt vmcnt(0) lgkmcnt(0)
	v_mul_f64 v[10:11], s[36:37], v[10:11]
	v_fma_f64 v[8:9], s[14:15], v[8:9], v[10:11]
	v_add_co_u32 v10, vcc_lo, v22, s2
	v_add_co_ci_u32_e64 v11, null, s3, v23, vcc_lo
	v_add_co_u32 v0, vcc_lo, v10, v0
	v_add_co_ci_u32_e64 v1, null, v11, v1, vcc_lo
	flat_store_dwordx2 v[0:1], v[8:9]
	flat_load_dwordx2 v[8:9], v[12:13] offset:128
	s_waitcnt vmcnt(0) lgkmcnt(0)
	v_mul_f64 v[8:9], s[36:37], v[8:9]
	v_fma_f64 v[6:7], s[14:15], v[6:7], v[8:9]
	flat_store_dwordx2 v[0:1], v[6:7] offset:128
	flat_load_dwordx2 v[6:7], v[12:13] offset:256
	s_waitcnt vmcnt(0) lgkmcnt(0)
	v_mul_f64 v[6:7], s[36:37], v[6:7]
	v_fma_f64 v[4:5], s[14:15], v[4:5], v[6:7]
	flat_store_dwordx2 v[0:1], v[4:5] offset:256
	;; [unrolled: 5-line block ×3, first 2 shown]
.LBB2_7:
	s_endpgm
.LBB2_8:
	s_branch .LBB2_6
	.section	.rodata,"a",@progbits
	.p2align	6, 0x0
	.amdhsa_kernel _ZN12_GLOBAL__N_127rocblas_gemm_batched_kernelIdLi16ELi16ELi64ELi64ELi4ELi64ELi4ELi4ELi64ELc84ELc78EKPKdS3_KPdEEvlllT_PT11_llS8_llS6_PT12_llPT13_lli
		.amdhsa_group_segment_fixed_size 4096
		.amdhsa_private_segment_fixed_size 0
		.amdhsa_kernarg_size 140
		.amdhsa_user_sgpr_count 6
		.amdhsa_user_sgpr_private_segment_buffer 1
		.amdhsa_user_sgpr_dispatch_ptr 0
		.amdhsa_user_sgpr_queue_ptr 0
		.amdhsa_user_sgpr_kernarg_segment_ptr 1
		.amdhsa_user_sgpr_dispatch_id 0
		.amdhsa_user_sgpr_flat_scratch_init 0
		.amdhsa_user_sgpr_private_segment_size 0
		.amdhsa_wavefront_size32 1
		.amdhsa_uses_dynamic_stack 0
		.amdhsa_system_sgpr_private_segment_wavefront_offset 0
		.amdhsa_system_sgpr_workgroup_id_x 1
		.amdhsa_system_sgpr_workgroup_id_y 1
		.amdhsa_system_sgpr_workgroup_id_z 1
		.amdhsa_system_sgpr_workgroup_info 0
		.amdhsa_system_vgpr_workitem_id 1
		.amdhsa_next_free_vgpr 78
		.amdhsa_next_free_sgpr 52
		.amdhsa_reserve_vcc 1
		.amdhsa_reserve_flat_scratch 0
		.amdhsa_float_round_mode_32 0
		.amdhsa_float_round_mode_16_64 0
		.amdhsa_float_denorm_mode_32 3
		.amdhsa_float_denorm_mode_16_64 3
		.amdhsa_dx10_clamp 1
		.amdhsa_ieee_mode 1
		.amdhsa_fp16_overflow 0
		.amdhsa_workgroup_processor_mode 1
		.amdhsa_memory_ordered 1
		.amdhsa_forward_progress 1
		.amdhsa_shared_vgpr_count 0
		.amdhsa_exception_fp_ieee_invalid_op 0
		.amdhsa_exception_fp_denorm_src 0
		.amdhsa_exception_fp_ieee_div_zero 0
		.amdhsa_exception_fp_ieee_overflow 0
		.amdhsa_exception_fp_ieee_underflow 0
		.amdhsa_exception_fp_ieee_inexact 0
		.amdhsa_exception_int_div_zero 0
	.end_amdhsa_kernel
	.section	.text._ZN12_GLOBAL__N_127rocblas_gemm_batched_kernelIdLi16ELi16ELi64ELi64ELi4ELi64ELi4ELi4ELi64ELc84ELc78EKPKdS3_KPdEEvlllT_PT11_llS8_llS6_PT12_llPT13_lli,"axG",@progbits,_ZN12_GLOBAL__N_127rocblas_gemm_batched_kernelIdLi16ELi16ELi64ELi64ELi4ELi64ELi4ELi4ELi64ELc84ELc78EKPKdS3_KPdEEvlllT_PT11_llS8_llS6_PT12_llPT13_lli,comdat
.Lfunc_end2:
	.size	_ZN12_GLOBAL__N_127rocblas_gemm_batched_kernelIdLi16ELi16ELi64ELi64ELi4ELi64ELi4ELi4ELi64ELc84ELc78EKPKdS3_KPdEEvlllT_PT11_llS8_llS6_PT12_llPT13_lli, .Lfunc_end2-_ZN12_GLOBAL__N_127rocblas_gemm_batched_kernelIdLi16ELi16ELi64ELi64ELi4ELi64ELi4ELi4ELi64ELc84ELc78EKPKdS3_KPdEEvlllT_PT11_llS8_llS6_PT12_llPT13_lli
                                        ; -- End function
	.set _ZN12_GLOBAL__N_127rocblas_gemm_batched_kernelIdLi16ELi16ELi64ELi64ELi4ELi64ELi4ELi4ELi64ELc84ELc78EKPKdS3_KPdEEvlllT_PT11_llS8_llS6_PT12_llPT13_lli.num_vgpr, 78
	.set _ZN12_GLOBAL__N_127rocblas_gemm_batched_kernelIdLi16ELi16ELi64ELi64ELi4ELi64ELi4ELi4ELi64ELc84ELc78EKPKdS3_KPdEEvlllT_PT11_llS8_llS6_PT12_llPT13_lli.num_agpr, 0
	.set _ZN12_GLOBAL__N_127rocblas_gemm_batched_kernelIdLi16ELi16ELi64ELi64ELi4ELi64ELi4ELi4ELi64ELc84ELc78EKPKdS3_KPdEEvlllT_PT11_llS8_llS6_PT12_llPT13_lli.numbered_sgpr, 52
	.set _ZN12_GLOBAL__N_127rocblas_gemm_batched_kernelIdLi16ELi16ELi64ELi64ELi4ELi64ELi4ELi4ELi64ELc84ELc78EKPKdS3_KPdEEvlllT_PT11_llS8_llS6_PT12_llPT13_lli.num_named_barrier, 0
	.set _ZN12_GLOBAL__N_127rocblas_gemm_batched_kernelIdLi16ELi16ELi64ELi64ELi4ELi64ELi4ELi4ELi64ELc84ELc78EKPKdS3_KPdEEvlllT_PT11_llS8_llS6_PT12_llPT13_lli.private_seg_size, 0
	.set _ZN12_GLOBAL__N_127rocblas_gemm_batched_kernelIdLi16ELi16ELi64ELi64ELi4ELi64ELi4ELi4ELi64ELc84ELc78EKPKdS3_KPdEEvlllT_PT11_llS8_llS6_PT12_llPT13_lli.uses_vcc, 1
	.set _ZN12_GLOBAL__N_127rocblas_gemm_batched_kernelIdLi16ELi16ELi64ELi64ELi4ELi64ELi4ELi4ELi64ELc84ELc78EKPKdS3_KPdEEvlllT_PT11_llS8_llS6_PT12_llPT13_lli.uses_flat_scratch, 0
	.set _ZN12_GLOBAL__N_127rocblas_gemm_batched_kernelIdLi16ELi16ELi64ELi64ELi4ELi64ELi4ELi4ELi64ELc84ELc78EKPKdS3_KPdEEvlllT_PT11_llS8_llS6_PT12_llPT13_lli.has_dyn_sized_stack, 0
	.set _ZN12_GLOBAL__N_127rocblas_gemm_batched_kernelIdLi16ELi16ELi64ELi64ELi4ELi64ELi4ELi4ELi64ELc84ELc78EKPKdS3_KPdEEvlllT_PT11_llS8_llS6_PT12_llPT13_lli.has_recursion, 0
	.set _ZN12_GLOBAL__N_127rocblas_gemm_batched_kernelIdLi16ELi16ELi64ELi64ELi4ELi64ELi4ELi4ELi64ELc84ELc78EKPKdS3_KPdEEvlllT_PT11_llS8_llS6_PT12_llPT13_lli.has_indirect_call, 0
	.section	.AMDGPU.csdata,"",@progbits
; Kernel info:
; codeLenInByte = 2932
; TotalNumSgprs: 54
; NumVgprs: 78
; ScratchSize: 0
; MemoryBound: 0
; FloatMode: 240
; IeeeMode: 1
; LDSByteSize: 4096 bytes/workgroup (compile time only)
; SGPRBlocks: 0
; VGPRBlocks: 9
; NumSGPRsForWavesPerEU: 54
; NumVGPRsForWavesPerEU: 78
; Occupancy: 12
; WaveLimiterHint : 1
; COMPUTE_PGM_RSRC2:SCRATCH_EN: 0
; COMPUTE_PGM_RSRC2:USER_SGPR: 6
; COMPUTE_PGM_RSRC2:TRAP_HANDLER: 0
; COMPUTE_PGM_RSRC2:TGID_X_EN: 1
; COMPUTE_PGM_RSRC2:TGID_Y_EN: 1
; COMPUTE_PGM_RSRC2:TGID_Z_EN: 1
; COMPUTE_PGM_RSRC2:TIDIG_COMP_CNT: 1
	.section	.text._ZN12_GLOBAL__N_127rocblas_gemm_batched_kernelIdLi16ELi16ELi64ELi64ELi4ELi64ELi4ELi4ELi64ELc78ELc84EKPKdS3_KPdEEvlllT_PT11_llS8_llS6_PT12_llPT13_lli,"axG",@progbits,_ZN12_GLOBAL__N_127rocblas_gemm_batched_kernelIdLi16ELi16ELi64ELi64ELi4ELi64ELi4ELi4ELi64ELc78ELc84EKPKdS3_KPdEEvlllT_PT11_llS8_llS6_PT12_llPT13_lli,comdat
	.globl	_ZN12_GLOBAL__N_127rocblas_gemm_batched_kernelIdLi16ELi16ELi64ELi64ELi4ELi64ELi4ELi4ELi64ELc78ELc84EKPKdS3_KPdEEvlllT_PT11_llS8_llS6_PT12_llPT13_lli ; -- Begin function _ZN12_GLOBAL__N_127rocblas_gemm_batched_kernelIdLi16ELi16ELi64ELi64ELi4ELi64ELi4ELi4ELi64ELc78ELc84EKPKdS3_KPdEEvlllT_PT11_llS8_llS6_PT12_llPT13_lli
	.p2align	8
	.type	_ZN12_GLOBAL__N_127rocblas_gemm_batched_kernelIdLi16ELi16ELi64ELi64ELi4ELi64ELi4ELi4ELi64ELc78ELc84EKPKdS3_KPdEEvlllT_PT11_llS8_llS6_PT12_llPT13_lli,@function
_ZN12_GLOBAL__N_127rocblas_gemm_batched_kernelIdLi16ELi16ELi64ELi64ELi4ELi64ELi4ELi4ELi64ELc78ELc84EKPKdS3_KPdEEvlllT_PT11_llS8_llS6_PT12_llPT13_lli: ; @_ZN12_GLOBAL__N_127rocblas_gemm_batched_kernelIdLi16ELi16ELi64ELi64ELi4ELi64ELi4ELi4ELi64ELc78ELc84EKPKdS3_KPdEEvlllT_PT11_llS8_llS6_PT12_llPT13_lli
; %bb.0:
	s_clause 0x2
	s_load_dwordx8 s[36:43], s[4:5], 0x50
	s_load_dwordx8 s[44:51], s[4:5], 0x70
	s_load_dwordx16 s[12:27], s[4:5], 0x10
	s_mov_b32 s9, 0
	s_mov_b32 s10, s7
	s_lshl_b64 s[0:1], s[8:9], 3
	v_mov_b32_e32 v3, 0
	s_waitcnt lgkmcnt(0)
	s_add_u32 s2, s38, s0
	s_addc_u32 s3, s39, s1
	s_add_u32 s4, s44, s0
	s_addc_u32 s5, s45, s1
	s_load_dwordx2 s[2:3], s[2:3], 0x0
	s_load_dwordx2 s[4:5], s[4:5], 0x0
	v_cmp_lt_i64_e64 s8, s[12:13], 1
	s_ashr_i32 s7, s6, 31
	s_ashr_i32 s11, s10, 31
	s_lshl_b64 s[6:7], s[6:7], 6
	s_and_b32 vcc_lo, exec_lo, s8
	s_lshl_b64 s[8:9], s[10:11], 6
	s_cbranch_vccnz .LBB3_3
; %bb.1:
	v_lshl_add_u32 v5, v1, 4, v0
	v_and_b32_e32 v7, 3, v0
	s_add_u32 s10, s16, s0
	s_addc_u32 s11, s17, s1
	s_add_u32 s0, s22, s0
	v_lshrrev_b32_e32 v2, 2, v5
	v_lshrrev_b32_e32 v9, 6, v5
	v_and_b32_e32 v10, 63, v5
	s_addc_u32 s1, s23, s1
	v_lshlrev_b32_e32 v11, 3, v7
	v_mad_u64_u32 v[3:4], null, s24, v7, v[2:3]
	v_mad_u64_u32 v[5:6], null, s18, v9, s[6:7]
	s_load_dwordx2 s[0:1], s[0:1], 0x0
	s_load_dwordx2 s[16:17], s[10:11], 0x0
	s_lshl_b64 s[10:11], s[26:27], 3
	v_lshlrev_b32_e32 v12, 3, v10
	v_add_co_u32 v3, vcc_lo, v3, s8
	v_mad_u64_u32 v[7:8], null, s25, v7, v[4:5]
	v_lshl_or_b32 v8, v2, 5, v11
	v_mov_b32_e32 v2, v6
	v_lshl_or_b32 v40, v9, 9, v12
	v_mov_b32_e32 v12, 0
	v_mov_b32_e32 v14, 0
	v_add_nc_u32_e32 v41, 0x800, v8
	v_add_co_ci_u32_e64 v4, null, s9, v7, vcc_lo
	v_mad_u64_u32 v[6:7], null, s19, v9, v[2:3]
	v_mov_b32_e32 v8, 0
	v_lshlrev_b64 v[2:3], 3, v[3:4]
	v_add_co_u32 v4, vcc_lo, v5, v10
	s_waitcnt lgkmcnt(0)
	s_add_u32 s0, s0, s10
	s_addc_u32 s1, s1, s11
	v_add_co_ci_u32_e64 v5, null, 0, v6, vcc_lo
	v_add_co_u32 v34, vcc_lo, s0, v2
	v_add_co_ci_u32_e64 v35, null, s1, v3, vcc_lo
	v_lshlrev_b64 v[36:37], 3, v[4:5]
	s_lshl_b64 s[0:1], s[20:21], 3
	s_lshl_b64 s[10:11], s[24:25], 5
	s_add_u32 s0, s16, s0
	s_addc_u32 s1, s17, s1
	v_mov_b32_e32 v2, 0
	v_add_co_u32 v36, vcc_lo, s0, v36
	v_mov_b32_e32 v4, 0
	v_mov_b32_e32 v6, 0
	;; [unrolled: 1-line block ×12, first 2 shown]
	v_lshlrev_b32_e32 v38, 3, v0
	v_lshl_add_u32 v39, v1, 5, 0x800
	v_mov_b32_e32 v3, 0
	v_mov_b32_e32 v5, 0
	;; [unrolled: 1-line block ×16, first 2 shown]
	v_add_co_ci_u32_e64 v37, null, s1, v37, vcc_lo
	s_lshl_b64 s[16:17], s[18:19], 5
	s_mov_b64 s[18:19], 0
.LBB3_2:                                ; =>This Inner Loop Header: Depth=1
	flat_load_dwordx2 v[42:43], v[36:37]
	s_add_u32 s18, s18, 4
	s_addc_u32 s19, s19, 0
	v_add_co_u32 v36, vcc_lo, v36, s16
	v_cmp_lt_i64_e64 s0, s[18:19], s[12:13]
	v_add_co_ci_u32_e64 v37, null, s17, v37, vcc_lo
	s_and_b32 vcc_lo, exec_lo, s0
	s_waitcnt vmcnt(0) lgkmcnt(0)
	ds_write_b64 v40, v[42:43]
	flat_load_dwordx2 v[42:43], v[34:35]
	v_add_co_u32 v34, s0, v34, s10
	v_add_co_ci_u32_e64 v35, null, s11, v35, s0
	s_waitcnt vmcnt(0) lgkmcnt(0)
	ds_write_b64 v41, v[42:43]
	s_waitcnt lgkmcnt(0)
	s_barrier
	buffer_gl0_inv
	ds_read_b128 v[42:45], v39
	ds_read2_b64 v[46:49], v38 offset1:16
	ds_read_b128 v[50:53], v39 offset:512
	ds_read_b128 v[54:57], v39 offset:16
	;; [unrolled: 1-line block ×3, first 2 shown]
	s_waitcnt lgkmcnt(3)
	v_fma_f64 v[70:71], v[46:47], v[42:43], v[30:31]
	v_fma_f64 v[72:73], v[48:49], v[42:43], v[26:27]
	s_waitcnt lgkmcnt(2)
	v_fma_f64 v[74:75], v[46:47], v[50:51], v[32:33]
	v_fma_f64 v[76:77], v[48:49], v[50:51], v[28:29]
	ds_read_b128 v[26:29], v39 offset:1024
	ds_read_b128 v[62:65], v39 offset:1040
	;; [unrolled: 1-line block ×4, first 2 shown]
	s_waitcnt lgkmcnt(3)
	v_fma_f64 v[22:23], v[46:47], v[26:27], v[22:23]
	v_fma_f64 v[14:15], v[48:49], v[26:27], v[14:15]
	s_waitcnt lgkmcnt(1)
	v_fma_f64 v[46:47], v[46:47], v[30:31], v[8:9]
	v_fma_f64 v[48:49], v[48:49], v[30:31], v[6:7]
	ds_read2_b64 v[6:9], v38 offset0:32 offset1:48
	s_waitcnt lgkmcnt(0)
	v_fma_f64 v[18:19], v[6:7], v[42:43], v[18:19]
	v_fma_f64 v[16:17], v[8:9], v[42:43], v[16:17]
	;; [unrolled: 1-line block ×8, first 2 shown]
	ds_read2_b64 v[2:5], v38 offset0:64 offset1:80
	ds_read2_b64 v[6:9], v38 offset0:96 offset1:112
	s_waitcnt lgkmcnt(1)
	v_fma_f64 v[42:43], v[2:3], v[44:45], v[70:71]
	v_fma_f64 v[50:51], v[4:5], v[44:45], v[72:73]
	s_waitcnt lgkmcnt(0)
	v_fma_f64 v[18:19], v[6:7], v[44:45], v[18:19]
	v_fma_f64 v[16:17], v[8:9], v[44:45], v[16:17]
	;; [unrolled: 1-line block ×10, first 2 shown]
	ds_read2_b64 v[2:5], v38 offset0:128 offset1:144
	v_fma_f64 v[24:25], v[6:7], v[52:53], v[24:25]
	v_fma_f64 v[20:21], v[8:9], v[52:53], v[20:21]
	;; [unrolled: 1-line block ×4, first 2 shown]
	s_waitcnt lgkmcnt(0)
	v_fma_f64 v[26:27], v[2:3], v[54:55], v[42:43]
	v_fma_f64 v[32:33], v[4:5], v[54:55], v[50:51]
	;; [unrolled: 1-line block ×8, first 2 shown]
	ds_read2_b64 v[2:5], v38 offset0:160 offset1:176
	ds_read2_b64 v[42:45], v38 offset0:224 offset1:240
	s_waitcnt lgkmcnt(1)
	v_fma_f64 v[18:19], v[2:3], v[54:55], v[18:19]
	v_fma_f64 v[16:17], v[4:5], v[54:55], v[16:17]
	;; [unrolled: 1-line block ×8, first 2 shown]
	ds_read2_b64 v[2:5], v38 offset0:192 offset1:208
	s_waitcnt lgkmcnt(0)
	s_barrier
	buffer_gl0_inv
	v_fma_f64 v[18:19], v[42:43], v[56:57], v[18:19]
	v_fma_f64 v[16:17], v[44:45], v[56:57], v[16:17]
	;; [unrolled: 1-line block ×16, first 2 shown]
	s_cbranch_vccnz .LBB3_2
	s_branch .LBB3_4
.LBB3_3:
	v_mov_b32_e32 v30, 0
	v_mov_b32_e32 v26, 0
	;; [unrolled: 1-line block ×32, first 2 shown]
.LBB3_4:
	v_cmp_neq_f64_e64 s10, s[36:37], 0
	v_add_co_u32 v34, s8, s8, v1
	v_add_co_ci_u32_e64 v37, null, s9, 0, s8
	v_add_co_u32 v0, s6, s6, v0
	v_add_co_ci_u32_e64 v1, null, s7, 0, s6
	v_mul_lo_u32 v35, v37, s46
	v_mul_lo_u32 v36, v34, s47
	s_lshl_b64 s[0:1], s[48:49], 3
	v_lshlrev_b64 v[0:1], 3, v[0:1]
	s_waitcnt lgkmcnt(0)
	s_add_u32 s0, s4, s0
	s_addc_u32 s1, s5, s1
	s_and_b32 vcc_lo, exec_lo, s10
	s_cbranch_vccnz .LBB3_8
; %bb.5:
	v_mad_u64_u32 v[38:39], null, v34, s46, 0
	v_mul_f64 v[40:41], s[14:15], v[30:31]
	v_mul_f64 v[42:43], s[14:15], v[26:27]
	;; [unrolled: 1-line block ×6, first 2 shown]
	v_add3_u32 v39, v39, v36, v35
	v_mul_f64 v[52:53], s[14:15], v[24:25]
	s_lshl_b64 s[4:5], s[46:47], 7
	v_lshlrev_b64 v[38:39], 3, v[38:39]
	v_add_co_u32 v54, vcc_lo, s0, v38
	v_add_co_ci_u32_e64 v55, null, s1, v39, vcc_lo
	v_mul_f64 v[38:39], s[14:15], v[20:21]
	v_add_co_u32 v58, vcc_lo, v54, s4
	v_add_co_ci_u32_e64 v59, null, s5, v55, vcc_lo
	v_add_co_u32 v54, vcc_lo, v54, v0
	v_add_co_ci_u32_e64 v55, null, v55, v1, vcc_lo
	;; [unrolled: 2-line block ×3, first 2 shown]
	flat_store_dwordx2 v[54:55], v[40:41]
	flat_store_dwordx2 v[54:55], v[42:43] offset:128
	flat_store_dwordx2 v[54:55], v[44:45] offset:256
	;; [unrolled: 1-line block ×3, first 2 shown]
	flat_store_dwordx2 v[56:57], v[48:49]
	flat_store_dwordx2 v[56:57], v[50:51] offset:128
	flat_store_dwordx2 v[56:57], v[52:53] offset:256
	v_mul_f64 v[40:41], s[14:15], v[22:23]
	v_mul_f64 v[54:55], s[14:15], v[2:3]
	;; [unrolled: 1-line block ×7, first 2 shown]
	v_add_co_u32 v58, vcc_lo, v58, s4
	v_mul_f64 v[52:53], s[14:15], v[4:5]
	v_add_co_ci_u32_e64 v59, null, s5, v59, vcc_lo
	flat_store_dwordx2 v[56:57], v[38:39] offset:384
	v_add_co_u32 v56, vcc_lo, v58, s4
	v_add_co_ci_u32_e64 v57, null, s5, v59, vcc_lo
	v_add_co_u32 v38, vcc_lo, v58, v0
	v_add_co_ci_u32_e64 v39, null, v59, v1, vcc_lo
	;; [unrolled: 2-line block ×3, first 2 shown]
	flat_store_dwordx2 v[38:39], v[40:41]
	flat_store_dwordx2 v[38:39], v[42:43] offset:128
	flat_store_dwordx2 v[38:39], v[44:45] offset:256
	;; [unrolled: 1-line block ×3, first 2 shown]
	flat_store_dwordx2 v[56:57], v[48:49]
	flat_store_dwordx2 v[56:57], v[50:51] offset:128
	flat_store_dwordx2 v[56:57], v[52:53] offset:256
	;; [unrolled: 1-line block ×3, first 2 shown]
	s_cbranch_execnz .LBB3_7
.LBB3_6:
	v_mul_lo_u32 v39, v37, s40
	v_mul_lo_u32 v40, v34, s41
	v_mad_u64_u32 v[37:38], null, v34, s40, 0
	s_lshl_b64 s[4:5], s[42:43], 3
	v_mad_u64_u32 v[41:42], null, v34, s46, 0
	s_add_u32 s2, s2, s4
	s_addc_u32 s3, s3, s5
	v_add3_u32 v38, v38, v40, v39
	v_add3_u32 v42, v42, v36, v35
	v_lshlrev_b64 v[37:38], 3, v[37:38]
	v_lshlrev_b64 v[34:35], 3, v[41:42]
	v_add_co_u32 v43, vcc_lo, s2, v37
	v_add_co_ci_u32_e64 v44, null, s3, v38, vcc_lo
	s_lshl_b64 s[2:3], s[46:47], 7
	v_add_co_u32 v37, vcc_lo, v43, v0
	v_add_co_ci_u32_e64 v38, null, v44, v1, vcc_lo
	v_add_co_u32 v36, vcc_lo, s0, v34
	flat_load_dwordx2 v[39:40], v[37:38]
	s_waitcnt vmcnt(0) lgkmcnt(0)
	v_mul_f64 v[39:40], s[36:37], v[39:40]
	v_fma_f64 v[30:31], s[14:15], v[30:31], v[39:40]
	v_add_co_ci_u32_e64 v39, null, s1, v35, vcc_lo
	v_add_co_u32 v34, vcc_lo, v36, v0
	s_lshl_b64 s[0:1], s[40:41], 7
	v_add_co_ci_u32_e64 v35, null, v39, v1, vcc_lo
	flat_store_dwordx2 v[34:35], v[30:31]
	flat_load_dwordx2 v[30:31], v[37:38] offset:128
	s_waitcnt vmcnt(0) lgkmcnt(0)
	v_mul_f64 v[30:31], s[36:37], v[30:31]
	v_fma_f64 v[26:27], s[14:15], v[26:27], v[30:31]
	v_add_co_u32 v30, vcc_lo, v43, s0
	v_add_co_ci_u32_e64 v31, null, s1, v44, vcc_lo
	flat_store_dwordx2 v[34:35], v[26:27] offset:128
	flat_load_dwordx2 v[26:27], v[37:38] offset:256
	s_waitcnt vmcnt(0) lgkmcnt(0)
	v_mul_f64 v[26:27], s[36:37], v[26:27]
	v_fma_f64 v[18:19], s[14:15], v[18:19], v[26:27]
	flat_store_dwordx2 v[34:35], v[18:19] offset:256
	flat_load_dwordx2 v[18:19], v[37:38] offset:384
	s_waitcnt vmcnt(0) lgkmcnt(0)
	v_mul_f64 v[18:19], s[36:37], v[18:19]
	v_fma_f64 v[16:17], s[14:15], v[16:17], v[18:19]
	v_add_co_u32 v18, vcc_lo, v30, v0
	v_add_co_ci_u32_e64 v19, null, v31, v1, vcc_lo
	flat_store_dwordx2 v[34:35], v[16:17] offset:384
	flat_load_dwordx2 v[16:17], v[18:19]
	s_waitcnt vmcnt(0) lgkmcnt(0)
	v_mul_f64 v[16:17], s[36:37], v[16:17]
	v_fma_f64 v[16:17], s[14:15], v[32:33], v[16:17]
	v_add_co_u32 v32, vcc_lo, v36, s2
	v_add_co_ci_u32_e64 v33, null, s3, v39, vcc_lo
	v_add_co_u32 v26, vcc_lo, v32, v0
	v_add_co_ci_u32_e64 v27, null, v33, v1, vcc_lo
	flat_store_dwordx2 v[26:27], v[16:17]
	flat_load_dwordx2 v[16:17], v[18:19] offset:128
	s_waitcnt vmcnt(0) lgkmcnt(0)
	v_mul_f64 v[16:17], s[36:37], v[16:17]
	v_fma_f64 v[16:17], s[14:15], v[28:29], v[16:17]
	flat_store_dwordx2 v[26:27], v[16:17] offset:128
	flat_load_dwordx2 v[16:17], v[18:19] offset:256
	s_waitcnt vmcnt(0) lgkmcnt(0)
	v_mul_f64 v[16:17], s[36:37], v[16:17]
	v_fma_f64 v[16:17], s[14:15], v[24:25], v[16:17]
	v_add_co_u32 v24, vcc_lo, v30, s0
	v_add_co_ci_u32_e64 v25, null, s1, v31, vcc_lo
	flat_store_dwordx2 v[26:27], v[16:17] offset:256
	flat_load_dwordx2 v[16:17], v[18:19] offset:384
	v_add_co_u32 v18, vcc_lo, v24, v0
	v_add_co_ci_u32_e64 v19, null, v25, v1, vcc_lo
	s_waitcnt vmcnt(0) lgkmcnt(0)
	v_mul_f64 v[16:17], s[36:37], v[16:17]
	v_fma_f64 v[16:17], s[14:15], v[20:21], v[16:17]
	flat_store_dwordx2 v[26:27], v[16:17] offset:384
	flat_load_dwordx2 v[16:17], v[18:19]
	s_waitcnt vmcnt(0) lgkmcnt(0)
	v_mul_f64 v[16:17], s[36:37], v[16:17]
	v_fma_f64 v[16:17], s[14:15], v[22:23], v[16:17]
	v_add_co_u32 v22, vcc_lo, v32, s2
	v_add_co_ci_u32_e64 v23, null, s3, v33, vcc_lo
	v_add_co_u32 v20, vcc_lo, v22, v0
	v_add_co_ci_u32_e64 v21, null, v23, v1, vcc_lo
	flat_store_dwordx2 v[20:21], v[16:17]
	flat_load_dwordx2 v[16:17], v[18:19] offset:128
	s_waitcnt vmcnt(0) lgkmcnt(0)
	v_mul_f64 v[16:17], s[36:37], v[16:17]
	v_fma_f64 v[14:15], s[14:15], v[14:15], v[16:17]
	flat_store_dwordx2 v[20:21], v[14:15] offset:128
	flat_load_dwordx2 v[14:15], v[18:19] offset:256
	s_waitcnt vmcnt(0) lgkmcnt(0)
	v_mul_f64 v[14:15], s[36:37], v[14:15]
	v_fma_f64 v[12:13], s[14:15], v[12:13], v[14:15]
	flat_store_dwordx2 v[20:21], v[12:13] offset:256
	flat_load_dwordx2 v[12:13], v[18:19] offset:384
	s_waitcnt vmcnt(0) lgkmcnt(0)
	v_mul_f64 v[12:13], s[36:37], v[12:13]
	v_fma_f64 v[10:11], s[14:15], v[10:11], v[12:13]
	v_add_co_u32 v12, vcc_lo, v24, s0
	v_add_co_ci_u32_e64 v13, null, s1, v25, vcc_lo
	v_add_co_u32 v12, vcc_lo, v12, v0
	v_add_co_ci_u32_e64 v13, null, v13, v1, vcc_lo
	flat_store_dwordx2 v[20:21], v[10:11] offset:384
	flat_load_dwordx2 v[10:11], v[12:13]
	s_waitcnt vmcnt(0) lgkmcnt(0)
	v_mul_f64 v[10:11], s[36:37], v[10:11]
	v_fma_f64 v[8:9], s[14:15], v[8:9], v[10:11]
	v_add_co_u32 v10, vcc_lo, v22, s2
	v_add_co_ci_u32_e64 v11, null, s3, v23, vcc_lo
	v_add_co_u32 v0, vcc_lo, v10, v0
	v_add_co_ci_u32_e64 v1, null, v11, v1, vcc_lo
	flat_store_dwordx2 v[0:1], v[8:9]
	flat_load_dwordx2 v[8:9], v[12:13] offset:128
	s_waitcnt vmcnt(0) lgkmcnt(0)
	v_mul_f64 v[8:9], s[36:37], v[8:9]
	v_fma_f64 v[6:7], s[14:15], v[6:7], v[8:9]
	flat_store_dwordx2 v[0:1], v[6:7] offset:128
	flat_load_dwordx2 v[6:7], v[12:13] offset:256
	s_waitcnt vmcnt(0) lgkmcnt(0)
	v_mul_f64 v[6:7], s[36:37], v[6:7]
	v_fma_f64 v[4:5], s[14:15], v[4:5], v[6:7]
	flat_store_dwordx2 v[0:1], v[4:5] offset:256
	;; [unrolled: 5-line block ×3, first 2 shown]
.LBB3_7:
	s_endpgm
.LBB3_8:
	s_branch .LBB3_6
	.section	.rodata,"a",@progbits
	.p2align	6, 0x0
	.amdhsa_kernel _ZN12_GLOBAL__N_127rocblas_gemm_batched_kernelIdLi16ELi16ELi64ELi64ELi4ELi64ELi4ELi4ELi64ELc78ELc84EKPKdS3_KPdEEvlllT_PT11_llS8_llS6_PT12_llPT13_lli
		.amdhsa_group_segment_fixed_size 4096
		.amdhsa_private_segment_fixed_size 0
		.amdhsa_kernarg_size 140
		.amdhsa_user_sgpr_count 6
		.amdhsa_user_sgpr_private_segment_buffer 1
		.amdhsa_user_sgpr_dispatch_ptr 0
		.amdhsa_user_sgpr_queue_ptr 0
		.amdhsa_user_sgpr_kernarg_segment_ptr 1
		.amdhsa_user_sgpr_dispatch_id 0
		.amdhsa_user_sgpr_flat_scratch_init 0
		.amdhsa_user_sgpr_private_segment_size 0
		.amdhsa_wavefront_size32 1
		.amdhsa_uses_dynamic_stack 0
		.amdhsa_system_sgpr_private_segment_wavefront_offset 0
		.amdhsa_system_sgpr_workgroup_id_x 1
		.amdhsa_system_sgpr_workgroup_id_y 1
		.amdhsa_system_sgpr_workgroup_id_z 1
		.amdhsa_system_sgpr_workgroup_info 0
		.amdhsa_system_vgpr_workitem_id 1
		.amdhsa_next_free_vgpr 78
		.amdhsa_next_free_sgpr 52
		.amdhsa_reserve_vcc 1
		.amdhsa_reserve_flat_scratch 0
		.amdhsa_float_round_mode_32 0
		.amdhsa_float_round_mode_16_64 0
		.amdhsa_float_denorm_mode_32 3
		.amdhsa_float_denorm_mode_16_64 3
		.amdhsa_dx10_clamp 1
		.amdhsa_ieee_mode 1
		.amdhsa_fp16_overflow 0
		.amdhsa_workgroup_processor_mode 1
		.amdhsa_memory_ordered 1
		.amdhsa_forward_progress 1
		.amdhsa_shared_vgpr_count 0
		.amdhsa_exception_fp_ieee_invalid_op 0
		.amdhsa_exception_fp_denorm_src 0
		.amdhsa_exception_fp_ieee_div_zero 0
		.amdhsa_exception_fp_ieee_overflow 0
		.amdhsa_exception_fp_ieee_underflow 0
		.amdhsa_exception_fp_ieee_inexact 0
		.amdhsa_exception_int_div_zero 0
	.end_amdhsa_kernel
	.section	.text._ZN12_GLOBAL__N_127rocblas_gemm_batched_kernelIdLi16ELi16ELi64ELi64ELi4ELi64ELi4ELi4ELi64ELc78ELc84EKPKdS3_KPdEEvlllT_PT11_llS8_llS6_PT12_llPT13_lli,"axG",@progbits,_ZN12_GLOBAL__N_127rocblas_gemm_batched_kernelIdLi16ELi16ELi64ELi64ELi4ELi64ELi4ELi4ELi64ELc78ELc84EKPKdS3_KPdEEvlllT_PT11_llS8_llS6_PT12_llPT13_lli,comdat
.Lfunc_end3:
	.size	_ZN12_GLOBAL__N_127rocblas_gemm_batched_kernelIdLi16ELi16ELi64ELi64ELi4ELi64ELi4ELi4ELi64ELc78ELc84EKPKdS3_KPdEEvlllT_PT11_llS8_llS6_PT12_llPT13_lli, .Lfunc_end3-_ZN12_GLOBAL__N_127rocblas_gemm_batched_kernelIdLi16ELi16ELi64ELi64ELi4ELi64ELi4ELi4ELi64ELc78ELc84EKPKdS3_KPdEEvlllT_PT11_llS8_llS6_PT12_llPT13_lli
                                        ; -- End function
	.set _ZN12_GLOBAL__N_127rocblas_gemm_batched_kernelIdLi16ELi16ELi64ELi64ELi4ELi64ELi4ELi4ELi64ELc78ELc84EKPKdS3_KPdEEvlllT_PT11_llS8_llS6_PT12_llPT13_lli.num_vgpr, 78
	.set _ZN12_GLOBAL__N_127rocblas_gemm_batched_kernelIdLi16ELi16ELi64ELi64ELi4ELi64ELi4ELi4ELi64ELc78ELc84EKPKdS3_KPdEEvlllT_PT11_llS8_llS6_PT12_llPT13_lli.num_agpr, 0
	.set _ZN12_GLOBAL__N_127rocblas_gemm_batched_kernelIdLi16ELi16ELi64ELi64ELi4ELi64ELi4ELi4ELi64ELc78ELc84EKPKdS3_KPdEEvlllT_PT11_llS8_llS6_PT12_llPT13_lli.numbered_sgpr, 52
	.set _ZN12_GLOBAL__N_127rocblas_gemm_batched_kernelIdLi16ELi16ELi64ELi64ELi4ELi64ELi4ELi4ELi64ELc78ELc84EKPKdS3_KPdEEvlllT_PT11_llS8_llS6_PT12_llPT13_lli.num_named_barrier, 0
	.set _ZN12_GLOBAL__N_127rocblas_gemm_batched_kernelIdLi16ELi16ELi64ELi64ELi4ELi64ELi4ELi4ELi64ELc78ELc84EKPKdS3_KPdEEvlllT_PT11_llS8_llS6_PT12_llPT13_lli.private_seg_size, 0
	.set _ZN12_GLOBAL__N_127rocblas_gemm_batched_kernelIdLi16ELi16ELi64ELi64ELi4ELi64ELi4ELi4ELi64ELc78ELc84EKPKdS3_KPdEEvlllT_PT11_llS8_llS6_PT12_llPT13_lli.uses_vcc, 1
	.set _ZN12_GLOBAL__N_127rocblas_gemm_batched_kernelIdLi16ELi16ELi64ELi64ELi4ELi64ELi4ELi4ELi64ELc78ELc84EKPKdS3_KPdEEvlllT_PT11_llS8_llS6_PT12_llPT13_lli.uses_flat_scratch, 0
	.set _ZN12_GLOBAL__N_127rocblas_gemm_batched_kernelIdLi16ELi16ELi64ELi64ELi4ELi64ELi4ELi4ELi64ELc78ELc84EKPKdS3_KPdEEvlllT_PT11_llS8_llS6_PT12_llPT13_lli.has_dyn_sized_stack, 0
	.set _ZN12_GLOBAL__N_127rocblas_gemm_batched_kernelIdLi16ELi16ELi64ELi64ELi4ELi64ELi4ELi4ELi64ELc78ELc84EKPKdS3_KPdEEvlllT_PT11_llS8_llS6_PT12_llPT13_lli.has_recursion, 0
	.set _ZN12_GLOBAL__N_127rocblas_gemm_batched_kernelIdLi16ELi16ELi64ELi64ELi4ELi64ELi4ELi4ELi64ELc78ELc84EKPKdS3_KPdEEvlllT_PT11_llS8_llS6_PT12_llPT13_lli.has_indirect_call, 0
	.section	.AMDGPU.csdata,"",@progbits
; Kernel info:
; codeLenInByte = 2864
; TotalNumSgprs: 54
; NumVgprs: 78
; ScratchSize: 0
; MemoryBound: 0
; FloatMode: 240
; IeeeMode: 1
; LDSByteSize: 4096 bytes/workgroup (compile time only)
; SGPRBlocks: 0
; VGPRBlocks: 9
; NumSGPRsForWavesPerEU: 54
; NumVGPRsForWavesPerEU: 78
; Occupancy: 12
; WaveLimiterHint : 1
; COMPUTE_PGM_RSRC2:SCRATCH_EN: 0
; COMPUTE_PGM_RSRC2:USER_SGPR: 6
; COMPUTE_PGM_RSRC2:TRAP_HANDLER: 0
; COMPUTE_PGM_RSRC2:TGID_X_EN: 1
; COMPUTE_PGM_RSRC2:TGID_Y_EN: 1
; COMPUTE_PGM_RSRC2:TGID_Z_EN: 1
; COMPUTE_PGM_RSRC2:TIDIG_COMP_CNT: 1
	.section	.text._ZN12_GLOBAL__N_127rocblas_gemm_batched_kernelIdLi16ELi16ELi64ELi64ELi4ELi64ELi4ELi4ELi64ELc84ELc84EKPKdS3_KPdEEvlllT_PT11_llS8_llS6_PT12_llPT13_lli,"axG",@progbits,_ZN12_GLOBAL__N_127rocblas_gemm_batched_kernelIdLi16ELi16ELi64ELi64ELi4ELi64ELi4ELi4ELi64ELc84ELc84EKPKdS3_KPdEEvlllT_PT11_llS8_llS6_PT12_llPT13_lli,comdat
	.globl	_ZN12_GLOBAL__N_127rocblas_gemm_batched_kernelIdLi16ELi16ELi64ELi64ELi4ELi64ELi4ELi4ELi64ELc84ELc84EKPKdS3_KPdEEvlllT_PT11_llS8_llS6_PT12_llPT13_lli ; -- Begin function _ZN12_GLOBAL__N_127rocblas_gemm_batched_kernelIdLi16ELi16ELi64ELi64ELi4ELi64ELi4ELi4ELi64ELc84ELc84EKPKdS3_KPdEEvlllT_PT11_llS8_llS6_PT12_llPT13_lli
	.p2align	8
	.type	_ZN12_GLOBAL__N_127rocblas_gemm_batched_kernelIdLi16ELi16ELi64ELi64ELi4ELi64ELi4ELi4ELi64ELc84ELc84EKPKdS3_KPdEEvlllT_PT11_llS8_llS6_PT12_llPT13_lli,@function
_ZN12_GLOBAL__N_127rocblas_gemm_batched_kernelIdLi16ELi16ELi64ELi64ELi4ELi64ELi4ELi4ELi64ELc84ELc84EKPKdS3_KPdEEvlllT_PT11_llS8_llS6_PT12_llPT13_lli: ; @_ZN12_GLOBAL__N_127rocblas_gemm_batched_kernelIdLi16ELi16ELi64ELi64ELi4ELi64ELi4ELi4ELi64ELc84ELc84EKPKdS3_KPdEEvlllT_PT11_llS8_llS6_PT12_llPT13_lli
; %bb.0:
	s_clause 0x2
	s_load_dwordx8 s[36:43], s[4:5], 0x50
	s_load_dwordx8 s[44:51], s[4:5], 0x70
	s_load_dwordx16 s[12:27], s[4:5], 0x10
	s_mov_b32 s9, 0
	s_mov_b32 s10, s7
	s_lshl_b64 s[0:1], s[8:9], 3
	v_mov_b32_e32 v3, 0
	s_waitcnt lgkmcnt(0)
	s_add_u32 s2, s38, s0
	s_addc_u32 s3, s39, s1
	s_add_u32 s4, s44, s0
	s_addc_u32 s5, s45, s1
	s_load_dwordx2 s[2:3], s[2:3], 0x0
	s_load_dwordx2 s[4:5], s[4:5], 0x0
	v_cmp_lt_i64_e64 s8, s[12:13], 1
	s_ashr_i32 s7, s6, 31
	s_ashr_i32 s11, s10, 31
	s_lshl_b64 s[6:7], s[6:7], 6
	s_and_b32 vcc_lo, exec_lo, s8
	s_lshl_b64 s[8:9], s[10:11], 6
	s_cbranch_vccnz .LBB4_3
; %bb.1:
	v_lshl_add_u32 v5, v1, 4, v0
	s_add_u32 s10, s16, s0
	v_and_b32_e32 v7, 3, v0
	s_addc_u32 s11, s17, s1
	s_add_u32 s0, s22, s0
	v_and_b32_e32 v8, 63, v5
	v_lshrrev_b32_e32 v2, 2, v5
	s_addc_u32 s1, s23, s1
	v_lshrrev_b32_e32 v10, 6, v5
	s_load_dwordx2 s[0:1], s[0:1], 0x0
	v_add_co_u32 v6, s16, s6, v8
	v_mad_u64_u32 v[3:4], null, s24, v7, v[2:3]
	v_add_co_ci_u32_e64 v9, null, s7, 0, s16
	v_mul_lo_u32 v12, s19, v6
	v_mad_u64_u32 v[5:6], null, s18, v6, 0
	v_lshlrev_b32_e32 v11, 3, v7
	v_mul_lo_u32 v9, s18, v9
	v_lshlrev_b32_e32 v13, 3, v8
	s_load_dwordx2 s[10:11], s[10:11], 0x0
	s_lshl_b64 s[16:17], s[26:27], 3
	v_lshl_or_b32 v2, v2, 5, v11
	v_mad_u64_u32 v[7:8], null, s25, v7, v[4:5]
	v_lshl_or_b32 v38, v10, 9, v13
	v_add3_u32 v6, v6, v9, v12
	v_add_nc_u32_e32 v39, 0x800, v2
	v_add_co_u32 v2, vcc_lo, v3, s8
	s_waitcnt lgkmcnt(0)
	s_add_u32 s16, s0, s16
	v_add_co_ci_u32_e64 v3, null, s9, v7, vcc_lo
	v_lshlrev_b64 v[4:5], 3, v[5:6]
	s_addc_u32 s17, s1, s17
	s_lshl_b64 s[0:1], s[20:21], 3
	v_lshlrev_b64 v[2:3], 3, v[2:3]
	v_lshlrev_b32_e32 v6, 3, v10
	v_mov_b32_e32 v8, 0
	v_add_co_u32 v4, vcc_lo, v4, s0
	v_add_co_ci_u32_e64 v5, null, s1, v5, vcc_lo
	v_add_co_u32 v34, vcc_lo, s16, v2
	v_add_co_ci_u32_e64 v35, null, s17, v3, vcc_lo
	;; [unrolled: 2-line block ×3, first 2 shown]
	v_mov_b32_e32 v2, 0
	v_add_co_u32 v36, vcc_lo, s10, v36
	v_mov_b32_e32 v4, 0
	v_mov_b32_e32 v6, 0
	;; [unrolled: 1-line block ×14, first 2 shown]
	v_lshlrev_b32_e32 v40, 3, v0
	v_lshl_add_u32 v41, v1, 5, 0x800
	v_mov_b32_e32 v3, 0
	v_mov_b32_e32 v5, 0
	;; [unrolled: 1-line block ×16, first 2 shown]
	v_add_co_ci_u32_e64 v37, null, s11, v37, vcc_lo
	s_lshl_b64 s[10:11], s[24:25], 5
	s_mov_b64 s[16:17], 0
.LBB4_2:                                ; =>This Inner Loop Header: Depth=1
	flat_load_dwordx2 v[42:43], v[36:37]
	s_add_u32 s16, s16, 4
	s_addc_u32 s17, s17, 0
	v_add_co_u32 v36, vcc_lo, v36, 32
	v_cmp_lt_i64_e64 s0, s[16:17], s[12:13]
	v_add_co_ci_u32_e64 v37, null, 0, v37, vcc_lo
	s_and_b32 vcc_lo, exec_lo, s0
	s_waitcnt vmcnt(0) lgkmcnt(0)
	ds_write_b64 v38, v[42:43]
	flat_load_dwordx2 v[42:43], v[34:35]
	v_add_co_u32 v34, s0, v34, s10
	v_add_co_ci_u32_e64 v35, null, s11, v35, s0
	s_waitcnt vmcnt(0) lgkmcnt(0)
	ds_write_b64 v39, v[42:43]
	s_waitcnt lgkmcnt(0)
	s_barrier
	buffer_gl0_inv
	ds_read_b128 v[42:45], v41
	ds_read2_b64 v[46:49], v40 offset1:16
	ds_read_b128 v[50:53], v41 offset:512
	ds_read_b128 v[54:57], v41 offset:16
	ds_read_b128 v[58:61], v41 offset:528
	s_waitcnt lgkmcnt(3)
	v_fma_f64 v[70:71], v[46:47], v[42:43], v[30:31]
	v_fma_f64 v[72:73], v[48:49], v[42:43], v[26:27]
	s_waitcnt lgkmcnt(2)
	v_fma_f64 v[74:75], v[46:47], v[50:51], v[32:33]
	v_fma_f64 v[76:77], v[48:49], v[50:51], v[28:29]
	ds_read_b128 v[26:29], v41 offset:1024
	ds_read_b128 v[62:65], v41 offset:1040
	;; [unrolled: 1-line block ×4, first 2 shown]
	s_waitcnt lgkmcnt(3)
	v_fma_f64 v[22:23], v[46:47], v[26:27], v[22:23]
	v_fma_f64 v[14:15], v[48:49], v[26:27], v[14:15]
	s_waitcnt lgkmcnt(1)
	v_fma_f64 v[46:47], v[46:47], v[30:31], v[8:9]
	v_fma_f64 v[48:49], v[48:49], v[30:31], v[6:7]
	ds_read2_b64 v[6:9], v40 offset0:32 offset1:48
	s_waitcnt lgkmcnt(0)
	v_fma_f64 v[18:19], v[6:7], v[42:43], v[18:19]
	v_fma_f64 v[16:17], v[8:9], v[42:43], v[16:17]
	;; [unrolled: 1-line block ×8, first 2 shown]
	ds_read2_b64 v[2:5], v40 offset0:64 offset1:80
	ds_read2_b64 v[6:9], v40 offset0:96 offset1:112
	s_waitcnt lgkmcnt(1)
	v_fma_f64 v[42:43], v[2:3], v[44:45], v[70:71]
	v_fma_f64 v[50:51], v[4:5], v[44:45], v[72:73]
	s_waitcnt lgkmcnt(0)
	v_fma_f64 v[18:19], v[6:7], v[44:45], v[18:19]
	v_fma_f64 v[16:17], v[8:9], v[44:45], v[16:17]
	;; [unrolled: 1-line block ×10, first 2 shown]
	ds_read2_b64 v[2:5], v40 offset0:128 offset1:144
	v_fma_f64 v[24:25], v[6:7], v[52:53], v[24:25]
	v_fma_f64 v[20:21], v[8:9], v[52:53], v[20:21]
	;; [unrolled: 1-line block ×4, first 2 shown]
	s_waitcnt lgkmcnt(0)
	v_fma_f64 v[26:27], v[2:3], v[54:55], v[42:43]
	v_fma_f64 v[32:33], v[4:5], v[54:55], v[50:51]
	;; [unrolled: 1-line block ×8, first 2 shown]
	ds_read2_b64 v[2:5], v40 offset0:160 offset1:176
	ds_read2_b64 v[42:45], v40 offset0:224 offset1:240
	s_waitcnt lgkmcnt(1)
	v_fma_f64 v[18:19], v[2:3], v[54:55], v[18:19]
	v_fma_f64 v[16:17], v[4:5], v[54:55], v[16:17]
	v_fma_f64 v[24:25], v[2:3], v[58:59], v[24:25]
	v_fma_f64 v[20:21], v[4:5], v[58:59], v[20:21]
	v_fma_f64 v[12:13], v[2:3], v[62:63], v[12:13]
	v_fma_f64 v[10:11], v[4:5], v[62:63], v[10:11]
	v_fma_f64 v[54:55], v[2:3], v[66:67], v[6:7]
	v_fma_f64 v[58:59], v[4:5], v[66:67], v[8:9]
	ds_read2_b64 v[2:5], v40 offset0:192 offset1:208
	s_waitcnt lgkmcnt(0)
	s_barrier
	buffer_gl0_inv
	v_fma_f64 v[18:19], v[42:43], v[56:57], v[18:19]
	v_fma_f64 v[16:17], v[44:45], v[56:57], v[16:17]
	;; [unrolled: 1-line block ×16, first 2 shown]
	s_cbranch_vccnz .LBB4_2
	s_branch .LBB4_4
.LBB4_3:
	v_mov_b32_e32 v30, 0
	v_mov_b32_e32 v26, 0
	v_mov_b32_e32 v18, 0
	v_mov_b32_e32 v16, 0
	v_mov_b32_e32 v32, 0
	v_mov_b32_e32 v28, 0
	v_mov_b32_e32 v24, 0
	v_mov_b32_e32 v20, 0
	v_mov_b32_e32 v22, 0
	v_mov_b32_e32 v14, 0
	v_mov_b32_e32 v12, 0
	v_mov_b32_e32 v10, 0
	v_mov_b32_e32 v8, 0
	v_mov_b32_e32 v6, 0
	v_mov_b32_e32 v4, 0
	v_mov_b32_e32 v2, 0
	v_mov_b32_e32 v31, 0
	v_mov_b32_e32 v27, 0
	v_mov_b32_e32 v19, 0
	v_mov_b32_e32 v17, 0
	v_mov_b32_e32 v33, 0
	v_mov_b32_e32 v29, 0
	v_mov_b32_e32 v25, 0
	v_mov_b32_e32 v21, 0
	v_mov_b32_e32 v23, 0
	v_mov_b32_e32 v15, 0
	v_mov_b32_e32 v13, 0
	v_mov_b32_e32 v11, 0
	v_mov_b32_e32 v9, 0
	v_mov_b32_e32 v7, 0
	v_mov_b32_e32 v5, 0
	v_mov_b32_e32 v3, 0
.LBB4_4:
	v_cmp_neq_f64_e64 s10, s[36:37], 0
	v_add_co_u32 v34, s8, s8, v1
	v_add_co_ci_u32_e64 v37, null, s9, 0, s8
	v_add_co_u32 v0, s6, s6, v0
	v_add_co_ci_u32_e64 v1, null, s7, 0, s6
	v_mul_lo_u32 v35, v37, s46
	v_mul_lo_u32 v36, v34, s47
	s_lshl_b64 s[0:1], s[48:49], 3
	v_lshlrev_b64 v[0:1], 3, v[0:1]
	s_waitcnt lgkmcnt(0)
	s_add_u32 s0, s4, s0
	s_addc_u32 s1, s5, s1
	s_and_b32 vcc_lo, exec_lo, s10
	s_cbranch_vccnz .LBB4_8
; %bb.5:
	v_mad_u64_u32 v[38:39], null, v34, s46, 0
	v_mul_f64 v[40:41], s[14:15], v[30:31]
	v_mul_f64 v[42:43], s[14:15], v[26:27]
	;; [unrolled: 1-line block ×6, first 2 shown]
	v_add3_u32 v39, v39, v36, v35
	v_mul_f64 v[52:53], s[14:15], v[24:25]
	s_lshl_b64 s[4:5], s[46:47], 7
	v_lshlrev_b64 v[38:39], 3, v[38:39]
	v_add_co_u32 v54, vcc_lo, s0, v38
	v_add_co_ci_u32_e64 v55, null, s1, v39, vcc_lo
	v_mul_f64 v[38:39], s[14:15], v[20:21]
	v_add_co_u32 v58, vcc_lo, v54, s4
	v_add_co_ci_u32_e64 v59, null, s5, v55, vcc_lo
	v_add_co_u32 v54, vcc_lo, v54, v0
	v_add_co_ci_u32_e64 v55, null, v55, v1, vcc_lo
	;; [unrolled: 2-line block ×3, first 2 shown]
	flat_store_dwordx2 v[54:55], v[40:41]
	flat_store_dwordx2 v[54:55], v[42:43] offset:128
	flat_store_dwordx2 v[54:55], v[44:45] offset:256
	;; [unrolled: 1-line block ×3, first 2 shown]
	flat_store_dwordx2 v[56:57], v[48:49]
	flat_store_dwordx2 v[56:57], v[50:51] offset:128
	flat_store_dwordx2 v[56:57], v[52:53] offset:256
	v_mul_f64 v[40:41], s[14:15], v[22:23]
	v_mul_f64 v[54:55], s[14:15], v[2:3]
	;; [unrolled: 1-line block ×7, first 2 shown]
	v_add_co_u32 v58, vcc_lo, v58, s4
	v_mul_f64 v[52:53], s[14:15], v[4:5]
	v_add_co_ci_u32_e64 v59, null, s5, v59, vcc_lo
	flat_store_dwordx2 v[56:57], v[38:39] offset:384
	v_add_co_u32 v56, vcc_lo, v58, s4
	v_add_co_ci_u32_e64 v57, null, s5, v59, vcc_lo
	v_add_co_u32 v38, vcc_lo, v58, v0
	v_add_co_ci_u32_e64 v39, null, v59, v1, vcc_lo
	;; [unrolled: 2-line block ×3, first 2 shown]
	flat_store_dwordx2 v[38:39], v[40:41]
	flat_store_dwordx2 v[38:39], v[42:43] offset:128
	flat_store_dwordx2 v[38:39], v[44:45] offset:256
	;; [unrolled: 1-line block ×3, first 2 shown]
	flat_store_dwordx2 v[56:57], v[48:49]
	flat_store_dwordx2 v[56:57], v[50:51] offset:128
	flat_store_dwordx2 v[56:57], v[52:53] offset:256
	flat_store_dwordx2 v[56:57], v[54:55] offset:384
	s_cbranch_execnz .LBB4_7
.LBB4_6:
	v_mul_lo_u32 v39, v37, s40
	v_mul_lo_u32 v40, v34, s41
	v_mad_u64_u32 v[37:38], null, v34, s40, 0
	s_lshl_b64 s[4:5], s[42:43], 3
	v_mad_u64_u32 v[41:42], null, v34, s46, 0
	s_add_u32 s2, s2, s4
	s_addc_u32 s3, s3, s5
	v_add3_u32 v38, v38, v40, v39
	v_add3_u32 v42, v42, v36, v35
	v_lshlrev_b64 v[37:38], 3, v[37:38]
	v_lshlrev_b64 v[34:35], 3, v[41:42]
	v_add_co_u32 v43, vcc_lo, s2, v37
	v_add_co_ci_u32_e64 v44, null, s3, v38, vcc_lo
	s_lshl_b64 s[2:3], s[46:47], 7
	v_add_co_u32 v37, vcc_lo, v43, v0
	v_add_co_ci_u32_e64 v38, null, v44, v1, vcc_lo
	v_add_co_u32 v36, vcc_lo, s0, v34
	flat_load_dwordx2 v[39:40], v[37:38]
	s_waitcnt vmcnt(0) lgkmcnt(0)
	v_mul_f64 v[39:40], s[36:37], v[39:40]
	v_fma_f64 v[30:31], s[14:15], v[30:31], v[39:40]
	v_add_co_ci_u32_e64 v39, null, s1, v35, vcc_lo
	v_add_co_u32 v34, vcc_lo, v36, v0
	s_lshl_b64 s[0:1], s[40:41], 7
	v_add_co_ci_u32_e64 v35, null, v39, v1, vcc_lo
	flat_store_dwordx2 v[34:35], v[30:31]
	flat_load_dwordx2 v[30:31], v[37:38] offset:128
	s_waitcnt vmcnt(0) lgkmcnt(0)
	v_mul_f64 v[30:31], s[36:37], v[30:31]
	v_fma_f64 v[26:27], s[14:15], v[26:27], v[30:31]
	v_add_co_u32 v30, vcc_lo, v43, s0
	v_add_co_ci_u32_e64 v31, null, s1, v44, vcc_lo
	flat_store_dwordx2 v[34:35], v[26:27] offset:128
	flat_load_dwordx2 v[26:27], v[37:38] offset:256
	s_waitcnt vmcnt(0) lgkmcnt(0)
	v_mul_f64 v[26:27], s[36:37], v[26:27]
	v_fma_f64 v[18:19], s[14:15], v[18:19], v[26:27]
	flat_store_dwordx2 v[34:35], v[18:19] offset:256
	flat_load_dwordx2 v[18:19], v[37:38] offset:384
	s_waitcnt vmcnt(0) lgkmcnt(0)
	v_mul_f64 v[18:19], s[36:37], v[18:19]
	v_fma_f64 v[16:17], s[14:15], v[16:17], v[18:19]
	v_add_co_u32 v18, vcc_lo, v30, v0
	v_add_co_ci_u32_e64 v19, null, v31, v1, vcc_lo
	flat_store_dwordx2 v[34:35], v[16:17] offset:384
	flat_load_dwordx2 v[16:17], v[18:19]
	s_waitcnt vmcnt(0) lgkmcnt(0)
	v_mul_f64 v[16:17], s[36:37], v[16:17]
	v_fma_f64 v[16:17], s[14:15], v[32:33], v[16:17]
	v_add_co_u32 v32, vcc_lo, v36, s2
	v_add_co_ci_u32_e64 v33, null, s3, v39, vcc_lo
	v_add_co_u32 v26, vcc_lo, v32, v0
	v_add_co_ci_u32_e64 v27, null, v33, v1, vcc_lo
	flat_store_dwordx2 v[26:27], v[16:17]
	flat_load_dwordx2 v[16:17], v[18:19] offset:128
	s_waitcnt vmcnt(0) lgkmcnt(0)
	v_mul_f64 v[16:17], s[36:37], v[16:17]
	v_fma_f64 v[16:17], s[14:15], v[28:29], v[16:17]
	flat_store_dwordx2 v[26:27], v[16:17] offset:128
	flat_load_dwordx2 v[16:17], v[18:19] offset:256
	s_waitcnt vmcnt(0) lgkmcnt(0)
	v_mul_f64 v[16:17], s[36:37], v[16:17]
	v_fma_f64 v[16:17], s[14:15], v[24:25], v[16:17]
	v_add_co_u32 v24, vcc_lo, v30, s0
	v_add_co_ci_u32_e64 v25, null, s1, v31, vcc_lo
	flat_store_dwordx2 v[26:27], v[16:17] offset:256
	flat_load_dwordx2 v[16:17], v[18:19] offset:384
	v_add_co_u32 v18, vcc_lo, v24, v0
	v_add_co_ci_u32_e64 v19, null, v25, v1, vcc_lo
	s_waitcnt vmcnt(0) lgkmcnt(0)
	v_mul_f64 v[16:17], s[36:37], v[16:17]
	v_fma_f64 v[16:17], s[14:15], v[20:21], v[16:17]
	flat_store_dwordx2 v[26:27], v[16:17] offset:384
	flat_load_dwordx2 v[16:17], v[18:19]
	s_waitcnt vmcnt(0) lgkmcnt(0)
	v_mul_f64 v[16:17], s[36:37], v[16:17]
	v_fma_f64 v[16:17], s[14:15], v[22:23], v[16:17]
	v_add_co_u32 v22, vcc_lo, v32, s2
	v_add_co_ci_u32_e64 v23, null, s3, v33, vcc_lo
	v_add_co_u32 v20, vcc_lo, v22, v0
	v_add_co_ci_u32_e64 v21, null, v23, v1, vcc_lo
	flat_store_dwordx2 v[20:21], v[16:17]
	flat_load_dwordx2 v[16:17], v[18:19] offset:128
	s_waitcnt vmcnt(0) lgkmcnt(0)
	v_mul_f64 v[16:17], s[36:37], v[16:17]
	v_fma_f64 v[14:15], s[14:15], v[14:15], v[16:17]
	flat_store_dwordx2 v[20:21], v[14:15] offset:128
	flat_load_dwordx2 v[14:15], v[18:19] offset:256
	s_waitcnt vmcnt(0) lgkmcnt(0)
	v_mul_f64 v[14:15], s[36:37], v[14:15]
	v_fma_f64 v[12:13], s[14:15], v[12:13], v[14:15]
	flat_store_dwordx2 v[20:21], v[12:13] offset:256
	flat_load_dwordx2 v[12:13], v[18:19] offset:384
	s_waitcnt vmcnt(0) lgkmcnt(0)
	v_mul_f64 v[12:13], s[36:37], v[12:13]
	v_fma_f64 v[10:11], s[14:15], v[10:11], v[12:13]
	v_add_co_u32 v12, vcc_lo, v24, s0
	v_add_co_ci_u32_e64 v13, null, s1, v25, vcc_lo
	v_add_co_u32 v12, vcc_lo, v12, v0
	v_add_co_ci_u32_e64 v13, null, v13, v1, vcc_lo
	flat_store_dwordx2 v[20:21], v[10:11] offset:384
	flat_load_dwordx2 v[10:11], v[12:13]
	s_waitcnt vmcnt(0) lgkmcnt(0)
	v_mul_f64 v[10:11], s[36:37], v[10:11]
	v_fma_f64 v[8:9], s[14:15], v[8:9], v[10:11]
	v_add_co_u32 v10, vcc_lo, v22, s2
	v_add_co_ci_u32_e64 v11, null, s3, v23, vcc_lo
	v_add_co_u32 v0, vcc_lo, v10, v0
	v_add_co_ci_u32_e64 v1, null, v11, v1, vcc_lo
	flat_store_dwordx2 v[0:1], v[8:9]
	flat_load_dwordx2 v[8:9], v[12:13] offset:128
	s_waitcnt vmcnt(0) lgkmcnt(0)
	v_mul_f64 v[8:9], s[36:37], v[8:9]
	v_fma_f64 v[6:7], s[14:15], v[6:7], v[8:9]
	flat_store_dwordx2 v[0:1], v[6:7] offset:128
	flat_load_dwordx2 v[6:7], v[12:13] offset:256
	s_waitcnt vmcnt(0) lgkmcnt(0)
	v_mul_f64 v[6:7], s[36:37], v[6:7]
	v_fma_f64 v[4:5], s[14:15], v[4:5], v[6:7]
	flat_store_dwordx2 v[0:1], v[4:5] offset:256
	;; [unrolled: 5-line block ×3, first 2 shown]
.LBB4_7:
	s_endpgm
.LBB4_8:
	s_branch .LBB4_6
	.section	.rodata,"a",@progbits
	.p2align	6, 0x0
	.amdhsa_kernel _ZN12_GLOBAL__N_127rocblas_gemm_batched_kernelIdLi16ELi16ELi64ELi64ELi4ELi64ELi4ELi4ELi64ELc84ELc84EKPKdS3_KPdEEvlllT_PT11_llS8_llS6_PT12_llPT13_lli
		.amdhsa_group_segment_fixed_size 4096
		.amdhsa_private_segment_fixed_size 0
		.amdhsa_kernarg_size 140
		.amdhsa_user_sgpr_count 6
		.amdhsa_user_sgpr_private_segment_buffer 1
		.amdhsa_user_sgpr_dispatch_ptr 0
		.amdhsa_user_sgpr_queue_ptr 0
		.amdhsa_user_sgpr_kernarg_segment_ptr 1
		.amdhsa_user_sgpr_dispatch_id 0
		.amdhsa_user_sgpr_flat_scratch_init 0
		.amdhsa_user_sgpr_private_segment_size 0
		.amdhsa_wavefront_size32 1
		.amdhsa_uses_dynamic_stack 0
		.amdhsa_system_sgpr_private_segment_wavefront_offset 0
		.amdhsa_system_sgpr_workgroup_id_x 1
		.amdhsa_system_sgpr_workgroup_id_y 1
		.amdhsa_system_sgpr_workgroup_id_z 1
		.amdhsa_system_sgpr_workgroup_info 0
		.amdhsa_system_vgpr_workitem_id 1
		.amdhsa_next_free_vgpr 78
		.amdhsa_next_free_sgpr 52
		.amdhsa_reserve_vcc 1
		.amdhsa_reserve_flat_scratch 0
		.amdhsa_float_round_mode_32 0
		.amdhsa_float_round_mode_16_64 0
		.amdhsa_float_denorm_mode_32 3
		.amdhsa_float_denorm_mode_16_64 3
		.amdhsa_dx10_clamp 1
		.amdhsa_ieee_mode 1
		.amdhsa_fp16_overflow 0
		.amdhsa_workgroup_processor_mode 1
		.amdhsa_memory_ordered 1
		.amdhsa_forward_progress 1
		.amdhsa_shared_vgpr_count 0
		.amdhsa_exception_fp_ieee_invalid_op 0
		.amdhsa_exception_fp_denorm_src 0
		.amdhsa_exception_fp_ieee_div_zero 0
		.amdhsa_exception_fp_ieee_overflow 0
		.amdhsa_exception_fp_ieee_underflow 0
		.amdhsa_exception_fp_ieee_inexact 0
		.amdhsa_exception_int_div_zero 0
	.end_amdhsa_kernel
	.section	.text._ZN12_GLOBAL__N_127rocblas_gemm_batched_kernelIdLi16ELi16ELi64ELi64ELi4ELi64ELi4ELi4ELi64ELc84ELc84EKPKdS3_KPdEEvlllT_PT11_llS8_llS6_PT12_llPT13_lli,"axG",@progbits,_ZN12_GLOBAL__N_127rocblas_gemm_batched_kernelIdLi16ELi16ELi64ELi64ELi4ELi64ELi4ELi4ELi64ELc84ELc84EKPKdS3_KPdEEvlllT_PT11_llS8_llS6_PT12_llPT13_lli,comdat
.Lfunc_end4:
	.size	_ZN12_GLOBAL__N_127rocblas_gemm_batched_kernelIdLi16ELi16ELi64ELi64ELi4ELi64ELi4ELi4ELi64ELc84ELc84EKPKdS3_KPdEEvlllT_PT11_llS8_llS6_PT12_llPT13_lli, .Lfunc_end4-_ZN12_GLOBAL__N_127rocblas_gemm_batched_kernelIdLi16ELi16ELi64ELi64ELi4ELi64ELi4ELi4ELi64ELc84ELc84EKPKdS3_KPdEEvlllT_PT11_llS8_llS6_PT12_llPT13_lli
                                        ; -- End function
	.set _ZN12_GLOBAL__N_127rocblas_gemm_batched_kernelIdLi16ELi16ELi64ELi64ELi4ELi64ELi4ELi4ELi64ELc84ELc84EKPKdS3_KPdEEvlllT_PT11_llS8_llS6_PT12_llPT13_lli.num_vgpr, 78
	.set _ZN12_GLOBAL__N_127rocblas_gemm_batched_kernelIdLi16ELi16ELi64ELi64ELi4ELi64ELi4ELi4ELi64ELc84ELc84EKPKdS3_KPdEEvlllT_PT11_llS8_llS6_PT12_llPT13_lli.num_agpr, 0
	.set _ZN12_GLOBAL__N_127rocblas_gemm_batched_kernelIdLi16ELi16ELi64ELi64ELi4ELi64ELi4ELi4ELi64ELc84ELc84EKPKdS3_KPdEEvlllT_PT11_llS8_llS6_PT12_llPT13_lli.numbered_sgpr, 52
	.set _ZN12_GLOBAL__N_127rocblas_gemm_batched_kernelIdLi16ELi16ELi64ELi64ELi4ELi64ELi4ELi4ELi64ELc84ELc84EKPKdS3_KPdEEvlllT_PT11_llS8_llS6_PT12_llPT13_lli.num_named_barrier, 0
	.set _ZN12_GLOBAL__N_127rocblas_gemm_batched_kernelIdLi16ELi16ELi64ELi64ELi4ELi64ELi4ELi4ELi64ELc84ELc84EKPKdS3_KPdEEvlllT_PT11_llS8_llS6_PT12_llPT13_lli.private_seg_size, 0
	.set _ZN12_GLOBAL__N_127rocblas_gemm_batched_kernelIdLi16ELi16ELi64ELi64ELi4ELi64ELi4ELi4ELi64ELc84ELc84EKPKdS3_KPdEEvlllT_PT11_llS8_llS6_PT12_llPT13_lli.uses_vcc, 1
	.set _ZN12_GLOBAL__N_127rocblas_gemm_batched_kernelIdLi16ELi16ELi64ELi64ELi4ELi64ELi4ELi4ELi64ELc84ELc84EKPKdS3_KPdEEvlllT_PT11_llS8_llS6_PT12_llPT13_lli.uses_flat_scratch, 0
	.set _ZN12_GLOBAL__N_127rocblas_gemm_batched_kernelIdLi16ELi16ELi64ELi64ELi4ELi64ELi4ELi4ELi64ELc84ELc84EKPKdS3_KPdEEvlllT_PT11_llS8_llS6_PT12_llPT13_lli.has_dyn_sized_stack, 0
	.set _ZN12_GLOBAL__N_127rocblas_gemm_batched_kernelIdLi16ELi16ELi64ELi64ELi4ELi64ELi4ELi4ELi64ELc84ELc84EKPKdS3_KPdEEvlllT_PT11_llS8_llS6_PT12_llPT13_lli.has_recursion, 0
	.set _ZN12_GLOBAL__N_127rocblas_gemm_batched_kernelIdLi16ELi16ELi64ELi64ELi4ELi64ELi4ELi4ELi64ELc84ELc84EKPKdS3_KPdEEvlllT_PT11_llS8_llS6_PT12_llPT13_lli.has_indirect_call, 0
	.section	.AMDGPU.csdata,"",@progbits
; Kernel info:
; codeLenInByte = 2900
; TotalNumSgprs: 54
; NumVgprs: 78
; ScratchSize: 0
; MemoryBound: 0
; FloatMode: 240
; IeeeMode: 1
; LDSByteSize: 4096 bytes/workgroup (compile time only)
; SGPRBlocks: 0
; VGPRBlocks: 9
; NumSGPRsForWavesPerEU: 54
; NumVGPRsForWavesPerEU: 78
; Occupancy: 12
; WaveLimiterHint : 1
; COMPUTE_PGM_RSRC2:SCRATCH_EN: 0
; COMPUTE_PGM_RSRC2:USER_SGPR: 6
; COMPUTE_PGM_RSRC2:TRAP_HANDLER: 0
; COMPUTE_PGM_RSRC2:TGID_X_EN: 1
; COMPUTE_PGM_RSRC2:TGID_Y_EN: 1
; COMPUTE_PGM_RSRC2:TGID_Z_EN: 1
; COMPUTE_PGM_RSRC2:TIDIG_COMP_CNT: 1
	.section	.text._ZN12_GLOBAL__N_127rocblas_gemm_batched_kernelIdLi16ELi16ELi64ELi64ELi4ELi64ELi4ELi4ELi64ELc67ELc67EKPKdS3_KPdEEvlllT_PT11_llS8_llS6_PT12_llPT13_lli,"axG",@progbits,_ZN12_GLOBAL__N_127rocblas_gemm_batched_kernelIdLi16ELi16ELi64ELi64ELi4ELi64ELi4ELi4ELi64ELc67ELc67EKPKdS3_KPdEEvlllT_PT11_llS8_llS6_PT12_llPT13_lli,comdat
	.globl	_ZN12_GLOBAL__N_127rocblas_gemm_batched_kernelIdLi16ELi16ELi64ELi64ELi4ELi64ELi4ELi4ELi64ELc67ELc67EKPKdS3_KPdEEvlllT_PT11_llS8_llS6_PT12_llPT13_lli ; -- Begin function _ZN12_GLOBAL__N_127rocblas_gemm_batched_kernelIdLi16ELi16ELi64ELi64ELi4ELi64ELi4ELi4ELi64ELc67ELc67EKPKdS3_KPdEEvlllT_PT11_llS8_llS6_PT12_llPT13_lli
	.p2align	8
	.type	_ZN12_GLOBAL__N_127rocblas_gemm_batched_kernelIdLi16ELi16ELi64ELi64ELi4ELi64ELi4ELi4ELi64ELc67ELc67EKPKdS3_KPdEEvlllT_PT11_llS8_llS6_PT12_llPT13_lli,@function
_ZN12_GLOBAL__N_127rocblas_gemm_batched_kernelIdLi16ELi16ELi64ELi64ELi4ELi64ELi4ELi4ELi64ELc67ELc67EKPKdS3_KPdEEvlllT_PT11_llS8_llS6_PT12_llPT13_lli: ; @_ZN12_GLOBAL__N_127rocblas_gemm_batched_kernelIdLi16ELi16ELi64ELi64ELi4ELi64ELi4ELi4ELi64ELc67ELc67EKPKdS3_KPdEEvlllT_PT11_llS8_llS6_PT12_llPT13_lli
; %bb.0:
	s_clause 0x2
	s_load_dwordx8 s[36:43], s[4:5], 0x50
	s_load_dwordx8 s[44:51], s[4:5], 0x70
	s_load_dwordx16 s[12:27], s[4:5], 0x10
	s_mov_b32 s9, 0
	s_mov_b32 s10, s7
	s_lshl_b64 s[0:1], s[8:9], 3
	v_mov_b32_e32 v3, 0
	s_waitcnt lgkmcnt(0)
	s_add_u32 s2, s38, s0
	s_addc_u32 s3, s39, s1
	s_add_u32 s4, s44, s0
	s_addc_u32 s5, s45, s1
	s_load_dwordx2 s[2:3], s[2:3], 0x0
	s_load_dwordx2 s[4:5], s[4:5], 0x0
	v_cmp_lt_i64_e64 s8, s[12:13], 1
	s_ashr_i32 s7, s6, 31
	s_ashr_i32 s11, s10, 31
	s_lshl_b64 s[6:7], s[6:7], 6
	s_and_b32 vcc_lo, exec_lo, s8
	s_lshl_b64 s[8:9], s[10:11], 6
	s_cbranch_vccnz .LBB5_3
; %bb.1:
	v_lshl_add_u32 v5, v1, 4, v0
	s_add_u32 s10, s16, s0
	v_and_b32_e32 v7, 3, v0
	s_addc_u32 s11, s17, s1
	s_add_u32 s0, s22, s0
	v_and_b32_e32 v8, 63, v5
	v_lshrrev_b32_e32 v2, 2, v5
	s_addc_u32 s1, s23, s1
	v_lshrrev_b32_e32 v10, 6, v5
	s_load_dwordx2 s[0:1], s[0:1], 0x0
	v_add_co_u32 v6, s16, s6, v8
	v_mad_u64_u32 v[3:4], null, s24, v7, v[2:3]
	v_add_co_ci_u32_e64 v9, null, s7, 0, s16
	v_mul_lo_u32 v12, s19, v6
	v_mad_u64_u32 v[5:6], null, s18, v6, 0
	v_lshlrev_b32_e32 v11, 3, v7
	v_mul_lo_u32 v9, s18, v9
	v_lshlrev_b32_e32 v13, 3, v8
	s_load_dwordx2 s[10:11], s[10:11], 0x0
	s_lshl_b64 s[16:17], s[26:27], 3
	v_lshl_or_b32 v2, v2, 5, v11
	v_mad_u64_u32 v[7:8], null, s25, v7, v[4:5]
	v_lshl_or_b32 v38, v10, 9, v13
	v_add3_u32 v6, v6, v9, v12
	v_add_nc_u32_e32 v39, 0x800, v2
	v_add_co_u32 v2, vcc_lo, v3, s8
	s_waitcnt lgkmcnt(0)
	s_add_u32 s16, s0, s16
	v_add_co_ci_u32_e64 v3, null, s9, v7, vcc_lo
	v_lshlrev_b64 v[4:5], 3, v[5:6]
	s_addc_u32 s17, s1, s17
	s_lshl_b64 s[0:1], s[20:21], 3
	v_lshlrev_b64 v[2:3], 3, v[2:3]
	v_lshlrev_b32_e32 v6, 3, v10
	v_mov_b32_e32 v8, 0
	v_add_co_u32 v4, vcc_lo, v4, s0
	v_add_co_ci_u32_e64 v5, null, s1, v5, vcc_lo
	v_add_co_u32 v34, vcc_lo, s16, v2
	v_add_co_ci_u32_e64 v35, null, s17, v3, vcc_lo
	;; [unrolled: 2-line block ×3, first 2 shown]
	v_mov_b32_e32 v2, 0
	v_add_co_u32 v36, vcc_lo, s10, v36
	v_mov_b32_e32 v4, 0
	v_mov_b32_e32 v6, 0
	;; [unrolled: 1-line block ×14, first 2 shown]
	v_lshlrev_b32_e32 v40, 3, v0
	v_lshl_add_u32 v41, v1, 5, 0x800
	v_mov_b32_e32 v3, 0
	v_mov_b32_e32 v5, 0
	;; [unrolled: 1-line block ×16, first 2 shown]
	v_add_co_ci_u32_e64 v37, null, s11, v37, vcc_lo
	s_lshl_b64 s[10:11], s[24:25], 5
	s_mov_b64 s[16:17], 0
.LBB5_2:                                ; =>This Inner Loop Header: Depth=1
	flat_load_dwordx2 v[42:43], v[36:37]
	s_add_u32 s16, s16, 4
	s_addc_u32 s17, s17, 0
	v_add_co_u32 v36, vcc_lo, v36, 32
	v_cmp_lt_i64_e64 s0, s[16:17], s[12:13]
	v_add_co_ci_u32_e64 v37, null, 0, v37, vcc_lo
	s_and_b32 vcc_lo, exec_lo, s0
	s_waitcnt vmcnt(0) lgkmcnt(0)
	ds_write_b64 v38, v[42:43]
	flat_load_dwordx2 v[42:43], v[34:35]
	v_add_co_u32 v34, s0, v34, s10
	v_add_co_ci_u32_e64 v35, null, s11, v35, s0
	s_waitcnt vmcnt(0) lgkmcnt(0)
	ds_write_b64 v39, v[42:43]
	s_waitcnt lgkmcnt(0)
	s_barrier
	buffer_gl0_inv
	ds_read_b128 v[42:45], v41
	ds_read2_b64 v[46:49], v40 offset1:16
	ds_read_b128 v[50:53], v41 offset:512
	ds_read_b128 v[54:57], v41 offset:16
	;; [unrolled: 1-line block ×3, first 2 shown]
	s_waitcnt lgkmcnt(3)
	v_fma_f64 v[70:71], v[46:47], v[42:43], v[30:31]
	v_fma_f64 v[72:73], v[48:49], v[42:43], v[26:27]
	s_waitcnt lgkmcnt(2)
	v_fma_f64 v[74:75], v[46:47], v[50:51], v[32:33]
	v_fma_f64 v[76:77], v[48:49], v[50:51], v[28:29]
	ds_read_b128 v[26:29], v41 offset:1024
	ds_read_b128 v[62:65], v41 offset:1040
	;; [unrolled: 1-line block ×4, first 2 shown]
	s_waitcnt lgkmcnt(3)
	v_fma_f64 v[22:23], v[46:47], v[26:27], v[22:23]
	v_fma_f64 v[14:15], v[48:49], v[26:27], v[14:15]
	s_waitcnt lgkmcnt(1)
	v_fma_f64 v[46:47], v[46:47], v[30:31], v[8:9]
	v_fma_f64 v[48:49], v[48:49], v[30:31], v[6:7]
	ds_read2_b64 v[6:9], v40 offset0:32 offset1:48
	s_waitcnt lgkmcnt(0)
	v_fma_f64 v[18:19], v[6:7], v[42:43], v[18:19]
	v_fma_f64 v[16:17], v[8:9], v[42:43], v[16:17]
	;; [unrolled: 1-line block ×8, first 2 shown]
	ds_read2_b64 v[2:5], v40 offset0:64 offset1:80
	ds_read2_b64 v[6:9], v40 offset0:96 offset1:112
	s_waitcnt lgkmcnt(1)
	v_fma_f64 v[42:43], v[2:3], v[44:45], v[70:71]
	v_fma_f64 v[50:51], v[4:5], v[44:45], v[72:73]
	s_waitcnt lgkmcnt(0)
	v_fma_f64 v[18:19], v[6:7], v[44:45], v[18:19]
	v_fma_f64 v[16:17], v[8:9], v[44:45], v[16:17]
	;; [unrolled: 1-line block ×10, first 2 shown]
	ds_read2_b64 v[2:5], v40 offset0:128 offset1:144
	v_fma_f64 v[24:25], v[6:7], v[52:53], v[24:25]
	v_fma_f64 v[20:21], v[8:9], v[52:53], v[20:21]
	;; [unrolled: 1-line block ×4, first 2 shown]
	s_waitcnt lgkmcnt(0)
	v_fma_f64 v[26:27], v[2:3], v[54:55], v[42:43]
	v_fma_f64 v[32:33], v[4:5], v[54:55], v[50:51]
	v_fma_f64 v[48:49], v[2:3], v[58:59], v[44:45]
	v_fma_f64 v[50:51], v[4:5], v[58:59], v[70:71]
	v_fma_f64 v[22:23], v[2:3], v[62:63], v[22:23]
	v_fma_f64 v[14:15], v[4:5], v[62:63], v[14:15]
	v_fma_f64 v[52:53], v[2:3], v[66:67], v[28:29]
	v_fma_f64 v[46:47], v[4:5], v[66:67], v[46:47]
	ds_read2_b64 v[2:5], v40 offset0:160 offset1:176
	ds_read2_b64 v[42:45], v40 offset0:224 offset1:240
	s_waitcnt lgkmcnt(1)
	v_fma_f64 v[18:19], v[2:3], v[54:55], v[18:19]
	v_fma_f64 v[16:17], v[4:5], v[54:55], v[16:17]
	;; [unrolled: 1-line block ×8, first 2 shown]
	ds_read2_b64 v[2:5], v40 offset0:192 offset1:208
	s_waitcnt lgkmcnt(0)
	s_barrier
	buffer_gl0_inv
	v_fma_f64 v[18:19], v[42:43], v[56:57], v[18:19]
	v_fma_f64 v[16:17], v[44:45], v[56:57], v[16:17]
	;; [unrolled: 1-line block ×16, first 2 shown]
	s_cbranch_vccnz .LBB5_2
	s_branch .LBB5_4
.LBB5_3:
	v_mov_b32_e32 v30, 0
	v_mov_b32_e32 v26, 0
	;; [unrolled: 1-line block ×32, first 2 shown]
.LBB5_4:
	v_cmp_neq_f64_e64 s10, s[36:37], 0
	v_add_co_u32 v34, s8, s8, v1
	v_add_co_ci_u32_e64 v37, null, s9, 0, s8
	v_add_co_u32 v0, s6, s6, v0
	v_add_co_ci_u32_e64 v1, null, s7, 0, s6
	v_mul_lo_u32 v35, v37, s46
	v_mul_lo_u32 v36, v34, s47
	s_lshl_b64 s[0:1], s[48:49], 3
	v_lshlrev_b64 v[0:1], 3, v[0:1]
	s_waitcnt lgkmcnt(0)
	s_add_u32 s0, s4, s0
	s_addc_u32 s1, s5, s1
	s_and_b32 vcc_lo, exec_lo, s10
	s_cbranch_vccnz .LBB5_8
; %bb.5:
	v_mad_u64_u32 v[38:39], null, v34, s46, 0
	v_mul_f64 v[40:41], s[14:15], v[30:31]
	v_mul_f64 v[42:43], s[14:15], v[26:27]
	;; [unrolled: 1-line block ×6, first 2 shown]
	v_add3_u32 v39, v39, v36, v35
	v_mul_f64 v[52:53], s[14:15], v[24:25]
	s_lshl_b64 s[4:5], s[46:47], 7
	v_lshlrev_b64 v[38:39], 3, v[38:39]
	v_add_co_u32 v54, vcc_lo, s0, v38
	v_add_co_ci_u32_e64 v55, null, s1, v39, vcc_lo
	v_mul_f64 v[38:39], s[14:15], v[20:21]
	v_add_co_u32 v58, vcc_lo, v54, s4
	v_add_co_ci_u32_e64 v59, null, s5, v55, vcc_lo
	v_add_co_u32 v54, vcc_lo, v54, v0
	v_add_co_ci_u32_e64 v55, null, v55, v1, vcc_lo
	;; [unrolled: 2-line block ×3, first 2 shown]
	flat_store_dwordx2 v[54:55], v[40:41]
	flat_store_dwordx2 v[54:55], v[42:43] offset:128
	flat_store_dwordx2 v[54:55], v[44:45] offset:256
	;; [unrolled: 1-line block ×3, first 2 shown]
	flat_store_dwordx2 v[56:57], v[48:49]
	flat_store_dwordx2 v[56:57], v[50:51] offset:128
	flat_store_dwordx2 v[56:57], v[52:53] offset:256
	v_mul_f64 v[40:41], s[14:15], v[22:23]
	v_mul_f64 v[54:55], s[14:15], v[2:3]
	;; [unrolled: 1-line block ×7, first 2 shown]
	v_add_co_u32 v58, vcc_lo, v58, s4
	v_mul_f64 v[52:53], s[14:15], v[4:5]
	v_add_co_ci_u32_e64 v59, null, s5, v59, vcc_lo
	flat_store_dwordx2 v[56:57], v[38:39] offset:384
	v_add_co_u32 v56, vcc_lo, v58, s4
	v_add_co_ci_u32_e64 v57, null, s5, v59, vcc_lo
	v_add_co_u32 v38, vcc_lo, v58, v0
	v_add_co_ci_u32_e64 v39, null, v59, v1, vcc_lo
	;; [unrolled: 2-line block ×3, first 2 shown]
	flat_store_dwordx2 v[38:39], v[40:41]
	flat_store_dwordx2 v[38:39], v[42:43] offset:128
	flat_store_dwordx2 v[38:39], v[44:45] offset:256
	;; [unrolled: 1-line block ×3, first 2 shown]
	flat_store_dwordx2 v[56:57], v[48:49]
	flat_store_dwordx2 v[56:57], v[50:51] offset:128
	flat_store_dwordx2 v[56:57], v[52:53] offset:256
	;; [unrolled: 1-line block ×3, first 2 shown]
	s_cbranch_execnz .LBB5_7
.LBB5_6:
	v_mul_lo_u32 v39, v37, s40
	v_mul_lo_u32 v40, v34, s41
	v_mad_u64_u32 v[37:38], null, v34, s40, 0
	s_lshl_b64 s[4:5], s[42:43], 3
	v_mad_u64_u32 v[41:42], null, v34, s46, 0
	s_add_u32 s2, s2, s4
	s_addc_u32 s3, s3, s5
	v_add3_u32 v38, v38, v40, v39
	v_add3_u32 v42, v42, v36, v35
	v_lshlrev_b64 v[37:38], 3, v[37:38]
	v_lshlrev_b64 v[34:35], 3, v[41:42]
	v_add_co_u32 v43, vcc_lo, s2, v37
	v_add_co_ci_u32_e64 v44, null, s3, v38, vcc_lo
	s_lshl_b64 s[2:3], s[46:47], 7
	v_add_co_u32 v37, vcc_lo, v43, v0
	v_add_co_ci_u32_e64 v38, null, v44, v1, vcc_lo
	v_add_co_u32 v36, vcc_lo, s0, v34
	flat_load_dwordx2 v[39:40], v[37:38]
	s_waitcnt vmcnt(0) lgkmcnt(0)
	v_mul_f64 v[39:40], s[36:37], v[39:40]
	v_fma_f64 v[30:31], s[14:15], v[30:31], v[39:40]
	v_add_co_ci_u32_e64 v39, null, s1, v35, vcc_lo
	v_add_co_u32 v34, vcc_lo, v36, v0
	s_lshl_b64 s[0:1], s[40:41], 7
	v_add_co_ci_u32_e64 v35, null, v39, v1, vcc_lo
	flat_store_dwordx2 v[34:35], v[30:31]
	flat_load_dwordx2 v[30:31], v[37:38] offset:128
	s_waitcnt vmcnt(0) lgkmcnt(0)
	v_mul_f64 v[30:31], s[36:37], v[30:31]
	v_fma_f64 v[26:27], s[14:15], v[26:27], v[30:31]
	v_add_co_u32 v30, vcc_lo, v43, s0
	v_add_co_ci_u32_e64 v31, null, s1, v44, vcc_lo
	flat_store_dwordx2 v[34:35], v[26:27] offset:128
	flat_load_dwordx2 v[26:27], v[37:38] offset:256
	s_waitcnt vmcnt(0) lgkmcnt(0)
	v_mul_f64 v[26:27], s[36:37], v[26:27]
	v_fma_f64 v[18:19], s[14:15], v[18:19], v[26:27]
	flat_store_dwordx2 v[34:35], v[18:19] offset:256
	flat_load_dwordx2 v[18:19], v[37:38] offset:384
	s_waitcnt vmcnt(0) lgkmcnt(0)
	v_mul_f64 v[18:19], s[36:37], v[18:19]
	v_fma_f64 v[16:17], s[14:15], v[16:17], v[18:19]
	v_add_co_u32 v18, vcc_lo, v30, v0
	v_add_co_ci_u32_e64 v19, null, v31, v1, vcc_lo
	flat_store_dwordx2 v[34:35], v[16:17] offset:384
	flat_load_dwordx2 v[16:17], v[18:19]
	s_waitcnt vmcnt(0) lgkmcnt(0)
	v_mul_f64 v[16:17], s[36:37], v[16:17]
	v_fma_f64 v[16:17], s[14:15], v[32:33], v[16:17]
	v_add_co_u32 v32, vcc_lo, v36, s2
	v_add_co_ci_u32_e64 v33, null, s3, v39, vcc_lo
	v_add_co_u32 v26, vcc_lo, v32, v0
	v_add_co_ci_u32_e64 v27, null, v33, v1, vcc_lo
	flat_store_dwordx2 v[26:27], v[16:17]
	flat_load_dwordx2 v[16:17], v[18:19] offset:128
	s_waitcnt vmcnt(0) lgkmcnt(0)
	v_mul_f64 v[16:17], s[36:37], v[16:17]
	v_fma_f64 v[16:17], s[14:15], v[28:29], v[16:17]
	flat_store_dwordx2 v[26:27], v[16:17] offset:128
	flat_load_dwordx2 v[16:17], v[18:19] offset:256
	s_waitcnt vmcnt(0) lgkmcnt(0)
	v_mul_f64 v[16:17], s[36:37], v[16:17]
	v_fma_f64 v[16:17], s[14:15], v[24:25], v[16:17]
	v_add_co_u32 v24, vcc_lo, v30, s0
	v_add_co_ci_u32_e64 v25, null, s1, v31, vcc_lo
	flat_store_dwordx2 v[26:27], v[16:17] offset:256
	flat_load_dwordx2 v[16:17], v[18:19] offset:384
	v_add_co_u32 v18, vcc_lo, v24, v0
	v_add_co_ci_u32_e64 v19, null, v25, v1, vcc_lo
	s_waitcnt vmcnt(0) lgkmcnt(0)
	v_mul_f64 v[16:17], s[36:37], v[16:17]
	v_fma_f64 v[16:17], s[14:15], v[20:21], v[16:17]
	flat_store_dwordx2 v[26:27], v[16:17] offset:384
	flat_load_dwordx2 v[16:17], v[18:19]
	s_waitcnt vmcnt(0) lgkmcnt(0)
	v_mul_f64 v[16:17], s[36:37], v[16:17]
	v_fma_f64 v[16:17], s[14:15], v[22:23], v[16:17]
	v_add_co_u32 v22, vcc_lo, v32, s2
	v_add_co_ci_u32_e64 v23, null, s3, v33, vcc_lo
	v_add_co_u32 v20, vcc_lo, v22, v0
	v_add_co_ci_u32_e64 v21, null, v23, v1, vcc_lo
	flat_store_dwordx2 v[20:21], v[16:17]
	flat_load_dwordx2 v[16:17], v[18:19] offset:128
	s_waitcnt vmcnt(0) lgkmcnt(0)
	v_mul_f64 v[16:17], s[36:37], v[16:17]
	v_fma_f64 v[14:15], s[14:15], v[14:15], v[16:17]
	flat_store_dwordx2 v[20:21], v[14:15] offset:128
	flat_load_dwordx2 v[14:15], v[18:19] offset:256
	s_waitcnt vmcnt(0) lgkmcnt(0)
	v_mul_f64 v[14:15], s[36:37], v[14:15]
	v_fma_f64 v[12:13], s[14:15], v[12:13], v[14:15]
	flat_store_dwordx2 v[20:21], v[12:13] offset:256
	flat_load_dwordx2 v[12:13], v[18:19] offset:384
	s_waitcnt vmcnt(0) lgkmcnt(0)
	v_mul_f64 v[12:13], s[36:37], v[12:13]
	v_fma_f64 v[10:11], s[14:15], v[10:11], v[12:13]
	v_add_co_u32 v12, vcc_lo, v24, s0
	v_add_co_ci_u32_e64 v13, null, s1, v25, vcc_lo
	v_add_co_u32 v12, vcc_lo, v12, v0
	v_add_co_ci_u32_e64 v13, null, v13, v1, vcc_lo
	flat_store_dwordx2 v[20:21], v[10:11] offset:384
	flat_load_dwordx2 v[10:11], v[12:13]
	s_waitcnt vmcnt(0) lgkmcnt(0)
	v_mul_f64 v[10:11], s[36:37], v[10:11]
	v_fma_f64 v[8:9], s[14:15], v[8:9], v[10:11]
	v_add_co_u32 v10, vcc_lo, v22, s2
	v_add_co_ci_u32_e64 v11, null, s3, v23, vcc_lo
	v_add_co_u32 v0, vcc_lo, v10, v0
	v_add_co_ci_u32_e64 v1, null, v11, v1, vcc_lo
	flat_store_dwordx2 v[0:1], v[8:9]
	flat_load_dwordx2 v[8:9], v[12:13] offset:128
	s_waitcnt vmcnt(0) lgkmcnt(0)
	v_mul_f64 v[8:9], s[36:37], v[8:9]
	v_fma_f64 v[6:7], s[14:15], v[6:7], v[8:9]
	flat_store_dwordx2 v[0:1], v[6:7] offset:128
	flat_load_dwordx2 v[6:7], v[12:13] offset:256
	s_waitcnt vmcnt(0) lgkmcnt(0)
	v_mul_f64 v[6:7], s[36:37], v[6:7]
	v_fma_f64 v[4:5], s[14:15], v[4:5], v[6:7]
	flat_store_dwordx2 v[0:1], v[4:5] offset:256
	;; [unrolled: 5-line block ×3, first 2 shown]
.LBB5_7:
	s_endpgm
.LBB5_8:
	s_branch .LBB5_6
	.section	.rodata,"a",@progbits
	.p2align	6, 0x0
	.amdhsa_kernel _ZN12_GLOBAL__N_127rocblas_gemm_batched_kernelIdLi16ELi16ELi64ELi64ELi4ELi64ELi4ELi4ELi64ELc67ELc67EKPKdS3_KPdEEvlllT_PT11_llS8_llS6_PT12_llPT13_lli
		.amdhsa_group_segment_fixed_size 4096
		.amdhsa_private_segment_fixed_size 0
		.amdhsa_kernarg_size 140
		.amdhsa_user_sgpr_count 6
		.amdhsa_user_sgpr_private_segment_buffer 1
		.amdhsa_user_sgpr_dispatch_ptr 0
		.amdhsa_user_sgpr_queue_ptr 0
		.amdhsa_user_sgpr_kernarg_segment_ptr 1
		.amdhsa_user_sgpr_dispatch_id 0
		.amdhsa_user_sgpr_flat_scratch_init 0
		.amdhsa_user_sgpr_private_segment_size 0
		.amdhsa_wavefront_size32 1
		.amdhsa_uses_dynamic_stack 0
		.amdhsa_system_sgpr_private_segment_wavefront_offset 0
		.amdhsa_system_sgpr_workgroup_id_x 1
		.amdhsa_system_sgpr_workgroup_id_y 1
		.amdhsa_system_sgpr_workgroup_id_z 1
		.amdhsa_system_sgpr_workgroup_info 0
		.amdhsa_system_vgpr_workitem_id 1
		.amdhsa_next_free_vgpr 78
		.amdhsa_next_free_sgpr 52
		.amdhsa_reserve_vcc 1
		.amdhsa_reserve_flat_scratch 0
		.amdhsa_float_round_mode_32 0
		.amdhsa_float_round_mode_16_64 0
		.amdhsa_float_denorm_mode_32 3
		.amdhsa_float_denorm_mode_16_64 3
		.amdhsa_dx10_clamp 1
		.amdhsa_ieee_mode 1
		.amdhsa_fp16_overflow 0
		.amdhsa_workgroup_processor_mode 1
		.amdhsa_memory_ordered 1
		.amdhsa_forward_progress 1
		.amdhsa_shared_vgpr_count 0
		.amdhsa_exception_fp_ieee_invalid_op 0
		.amdhsa_exception_fp_denorm_src 0
		.amdhsa_exception_fp_ieee_div_zero 0
		.amdhsa_exception_fp_ieee_overflow 0
		.amdhsa_exception_fp_ieee_underflow 0
		.amdhsa_exception_fp_ieee_inexact 0
		.amdhsa_exception_int_div_zero 0
	.end_amdhsa_kernel
	.section	.text._ZN12_GLOBAL__N_127rocblas_gemm_batched_kernelIdLi16ELi16ELi64ELi64ELi4ELi64ELi4ELi4ELi64ELc67ELc67EKPKdS3_KPdEEvlllT_PT11_llS8_llS6_PT12_llPT13_lli,"axG",@progbits,_ZN12_GLOBAL__N_127rocblas_gemm_batched_kernelIdLi16ELi16ELi64ELi64ELi4ELi64ELi4ELi4ELi64ELc67ELc67EKPKdS3_KPdEEvlllT_PT11_llS8_llS6_PT12_llPT13_lli,comdat
.Lfunc_end5:
	.size	_ZN12_GLOBAL__N_127rocblas_gemm_batched_kernelIdLi16ELi16ELi64ELi64ELi4ELi64ELi4ELi4ELi64ELc67ELc67EKPKdS3_KPdEEvlllT_PT11_llS8_llS6_PT12_llPT13_lli, .Lfunc_end5-_ZN12_GLOBAL__N_127rocblas_gemm_batched_kernelIdLi16ELi16ELi64ELi64ELi4ELi64ELi4ELi4ELi64ELc67ELc67EKPKdS3_KPdEEvlllT_PT11_llS8_llS6_PT12_llPT13_lli
                                        ; -- End function
	.set _ZN12_GLOBAL__N_127rocblas_gemm_batched_kernelIdLi16ELi16ELi64ELi64ELi4ELi64ELi4ELi4ELi64ELc67ELc67EKPKdS3_KPdEEvlllT_PT11_llS8_llS6_PT12_llPT13_lli.num_vgpr, 78
	.set _ZN12_GLOBAL__N_127rocblas_gemm_batched_kernelIdLi16ELi16ELi64ELi64ELi4ELi64ELi4ELi4ELi64ELc67ELc67EKPKdS3_KPdEEvlllT_PT11_llS8_llS6_PT12_llPT13_lli.num_agpr, 0
	.set _ZN12_GLOBAL__N_127rocblas_gemm_batched_kernelIdLi16ELi16ELi64ELi64ELi4ELi64ELi4ELi4ELi64ELc67ELc67EKPKdS3_KPdEEvlllT_PT11_llS8_llS6_PT12_llPT13_lli.numbered_sgpr, 52
	.set _ZN12_GLOBAL__N_127rocblas_gemm_batched_kernelIdLi16ELi16ELi64ELi64ELi4ELi64ELi4ELi4ELi64ELc67ELc67EKPKdS3_KPdEEvlllT_PT11_llS8_llS6_PT12_llPT13_lli.num_named_barrier, 0
	.set _ZN12_GLOBAL__N_127rocblas_gemm_batched_kernelIdLi16ELi16ELi64ELi64ELi4ELi64ELi4ELi4ELi64ELc67ELc67EKPKdS3_KPdEEvlllT_PT11_llS8_llS6_PT12_llPT13_lli.private_seg_size, 0
	.set _ZN12_GLOBAL__N_127rocblas_gemm_batched_kernelIdLi16ELi16ELi64ELi64ELi4ELi64ELi4ELi4ELi64ELc67ELc67EKPKdS3_KPdEEvlllT_PT11_llS8_llS6_PT12_llPT13_lli.uses_vcc, 1
	.set _ZN12_GLOBAL__N_127rocblas_gemm_batched_kernelIdLi16ELi16ELi64ELi64ELi4ELi64ELi4ELi4ELi64ELc67ELc67EKPKdS3_KPdEEvlllT_PT11_llS8_llS6_PT12_llPT13_lli.uses_flat_scratch, 0
	.set _ZN12_GLOBAL__N_127rocblas_gemm_batched_kernelIdLi16ELi16ELi64ELi64ELi4ELi64ELi4ELi4ELi64ELc67ELc67EKPKdS3_KPdEEvlllT_PT11_llS8_llS6_PT12_llPT13_lli.has_dyn_sized_stack, 0
	.set _ZN12_GLOBAL__N_127rocblas_gemm_batched_kernelIdLi16ELi16ELi64ELi64ELi4ELi64ELi4ELi4ELi64ELc67ELc67EKPKdS3_KPdEEvlllT_PT11_llS8_llS6_PT12_llPT13_lli.has_recursion, 0
	.set _ZN12_GLOBAL__N_127rocblas_gemm_batched_kernelIdLi16ELi16ELi64ELi64ELi4ELi64ELi4ELi4ELi64ELc67ELc67EKPKdS3_KPdEEvlllT_PT11_llS8_llS6_PT12_llPT13_lli.has_indirect_call, 0
	.section	.AMDGPU.csdata,"",@progbits
; Kernel info:
; codeLenInByte = 2900
; TotalNumSgprs: 54
; NumVgprs: 78
; ScratchSize: 0
; MemoryBound: 0
; FloatMode: 240
; IeeeMode: 1
; LDSByteSize: 4096 bytes/workgroup (compile time only)
; SGPRBlocks: 0
; VGPRBlocks: 9
; NumSGPRsForWavesPerEU: 54
; NumVGPRsForWavesPerEU: 78
; Occupancy: 12
; WaveLimiterHint : 1
; COMPUTE_PGM_RSRC2:SCRATCH_EN: 0
; COMPUTE_PGM_RSRC2:USER_SGPR: 6
; COMPUTE_PGM_RSRC2:TRAP_HANDLER: 0
; COMPUTE_PGM_RSRC2:TGID_X_EN: 1
; COMPUTE_PGM_RSRC2:TGID_Y_EN: 1
; COMPUTE_PGM_RSRC2:TGID_Z_EN: 1
; COMPUTE_PGM_RSRC2:TIDIG_COMP_CNT: 1
	.section	.text._ZN12_GLOBAL__N_127rocblas_gemm_batched_kernelIdLi16ELi16ELi64ELi64ELi4ELi64ELi4ELi4ELi64ELc67ELc78EKPKdS3_KPdEEvlllT_PT11_llS8_llS6_PT12_llPT13_lli,"axG",@progbits,_ZN12_GLOBAL__N_127rocblas_gemm_batched_kernelIdLi16ELi16ELi64ELi64ELi4ELi64ELi4ELi4ELi64ELc67ELc78EKPKdS3_KPdEEvlllT_PT11_llS8_llS6_PT12_llPT13_lli,comdat
	.globl	_ZN12_GLOBAL__N_127rocblas_gemm_batched_kernelIdLi16ELi16ELi64ELi64ELi4ELi64ELi4ELi4ELi64ELc67ELc78EKPKdS3_KPdEEvlllT_PT11_llS8_llS6_PT12_llPT13_lli ; -- Begin function _ZN12_GLOBAL__N_127rocblas_gemm_batched_kernelIdLi16ELi16ELi64ELi64ELi4ELi64ELi4ELi4ELi64ELc67ELc78EKPKdS3_KPdEEvlllT_PT11_llS8_llS6_PT12_llPT13_lli
	.p2align	8
	.type	_ZN12_GLOBAL__N_127rocblas_gemm_batched_kernelIdLi16ELi16ELi64ELi64ELi4ELi64ELi4ELi4ELi64ELc67ELc78EKPKdS3_KPdEEvlllT_PT11_llS8_llS6_PT12_llPT13_lli,@function
_ZN12_GLOBAL__N_127rocblas_gemm_batched_kernelIdLi16ELi16ELi64ELi64ELi4ELi64ELi4ELi4ELi64ELc67ELc78EKPKdS3_KPdEEvlllT_PT11_llS8_llS6_PT12_llPT13_lli: ; @_ZN12_GLOBAL__N_127rocblas_gemm_batched_kernelIdLi16ELi16ELi64ELi64ELi4ELi64ELi4ELi4ELi64ELc67ELc78EKPKdS3_KPdEEvlllT_PT11_llS8_llS6_PT12_llPT13_lli
; %bb.0:
	s_clause 0x2
	s_load_dwordx8 s[36:43], s[4:5], 0x50
	s_load_dwordx8 s[44:51], s[4:5], 0x70
	s_load_dwordx16 s[12:27], s[4:5], 0x10
	s_mov_b32 s9, 0
	s_mov_b32 s10, s7
	s_lshl_b64 s[0:1], s[8:9], 3
	s_waitcnt lgkmcnt(0)
	s_add_u32 s2, s38, s0
	s_addc_u32 s3, s39, s1
	s_add_u32 s4, s44, s0
	s_addc_u32 s5, s45, s1
	s_load_dwordx2 s[2:3], s[2:3], 0x0
	s_load_dwordx2 s[4:5], s[4:5], 0x0
	v_cmp_lt_i64_e64 s8, s[12:13], 1
	s_ashr_i32 s7, s6, 31
	s_ashr_i32 s11, s10, 31
	s_lshl_b64 s[6:7], s[6:7], 6
	s_and_b32 vcc_lo, exec_lo, s8
	s_lshl_b64 s[8:9], s[10:11], 6
	s_cbranch_vccnz .LBB6_3
; %bb.1:
	v_lshl_add_u32 v2, v1, 4, v0
	s_add_u32 s10, s16, s0
	v_and_b32_e32 v4, 3, v0
	s_addc_u32 s11, s17, s1
	s_add_u32 s0, s22, s0
	v_lshrrev_b32_e32 v5, 2, v2
	v_and_b32_e32 v7, 63, v2
	v_lshrrev_b32_e32 v8, 6, v2
	v_lshlrev_b32_e32 v10, 3, v4
	s_addc_u32 s1, s23, s1
	v_add_co_u32 v3, s16, v5, s8
	v_add_co_ci_u32_e64 v6, null, 0, s9, s16
	v_add_co_u32 v4, s16, s6, v7
	v_mul_lo_u32 v9, s25, v3
	v_mul_lo_u32 v6, s24, v6
	v_mad_u64_u32 v[2:3], null, s24, v3, 0
	v_add_co_ci_u32_e64 v11, null, s7, 0, s16
	v_lshl_or_b32 v12, v5, 5, v10
	s_load_dwordx2 s[0:1], s[0:1], 0x0
	v_lshlrev_b32_e32 v7, 3, v7
	s_load_dwordx2 s[10:11], s[10:11], 0x0
	v_add3_u32 v3, v3, v6, v9
	v_mul_lo_u32 v6, s19, v4
	v_mul_lo_u32 v9, s18, v11
	v_mad_u64_u32 v[4:5], null, s18, v4, 0
	v_lshlrev_b64 v[2:3], 3, v[2:3]
	s_lshl_b64 s[16:17], s[26:27], 3
	v_lshl_or_b32 v38, v8, 9, v7
	v_add_nc_u32_e32 v39, 0x800, v12
	v_mov_b32_e32 v12, 0
	v_mov_b32_e32 v14, 0
	v_add3_u32 v5, v5, v9, v6
	v_add_co_u32 v6, vcc_lo, v2, s16
	v_add_co_ci_u32_e64 v7, null, s17, v3, vcc_lo
	v_lshlrev_b64 v[2:3], 3, v[4:5]
	v_add_co_u32 v4, vcc_lo, v6, v10
	s_lshl_b64 s[16:17], s[20:21], 3
	v_add_co_ci_u32_e64 v5, null, 0, v7, vcc_lo
	v_add_co_u32 v2, vcc_lo, v2, s16
	v_lshlrev_b32_e32 v6, 3, v8
	v_add_co_ci_u32_e64 v3, null, s17, v3, vcc_lo
	s_waitcnt lgkmcnt(0)
	v_add_co_u32 v34, vcc_lo, s0, v4
	v_add_co_ci_u32_e64 v35, null, s1, v5, vcc_lo
	v_add_co_u32 v36, vcc_lo, v2, v6
	v_add_co_ci_u32_e64 v37, null, 0, v3, vcc_lo
	v_mov_b32_e32 v2, 0
	v_add_co_u32 v36, vcc_lo, s10, v36
	v_mov_b32_e32 v4, 0
	v_mov_b32_e32 v6, 0
	;; [unrolled: 1-line block ×13, first 2 shown]
	v_lshlrev_b32_e32 v40, 3, v0
	v_lshl_add_u32 v41, v1, 5, 0x800
	v_mov_b32_e32 v3, 0
	v_mov_b32_e32 v5, 0
	;; [unrolled: 1-line block ×16, first 2 shown]
	v_add_co_ci_u32_e64 v37, null, s11, v37, vcc_lo
	s_mov_b64 s[10:11], 0
.LBB6_2:                                ; =>This Inner Loop Header: Depth=1
	flat_load_dwordx2 v[42:43], v[36:37]
	s_add_u32 s10, s10, 4
	s_addc_u32 s11, s11, 0
	v_add_co_u32 v36, vcc_lo, v36, 32
	v_cmp_lt_i64_e64 s0, s[10:11], s[12:13]
	v_add_co_ci_u32_e64 v37, null, 0, v37, vcc_lo
	s_and_b32 vcc_lo, exec_lo, s0
	s_waitcnt vmcnt(0) lgkmcnt(0)
	ds_write_b64 v38, v[42:43]
	flat_load_dwordx2 v[42:43], v[34:35]
	v_add_co_u32 v34, s0, v34, 32
	v_add_co_ci_u32_e64 v35, null, 0, v35, s0
	s_waitcnt vmcnt(0) lgkmcnt(0)
	ds_write_b64 v39, v[42:43]
	s_waitcnt lgkmcnt(0)
	s_barrier
	buffer_gl0_inv
	ds_read_b128 v[42:45], v41
	ds_read2_b64 v[46:49], v40 offset1:16
	ds_read_b128 v[50:53], v41 offset:512
	ds_read_b128 v[54:57], v41 offset:16
	;; [unrolled: 1-line block ×3, first 2 shown]
	s_waitcnt lgkmcnt(3)
	v_fma_f64 v[70:71], v[46:47], v[42:43], v[30:31]
	v_fma_f64 v[72:73], v[48:49], v[42:43], v[26:27]
	s_waitcnt lgkmcnt(2)
	v_fma_f64 v[74:75], v[46:47], v[50:51], v[32:33]
	v_fma_f64 v[76:77], v[48:49], v[50:51], v[28:29]
	ds_read_b128 v[26:29], v41 offset:1024
	ds_read_b128 v[62:65], v41 offset:1040
	ds_read_b128 v[30:33], v41 offset:1536
	ds_read_b128 v[66:69], v41 offset:1552
	s_waitcnt lgkmcnt(3)
	v_fma_f64 v[22:23], v[46:47], v[26:27], v[22:23]
	v_fma_f64 v[14:15], v[48:49], v[26:27], v[14:15]
	s_waitcnt lgkmcnt(1)
	v_fma_f64 v[46:47], v[46:47], v[30:31], v[8:9]
	v_fma_f64 v[48:49], v[48:49], v[30:31], v[6:7]
	ds_read2_b64 v[6:9], v40 offset0:32 offset1:48
	s_waitcnt lgkmcnt(0)
	v_fma_f64 v[18:19], v[6:7], v[42:43], v[18:19]
	v_fma_f64 v[16:17], v[8:9], v[42:43], v[16:17]
	;; [unrolled: 1-line block ×8, first 2 shown]
	ds_read2_b64 v[2:5], v40 offset0:64 offset1:80
	ds_read2_b64 v[6:9], v40 offset0:96 offset1:112
	s_waitcnt lgkmcnt(1)
	v_fma_f64 v[42:43], v[2:3], v[44:45], v[70:71]
	v_fma_f64 v[50:51], v[4:5], v[44:45], v[72:73]
	s_waitcnt lgkmcnt(0)
	v_fma_f64 v[18:19], v[6:7], v[44:45], v[18:19]
	v_fma_f64 v[16:17], v[8:9], v[44:45], v[16:17]
	;; [unrolled: 1-line block ×10, first 2 shown]
	ds_read2_b64 v[2:5], v40 offset0:128 offset1:144
	v_fma_f64 v[24:25], v[6:7], v[52:53], v[24:25]
	v_fma_f64 v[20:21], v[8:9], v[52:53], v[20:21]
	;; [unrolled: 1-line block ×4, first 2 shown]
	s_waitcnt lgkmcnt(0)
	v_fma_f64 v[26:27], v[2:3], v[54:55], v[42:43]
	v_fma_f64 v[32:33], v[4:5], v[54:55], v[50:51]
	;; [unrolled: 1-line block ×8, first 2 shown]
	ds_read2_b64 v[2:5], v40 offset0:160 offset1:176
	ds_read2_b64 v[42:45], v40 offset0:224 offset1:240
	s_waitcnt lgkmcnt(1)
	v_fma_f64 v[18:19], v[2:3], v[54:55], v[18:19]
	v_fma_f64 v[16:17], v[4:5], v[54:55], v[16:17]
	;; [unrolled: 1-line block ×8, first 2 shown]
	ds_read2_b64 v[2:5], v40 offset0:192 offset1:208
	s_waitcnt lgkmcnt(0)
	s_barrier
	buffer_gl0_inv
	v_fma_f64 v[18:19], v[42:43], v[56:57], v[18:19]
	v_fma_f64 v[16:17], v[44:45], v[56:57], v[16:17]
	;; [unrolled: 1-line block ×16, first 2 shown]
	s_cbranch_vccnz .LBB6_2
	s_branch .LBB6_4
.LBB6_3:
	v_mov_b32_e32 v30, 0
	v_mov_b32_e32 v26, 0
	;; [unrolled: 1-line block ×32, first 2 shown]
.LBB6_4:
	v_cmp_neq_f64_e64 s10, s[36:37], 0
	v_add_co_u32 v34, s8, s8, v1
	v_add_co_ci_u32_e64 v37, null, s9, 0, s8
	v_add_co_u32 v0, s6, s6, v0
	v_add_co_ci_u32_e64 v1, null, s7, 0, s6
	v_mul_lo_u32 v35, v37, s46
	v_mul_lo_u32 v36, v34, s47
	s_lshl_b64 s[0:1], s[48:49], 3
	v_lshlrev_b64 v[0:1], 3, v[0:1]
	s_waitcnt lgkmcnt(0)
	s_add_u32 s0, s4, s0
	s_addc_u32 s1, s5, s1
	s_and_b32 vcc_lo, exec_lo, s10
	s_cbranch_vccnz .LBB6_8
; %bb.5:
	v_mad_u64_u32 v[38:39], null, v34, s46, 0
	v_mul_f64 v[40:41], s[14:15], v[30:31]
	v_mul_f64 v[42:43], s[14:15], v[26:27]
	;; [unrolled: 1-line block ×6, first 2 shown]
	v_add3_u32 v39, v39, v36, v35
	v_mul_f64 v[52:53], s[14:15], v[24:25]
	s_lshl_b64 s[4:5], s[46:47], 7
	v_lshlrev_b64 v[38:39], 3, v[38:39]
	v_add_co_u32 v54, vcc_lo, s0, v38
	v_add_co_ci_u32_e64 v55, null, s1, v39, vcc_lo
	v_mul_f64 v[38:39], s[14:15], v[20:21]
	v_add_co_u32 v58, vcc_lo, v54, s4
	v_add_co_ci_u32_e64 v59, null, s5, v55, vcc_lo
	v_add_co_u32 v54, vcc_lo, v54, v0
	v_add_co_ci_u32_e64 v55, null, v55, v1, vcc_lo
	;; [unrolled: 2-line block ×3, first 2 shown]
	flat_store_dwordx2 v[54:55], v[40:41]
	flat_store_dwordx2 v[54:55], v[42:43] offset:128
	flat_store_dwordx2 v[54:55], v[44:45] offset:256
	;; [unrolled: 1-line block ×3, first 2 shown]
	flat_store_dwordx2 v[56:57], v[48:49]
	flat_store_dwordx2 v[56:57], v[50:51] offset:128
	flat_store_dwordx2 v[56:57], v[52:53] offset:256
	v_mul_f64 v[40:41], s[14:15], v[22:23]
	v_mul_f64 v[54:55], s[14:15], v[2:3]
	;; [unrolled: 1-line block ×7, first 2 shown]
	v_add_co_u32 v58, vcc_lo, v58, s4
	v_mul_f64 v[52:53], s[14:15], v[4:5]
	v_add_co_ci_u32_e64 v59, null, s5, v59, vcc_lo
	flat_store_dwordx2 v[56:57], v[38:39] offset:384
	v_add_co_u32 v56, vcc_lo, v58, s4
	v_add_co_ci_u32_e64 v57, null, s5, v59, vcc_lo
	v_add_co_u32 v38, vcc_lo, v58, v0
	v_add_co_ci_u32_e64 v39, null, v59, v1, vcc_lo
	;; [unrolled: 2-line block ×3, first 2 shown]
	flat_store_dwordx2 v[38:39], v[40:41]
	flat_store_dwordx2 v[38:39], v[42:43] offset:128
	flat_store_dwordx2 v[38:39], v[44:45] offset:256
	;; [unrolled: 1-line block ×3, first 2 shown]
	flat_store_dwordx2 v[56:57], v[48:49]
	flat_store_dwordx2 v[56:57], v[50:51] offset:128
	flat_store_dwordx2 v[56:57], v[52:53] offset:256
	;; [unrolled: 1-line block ×3, first 2 shown]
	s_cbranch_execnz .LBB6_7
.LBB6_6:
	v_mul_lo_u32 v39, v37, s40
	v_mul_lo_u32 v40, v34, s41
	v_mad_u64_u32 v[37:38], null, v34, s40, 0
	s_lshl_b64 s[4:5], s[42:43], 3
	v_mad_u64_u32 v[41:42], null, v34, s46, 0
	s_add_u32 s2, s2, s4
	s_addc_u32 s3, s3, s5
	v_add3_u32 v38, v38, v40, v39
	v_add3_u32 v42, v42, v36, v35
	v_lshlrev_b64 v[37:38], 3, v[37:38]
	v_lshlrev_b64 v[34:35], 3, v[41:42]
	v_add_co_u32 v43, vcc_lo, s2, v37
	v_add_co_ci_u32_e64 v44, null, s3, v38, vcc_lo
	s_lshl_b64 s[2:3], s[46:47], 7
	v_add_co_u32 v37, vcc_lo, v43, v0
	v_add_co_ci_u32_e64 v38, null, v44, v1, vcc_lo
	v_add_co_u32 v36, vcc_lo, s0, v34
	flat_load_dwordx2 v[39:40], v[37:38]
	s_waitcnt vmcnt(0) lgkmcnt(0)
	v_mul_f64 v[39:40], s[36:37], v[39:40]
	v_fma_f64 v[30:31], s[14:15], v[30:31], v[39:40]
	v_add_co_ci_u32_e64 v39, null, s1, v35, vcc_lo
	v_add_co_u32 v34, vcc_lo, v36, v0
	s_lshl_b64 s[0:1], s[40:41], 7
	v_add_co_ci_u32_e64 v35, null, v39, v1, vcc_lo
	flat_store_dwordx2 v[34:35], v[30:31]
	flat_load_dwordx2 v[30:31], v[37:38] offset:128
	s_waitcnt vmcnt(0) lgkmcnt(0)
	v_mul_f64 v[30:31], s[36:37], v[30:31]
	v_fma_f64 v[26:27], s[14:15], v[26:27], v[30:31]
	v_add_co_u32 v30, vcc_lo, v43, s0
	v_add_co_ci_u32_e64 v31, null, s1, v44, vcc_lo
	flat_store_dwordx2 v[34:35], v[26:27] offset:128
	flat_load_dwordx2 v[26:27], v[37:38] offset:256
	s_waitcnt vmcnt(0) lgkmcnt(0)
	v_mul_f64 v[26:27], s[36:37], v[26:27]
	v_fma_f64 v[18:19], s[14:15], v[18:19], v[26:27]
	flat_store_dwordx2 v[34:35], v[18:19] offset:256
	flat_load_dwordx2 v[18:19], v[37:38] offset:384
	s_waitcnt vmcnt(0) lgkmcnt(0)
	v_mul_f64 v[18:19], s[36:37], v[18:19]
	v_fma_f64 v[16:17], s[14:15], v[16:17], v[18:19]
	v_add_co_u32 v18, vcc_lo, v30, v0
	v_add_co_ci_u32_e64 v19, null, v31, v1, vcc_lo
	flat_store_dwordx2 v[34:35], v[16:17] offset:384
	flat_load_dwordx2 v[16:17], v[18:19]
	s_waitcnt vmcnt(0) lgkmcnt(0)
	v_mul_f64 v[16:17], s[36:37], v[16:17]
	v_fma_f64 v[16:17], s[14:15], v[32:33], v[16:17]
	v_add_co_u32 v32, vcc_lo, v36, s2
	v_add_co_ci_u32_e64 v33, null, s3, v39, vcc_lo
	v_add_co_u32 v26, vcc_lo, v32, v0
	v_add_co_ci_u32_e64 v27, null, v33, v1, vcc_lo
	flat_store_dwordx2 v[26:27], v[16:17]
	flat_load_dwordx2 v[16:17], v[18:19] offset:128
	s_waitcnt vmcnt(0) lgkmcnt(0)
	v_mul_f64 v[16:17], s[36:37], v[16:17]
	v_fma_f64 v[16:17], s[14:15], v[28:29], v[16:17]
	flat_store_dwordx2 v[26:27], v[16:17] offset:128
	flat_load_dwordx2 v[16:17], v[18:19] offset:256
	s_waitcnt vmcnt(0) lgkmcnt(0)
	v_mul_f64 v[16:17], s[36:37], v[16:17]
	v_fma_f64 v[16:17], s[14:15], v[24:25], v[16:17]
	v_add_co_u32 v24, vcc_lo, v30, s0
	v_add_co_ci_u32_e64 v25, null, s1, v31, vcc_lo
	flat_store_dwordx2 v[26:27], v[16:17] offset:256
	flat_load_dwordx2 v[16:17], v[18:19] offset:384
	v_add_co_u32 v18, vcc_lo, v24, v0
	v_add_co_ci_u32_e64 v19, null, v25, v1, vcc_lo
	s_waitcnt vmcnt(0) lgkmcnt(0)
	v_mul_f64 v[16:17], s[36:37], v[16:17]
	v_fma_f64 v[16:17], s[14:15], v[20:21], v[16:17]
	flat_store_dwordx2 v[26:27], v[16:17] offset:384
	flat_load_dwordx2 v[16:17], v[18:19]
	s_waitcnt vmcnt(0) lgkmcnt(0)
	v_mul_f64 v[16:17], s[36:37], v[16:17]
	v_fma_f64 v[16:17], s[14:15], v[22:23], v[16:17]
	v_add_co_u32 v22, vcc_lo, v32, s2
	v_add_co_ci_u32_e64 v23, null, s3, v33, vcc_lo
	v_add_co_u32 v20, vcc_lo, v22, v0
	v_add_co_ci_u32_e64 v21, null, v23, v1, vcc_lo
	flat_store_dwordx2 v[20:21], v[16:17]
	flat_load_dwordx2 v[16:17], v[18:19] offset:128
	s_waitcnt vmcnt(0) lgkmcnt(0)
	v_mul_f64 v[16:17], s[36:37], v[16:17]
	v_fma_f64 v[14:15], s[14:15], v[14:15], v[16:17]
	flat_store_dwordx2 v[20:21], v[14:15] offset:128
	flat_load_dwordx2 v[14:15], v[18:19] offset:256
	s_waitcnt vmcnt(0) lgkmcnt(0)
	v_mul_f64 v[14:15], s[36:37], v[14:15]
	v_fma_f64 v[12:13], s[14:15], v[12:13], v[14:15]
	flat_store_dwordx2 v[20:21], v[12:13] offset:256
	flat_load_dwordx2 v[12:13], v[18:19] offset:384
	s_waitcnt vmcnt(0) lgkmcnt(0)
	v_mul_f64 v[12:13], s[36:37], v[12:13]
	v_fma_f64 v[10:11], s[14:15], v[10:11], v[12:13]
	v_add_co_u32 v12, vcc_lo, v24, s0
	v_add_co_ci_u32_e64 v13, null, s1, v25, vcc_lo
	v_add_co_u32 v12, vcc_lo, v12, v0
	v_add_co_ci_u32_e64 v13, null, v13, v1, vcc_lo
	flat_store_dwordx2 v[20:21], v[10:11] offset:384
	flat_load_dwordx2 v[10:11], v[12:13]
	s_waitcnt vmcnt(0) lgkmcnt(0)
	v_mul_f64 v[10:11], s[36:37], v[10:11]
	v_fma_f64 v[8:9], s[14:15], v[8:9], v[10:11]
	v_add_co_u32 v10, vcc_lo, v22, s2
	v_add_co_ci_u32_e64 v11, null, s3, v23, vcc_lo
	v_add_co_u32 v0, vcc_lo, v10, v0
	v_add_co_ci_u32_e64 v1, null, v11, v1, vcc_lo
	flat_store_dwordx2 v[0:1], v[8:9]
	flat_load_dwordx2 v[8:9], v[12:13] offset:128
	s_waitcnt vmcnt(0) lgkmcnt(0)
	v_mul_f64 v[8:9], s[36:37], v[8:9]
	v_fma_f64 v[6:7], s[14:15], v[6:7], v[8:9]
	flat_store_dwordx2 v[0:1], v[6:7] offset:128
	flat_load_dwordx2 v[6:7], v[12:13] offset:256
	s_waitcnt vmcnt(0) lgkmcnt(0)
	v_mul_f64 v[6:7], s[36:37], v[6:7]
	v_fma_f64 v[4:5], s[14:15], v[4:5], v[6:7]
	flat_store_dwordx2 v[0:1], v[4:5] offset:256
	;; [unrolled: 5-line block ×3, first 2 shown]
.LBB6_7:
	s_endpgm
.LBB6_8:
	s_branch .LBB6_6
	.section	.rodata,"a",@progbits
	.p2align	6, 0x0
	.amdhsa_kernel _ZN12_GLOBAL__N_127rocblas_gemm_batched_kernelIdLi16ELi16ELi64ELi64ELi4ELi64ELi4ELi4ELi64ELc67ELc78EKPKdS3_KPdEEvlllT_PT11_llS8_llS6_PT12_llPT13_lli
		.amdhsa_group_segment_fixed_size 4096
		.amdhsa_private_segment_fixed_size 0
		.amdhsa_kernarg_size 140
		.amdhsa_user_sgpr_count 6
		.amdhsa_user_sgpr_private_segment_buffer 1
		.amdhsa_user_sgpr_dispatch_ptr 0
		.amdhsa_user_sgpr_queue_ptr 0
		.amdhsa_user_sgpr_kernarg_segment_ptr 1
		.amdhsa_user_sgpr_dispatch_id 0
		.amdhsa_user_sgpr_flat_scratch_init 0
		.amdhsa_user_sgpr_private_segment_size 0
		.amdhsa_wavefront_size32 1
		.amdhsa_uses_dynamic_stack 0
		.amdhsa_system_sgpr_private_segment_wavefront_offset 0
		.amdhsa_system_sgpr_workgroup_id_x 1
		.amdhsa_system_sgpr_workgroup_id_y 1
		.amdhsa_system_sgpr_workgroup_id_z 1
		.amdhsa_system_sgpr_workgroup_info 0
		.amdhsa_system_vgpr_workitem_id 1
		.amdhsa_next_free_vgpr 78
		.amdhsa_next_free_sgpr 52
		.amdhsa_reserve_vcc 1
		.amdhsa_reserve_flat_scratch 0
		.amdhsa_float_round_mode_32 0
		.amdhsa_float_round_mode_16_64 0
		.amdhsa_float_denorm_mode_32 3
		.amdhsa_float_denorm_mode_16_64 3
		.amdhsa_dx10_clamp 1
		.amdhsa_ieee_mode 1
		.amdhsa_fp16_overflow 0
		.amdhsa_workgroup_processor_mode 1
		.amdhsa_memory_ordered 1
		.amdhsa_forward_progress 1
		.amdhsa_shared_vgpr_count 0
		.amdhsa_exception_fp_ieee_invalid_op 0
		.amdhsa_exception_fp_denorm_src 0
		.amdhsa_exception_fp_ieee_div_zero 0
		.amdhsa_exception_fp_ieee_overflow 0
		.amdhsa_exception_fp_ieee_underflow 0
		.amdhsa_exception_fp_ieee_inexact 0
		.amdhsa_exception_int_div_zero 0
	.end_amdhsa_kernel
	.section	.text._ZN12_GLOBAL__N_127rocblas_gemm_batched_kernelIdLi16ELi16ELi64ELi64ELi4ELi64ELi4ELi4ELi64ELc67ELc78EKPKdS3_KPdEEvlllT_PT11_llS8_llS6_PT12_llPT13_lli,"axG",@progbits,_ZN12_GLOBAL__N_127rocblas_gemm_batched_kernelIdLi16ELi16ELi64ELi64ELi4ELi64ELi4ELi4ELi64ELc67ELc78EKPKdS3_KPdEEvlllT_PT11_llS8_llS6_PT12_llPT13_lli,comdat
.Lfunc_end6:
	.size	_ZN12_GLOBAL__N_127rocblas_gemm_batched_kernelIdLi16ELi16ELi64ELi64ELi4ELi64ELi4ELi4ELi64ELc67ELc78EKPKdS3_KPdEEvlllT_PT11_llS8_llS6_PT12_llPT13_lli, .Lfunc_end6-_ZN12_GLOBAL__N_127rocblas_gemm_batched_kernelIdLi16ELi16ELi64ELi64ELi4ELi64ELi4ELi4ELi64ELc67ELc78EKPKdS3_KPdEEvlllT_PT11_llS8_llS6_PT12_llPT13_lli
                                        ; -- End function
	.set _ZN12_GLOBAL__N_127rocblas_gemm_batched_kernelIdLi16ELi16ELi64ELi64ELi4ELi64ELi4ELi4ELi64ELc67ELc78EKPKdS3_KPdEEvlllT_PT11_llS8_llS6_PT12_llPT13_lli.num_vgpr, 78
	.set _ZN12_GLOBAL__N_127rocblas_gemm_batched_kernelIdLi16ELi16ELi64ELi64ELi4ELi64ELi4ELi4ELi64ELc67ELc78EKPKdS3_KPdEEvlllT_PT11_llS8_llS6_PT12_llPT13_lli.num_agpr, 0
	.set _ZN12_GLOBAL__N_127rocblas_gemm_batched_kernelIdLi16ELi16ELi64ELi64ELi4ELi64ELi4ELi4ELi64ELc67ELc78EKPKdS3_KPdEEvlllT_PT11_llS8_llS6_PT12_llPT13_lli.numbered_sgpr, 52
	.set _ZN12_GLOBAL__N_127rocblas_gemm_batched_kernelIdLi16ELi16ELi64ELi64ELi4ELi64ELi4ELi4ELi64ELc67ELc78EKPKdS3_KPdEEvlllT_PT11_llS8_llS6_PT12_llPT13_lli.num_named_barrier, 0
	.set _ZN12_GLOBAL__N_127rocblas_gemm_batched_kernelIdLi16ELi16ELi64ELi64ELi4ELi64ELi4ELi4ELi64ELc67ELc78EKPKdS3_KPdEEvlllT_PT11_llS8_llS6_PT12_llPT13_lli.private_seg_size, 0
	.set _ZN12_GLOBAL__N_127rocblas_gemm_batched_kernelIdLi16ELi16ELi64ELi64ELi4ELi64ELi4ELi4ELi64ELc67ELc78EKPKdS3_KPdEEvlllT_PT11_llS8_llS6_PT12_llPT13_lli.uses_vcc, 1
	.set _ZN12_GLOBAL__N_127rocblas_gemm_batched_kernelIdLi16ELi16ELi64ELi64ELi4ELi64ELi4ELi4ELi64ELc67ELc78EKPKdS3_KPdEEvlllT_PT11_llS8_llS6_PT12_llPT13_lli.uses_flat_scratch, 0
	.set _ZN12_GLOBAL__N_127rocblas_gemm_batched_kernelIdLi16ELi16ELi64ELi64ELi4ELi64ELi4ELi4ELi64ELc67ELc78EKPKdS3_KPdEEvlllT_PT11_llS8_llS6_PT12_llPT13_lli.has_dyn_sized_stack, 0
	.set _ZN12_GLOBAL__N_127rocblas_gemm_batched_kernelIdLi16ELi16ELi64ELi64ELi4ELi64ELi4ELi4ELi64ELc67ELc78EKPKdS3_KPdEEvlllT_PT11_llS8_llS6_PT12_llPT13_lli.has_recursion, 0
	.set _ZN12_GLOBAL__N_127rocblas_gemm_batched_kernelIdLi16ELi16ELi64ELi64ELi4ELi64ELi4ELi4ELi64ELc67ELc78EKPKdS3_KPdEEvlllT_PT11_llS8_llS6_PT12_llPT13_lli.has_indirect_call, 0
	.section	.AMDGPU.csdata,"",@progbits
; Kernel info:
; codeLenInByte = 2932
; TotalNumSgprs: 54
; NumVgprs: 78
; ScratchSize: 0
; MemoryBound: 0
; FloatMode: 240
; IeeeMode: 1
; LDSByteSize: 4096 bytes/workgroup (compile time only)
; SGPRBlocks: 0
; VGPRBlocks: 9
; NumSGPRsForWavesPerEU: 54
; NumVGPRsForWavesPerEU: 78
; Occupancy: 12
; WaveLimiterHint : 1
; COMPUTE_PGM_RSRC2:SCRATCH_EN: 0
; COMPUTE_PGM_RSRC2:USER_SGPR: 6
; COMPUTE_PGM_RSRC2:TRAP_HANDLER: 0
; COMPUTE_PGM_RSRC2:TGID_X_EN: 1
; COMPUTE_PGM_RSRC2:TGID_Y_EN: 1
; COMPUTE_PGM_RSRC2:TGID_Z_EN: 1
; COMPUTE_PGM_RSRC2:TIDIG_COMP_CNT: 1
	.section	.text._ZN12_GLOBAL__N_127rocblas_gemm_batched_kernelIdLi16ELi16ELi64ELi64ELi4ELi64ELi4ELi4ELi64ELc67ELc84EKPKdS3_KPdEEvlllT_PT11_llS8_llS6_PT12_llPT13_lli,"axG",@progbits,_ZN12_GLOBAL__N_127rocblas_gemm_batched_kernelIdLi16ELi16ELi64ELi64ELi4ELi64ELi4ELi4ELi64ELc67ELc84EKPKdS3_KPdEEvlllT_PT11_llS8_llS6_PT12_llPT13_lli,comdat
	.globl	_ZN12_GLOBAL__N_127rocblas_gemm_batched_kernelIdLi16ELi16ELi64ELi64ELi4ELi64ELi4ELi4ELi64ELc67ELc84EKPKdS3_KPdEEvlllT_PT11_llS8_llS6_PT12_llPT13_lli ; -- Begin function _ZN12_GLOBAL__N_127rocblas_gemm_batched_kernelIdLi16ELi16ELi64ELi64ELi4ELi64ELi4ELi4ELi64ELc67ELc84EKPKdS3_KPdEEvlllT_PT11_llS8_llS6_PT12_llPT13_lli
	.p2align	8
	.type	_ZN12_GLOBAL__N_127rocblas_gemm_batched_kernelIdLi16ELi16ELi64ELi64ELi4ELi64ELi4ELi4ELi64ELc67ELc84EKPKdS3_KPdEEvlllT_PT11_llS8_llS6_PT12_llPT13_lli,@function
_ZN12_GLOBAL__N_127rocblas_gemm_batched_kernelIdLi16ELi16ELi64ELi64ELi4ELi64ELi4ELi4ELi64ELc67ELc84EKPKdS3_KPdEEvlllT_PT11_llS8_llS6_PT12_llPT13_lli: ; @_ZN12_GLOBAL__N_127rocblas_gemm_batched_kernelIdLi16ELi16ELi64ELi64ELi4ELi64ELi4ELi4ELi64ELc67ELc84EKPKdS3_KPdEEvlllT_PT11_llS8_llS6_PT12_llPT13_lli
; %bb.0:
	s_clause 0x2
	s_load_dwordx8 s[36:43], s[4:5], 0x50
	s_load_dwordx8 s[44:51], s[4:5], 0x70
	s_load_dwordx16 s[12:27], s[4:5], 0x10
	s_mov_b32 s9, 0
	s_mov_b32 s10, s7
	s_lshl_b64 s[0:1], s[8:9], 3
	v_mov_b32_e32 v3, 0
	s_waitcnt lgkmcnt(0)
	s_add_u32 s2, s38, s0
	s_addc_u32 s3, s39, s1
	s_add_u32 s4, s44, s0
	s_addc_u32 s5, s45, s1
	s_load_dwordx2 s[2:3], s[2:3], 0x0
	s_load_dwordx2 s[4:5], s[4:5], 0x0
	v_cmp_lt_i64_e64 s8, s[12:13], 1
	s_ashr_i32 s7, s6, 31
	s_ashr_i32 s11, s10, 31
	s_lshl_b64 s[6:7], s[6:7], 6
	s_and_b32 vcc_lo, exec_lo, s8
	s_lshl_b64 s[8:9], s[10:11], 6
	s_cbranch_vccnz .LBB7_3
; %bb.1:
	v_lshl_add_u32 v5, v1, 4, v0
	s_add_u32 s10, s16, s0
	v_and_b32_e32 v7, 3, v0
	s_addc_u32 s11, s17, s1
	s_add_u32 s0, s22, s0
	v_and_b32_e32 v8, 63, v5
	v_lshrrev_b32_e32 v2, 2, v5
	s_addc_u32 s1, s23, s1
	v_lshrrev_b32_e32 v10, 6, v5
	s_load_dwordx2 s[0:1], s[0:1], 0x0
	v_add_co_u32 v6, s16, s6, v8
	v_mad_u64_u32 v[3:4], null, s24, v7, v[2:3]
	v_add_co_ci_u32_e64 v9, null, s7, 0, s16
	v_mul_lo_u32 v12, s19, v6
	v_mad_u64_u32 v[5:6], null, s18, v6, 0
	v_lshlrev_b32_e32 v11, 3, v7
	v_mul_lo_u32 v9, s18, v9
	v_lshlrev_b32_e32 v13, 3, v8
	s_load_dwordx2 s[10:11], s[10:11], 0x0
	s_lshl_b64 s[16:17], s[26:27], 3
	v_lshl_or_b32 v2, v2, 5, v11
	v_mad_u64_u32 v[7:8], null, s25, v7, v[4:5]
	v_lshl_or_b32 v38, v10, 9, v13
	v_add3_u32 v6, v6, v9, v12
	v_add_nc_u32_e32 v39, 0x800, v2
	v_add_co_u32 v2, vcc_lo, v3, s8
	s_waitcnt lgkmcnt(0)
	s_add_u32 s16, s0, s16
	v_add_co_ci_u32_e64 v3, null, s9, v7, vcc_lo
	v_lshlrev_b64 v[4:5], 3, v[5:6]
	s_addc_u32 s17, s1, s17
	s_lshl_b64 s[0:1], s[20:21], 3
	v_lshlrev_b64 v[2:3], 3, v[2:3]
	v_lshlrev_b32_e32 v6, 3, v10
	v_mov_b32_e32 v8, 0
	v_add_co_u32 v4, vcc_lo, v4, s0
	v_add_co_ci_u32_e64 v5, null, s1, v5, vcc_lo
	v_add_co_u32 v34, vcc_lo, s16, v2
	v_add_co_ci_u32_e64 v35, null, s17, v3, vcc_lo
	;; [unrolled: 2-line block ×3, first 2 shown]
	v_mov_b32_e32 v2, 0
	v_add_co_u32 v36, vcc_lo, s10, v36
	v_mov_b32_e32 v4, 0
	v_mov_b32_e32 v6, 0
	v_mov_b32_e32 v10, 0
	v_mov_b32_e32 v12, 0
	v_mov_b32_e32 v14, 0
	v_mov_b32_e32 v22, 0
	v_mov_b32_e32 v20, 0
	v_mov_b32_e32 v24, 0
	v_mov_b32_e32 v28, 0
	v_mov_b32_e32 v32, 0
	v_mov_b32_e32 v16, 0
	v_mov_b32_e32 v18, 0
	v_mov_b32_e32 v26, 0
	v_mov_b32_e32 v30, 0
	v_lshlrev_b32_e32 v40, 3, v0
	v_lshl_add_u32 v41, v1, 5, 0x800
	v_mov_b32_e32 v3, 0
	v_mov_b32_e32 v5, 0
	;; [unrolled: 1-line block ×16, first 2 shown]
	v_add_co_ci_u32_e64 v37, null, s11, v37, vcc_lo
	s_lshl_b64 s[10:11], s[24:25], 5
	s_mov_b64 s[16:17], 0
.LBB7_2:                                ; =>This Inner Loop Header: Depth=1
	flat_load_dwordx2 v[42:43], v[36:37]
	s_add_u32 s16, s16, 4
	s_addc_u32 s17, s17, 0
	v_add_co_u32 v36, vcc_lo, v36, 32
	v_cmp_lt_i64_e64 s0, s[16:17], s[12:13]
	v_add_co_ci_u32_e64 v37, null, 0, v37, vcc_lo
	s_and_b32 vcc_lo, exec_lo, s0
	s_waitcnt vmcnt(0) lgkmcnt(0)
	ds_write_b64 v38, v[42:43]
	flat_load_dwordx2 v[42:43], v[34:35]
	v_add_co_u32 v34, s0, v34, s10
	v_add_co_ci_u32_e64 v35, null, s11, v35, s0
	s_waitcnt vmcnt(0) lgkmcnt(0)
	ds_write_b64 v39, v[42:43]
	s_waitcnt lgkmcnt(0)
	s_barrier
	buffer_gl0_inv
	ds_read_b128 v[42:45], v41
	ds_read2_b64 v[46:49], v40 offset1:16
	ds_read_b128 v[50:53], v41 offset:512
	ds_read_b128 v[54:57], v41 offset:16
	;; [unrolled: 1-line block ×3, first 2 shown]
	s_waitcnt lgkmcnt(3)
	v_fma_f64 v[70:71], v[46:47], v[42:43], v[30:31]
	v_fma_f64 v[72:73], v[48:49], v[42:43], v[26:27]
	s_waitcnt lgkmcnt(2)
	v_fma_f64 v[74:75], v[46:47], v[50:51], v[32:33]
	v_fma_f64 v[76:77], v[48:49], v[50:51], v[28:29]
	ds_read_b128 v[26:29], v41 offset:1024
	ds_read_b128 v[62:65], v41 offset:1040
	;; [unrolled: 1-line block ×4, first 2 shown]
	s_waitcnt lgkmcnt(3)
	v_fma_f64 v[22:23], v[46:47], v[26:27], v[22:23]
	v_fma_f64 v[14:15], v[48:49], v[26:27], v[14:15]
	s_waitcnt lgkmcnt(1)
	v_fma_f64 v[46:47], v[46:47], v[30:31], v[8:9]
	v_fma_f64 v[48:49], v[48:49], v[30:31], v[6:7]
	ds_read2_b64 v[6:9], v40 offset0:32 offset1:48
	s_waitcnt lgkmcnt(0)
	v_fma_f64 v[18:19], v[6:7], v[42:43], v[18:19]
	v_fma_f64 v[16:17], v[8:9], v[42:43], v[16:17]
	;; [unrolled: 1-line block ×8, first 2 shown]
	ds_read2_b64 v[2:5], v40 offset0:64 offset1:80
	ds_read2_b64 v[6:9], v40 offset0:96 offset1:112
	s_waitcnt lgkmcnt(1)
	v_fma_f64 v[42:43], v[2:3], v[44:45], v[70:71]
	v_fma_f64 v[50:51], v[4:5], v[44:45], v[72:73]
	s_waitcnt lgkmcnt(0)
	v_fma_f64 v[18:19], v[6:7], v[44:45], v[18:19]
	v_fma_f64 v[16:17], v[8:9], v[44:45], v[16:17]
	;; [unrolled: 1-line block ×10, first 2 shown]
	ds_read2_b64 v[2:5], v40 offset0:128 offset1:144
	v_fma_f64 v[24:25], v[6:7], v[52:53], v[24:25]
	v_fma_f64 v[20:21], v[8:9], v[52:53], v[20:21]
	;; [unrolled: 1-line block ×4, first 2 shown]
	s_waitcnt lgkmcnt(0)
	v_fma_f64 v[26:27], v[2:3], v[54:55], v[42:43]
	v_fma_f64 v[32:33], v[4:5], v[54:55], v[50:51]
	;; [unrolled: 1-line block ×8, first 2 shown]
	ds_read2_b64 v[2:5], v40 offset0:160 offset1:176
	ds_read2_b64 v[42:45], v40 offset0:224 offset1:240
	s_waitcnt lgkmcnt(1)
	v_fma_f64 v[18:19], v[2:3], v[54:55], v[18:19]
	v_fma_f64 v[16:17], v[4:5], v[54:55], v[16:17]
	v_fma_f64 v[24:25], v[2:3], v[58:59], v[24:25]
	v_fma_f64 v[20:21], v[4:5], v[58:59], v[20:21]
	v_fma_f64 v[12:13], v[2:3], v[62:63], v[12:13]
	v_fma_f64 v[10:11], v[4:5], v[62:63], v[10:11]
	v_fma_f64 v[54:55], v[2:3], v[66:67], v[6:7]
	v_fma_f64 v[58:59], v[4:5], v[66:67], v[8:9]
	ds_read2_b64 v[2:5], v40 offset0:192 offset1:208
	s_waitcnt lgkmcnt(0)
	s_barrier
	buffer_gl0_inv
	v_fma_f64 v[18:19], v[42:43], v[56:57], v[18:19]
	v_fma_f64 v[16:17], v[44:45], v[56:57], v[16:17]
	;; [unrolled: 1-line block ×16, first 2 shown]
	s_cbranch_vccnz .LBB7_2
	s_branch .LBB7_4
.LBB7_3:
	v_mov_b32_e32 v30, 0
	v_mov_b32_e32 v26, 0
	;; [unrolled: 1-line block ×32, first 2 shown]
.LBB7_4:
	v_cmp_neq_f64_e64 s10, s[36:37], 0
	v_add_co_u32 v34, s8, s8, v1
	v_add_co_ci_u32_e64 v37, null, s9, 0, s8
	v_add_co_u32 v0, s6, s6, v0
	v_add_co_ci_u32_e64 v1, null, s7, 0, s6
	v_mul_lo_u32 v35, v37, s46
	v_mul_lo_u32 v36, v34, s47
	s_lshl_b64 s[0:1], s[48:49], 3
	v_lshlrev_b64 v[0:1], 3, v[0:1]
	s_waitcnt lgkmcnt(0)
	s_add_u32 s0, s4, s0
	s_addc_u32 s1, s5, s1
	s_and_b32 vcc_lo, exec_lo, s10
	s_cbranch_vccnz .LBB7_8
; %bb.5:
	v_mad_u64_u32 v[38:39], null, v34, s46, 0
	v_mul_f64 v[40:41], s[14:15], v[30:31]
	v_mul_f64 v[42:43], s[14:15], v[26:27]
	;; [unrolled: 1-line block ×6, first 2 shown]
	v_add3_u32 v39, v39, v36, v35
	v_mul_f64 v[52:53], s[14:15], v[24:25]
	s_lshl_b64 s[4:5], s[46:47], 7
	v_lshlrev_b64 v[38:39], 3, v[38:39]
	v_add_co_u32 v54, vcc_lo, s0, v38
	v_add_co_ci_u32_e64 v55, null, s1, v39, vcc_lo
	v_mul_f64 v[38:39], s[14:15], v[20:21]
	v_add_co_u32 v58, vcc_lo, v54, s4
	v_add_co_ci_u32_e64 v59, null, s5, v55, vcc_lo
	v_add_co_u32 v54, vcc_lo, v54, v0
	v_add_co_ci_u32_e64 v55, null, v55, v1, vcc_lo
	;; [unrolled: 2-line block ×3, first 2 shown]
	flat_store_dwordx2 v[54:55], v[40:41]
	flat_store_dwordx2 v[54:55], v[42:43] offset:128
	flat_store_dwordx2 v[54:55], v[44:45] offset:256
	;; [unrolled: 1-line block ×3, first 2 shown]
	flat_store_dwordx2 v[56:57], v[48:49]
	flat_store_dwordx2 v[56:57], v[50:51] offset:128
	flat_store_dwordx2 v[56:57], v[52:53] offset:256
	v_mul_f64 v[40:41], s[14:15], v[22:23]
	v_mul_f64 v[54:55], s[14:15], v[2:3]
	;; [unrolled: 1-line block ×7, first 2 shown]
	v_add_co_u32 v58, vcc_lo, v58, s4
	v_mul_f64 v[52:53], s[14:15], v[4:5]
	v_add_co_ci_u32_e64 v59, null, s5, v59, vcc_lo
	flat_store_dwordx2 v[56:57], v[38:39] offset:384
	v_add_co_u32 v56, vcc_lo, v58, s4
	v_add_co_ci_u32_e64 v57, null, s5, v59, vcc_lo
	v_add_co_u32 v38, vcc_lo, v58, v0
	v_add_co_ci_u32_e64 v39, null, v59, v1, vcc_lo
	;; [unrolled: 2-line block ×3, first 2 shown]
	flat_store_dwordx2 v[38:39], v[40:41]
	flat_store_dwordx2 v[38:39], v[42:43] offset:128
	flat_store_dwordx2 v[38:39], v[44:45] offset:256
	;; [unrolled: 1-line block ×3, first 2 shown]
	flat_store_dwordx2 v[56:57], v[48:49]
	flat_store_dwordx2 v[56:57], v[50:51] offset:128
	flat_store_dwordx2 v[56:57], v[52:53] offset:256
	;; [unrolled: 1-line block ×3, first 2 shown]
	s_cbranch_execnz .LBB7_7
.LBB7_6:
	v_mul_lo_u32 v39, v37, s40
	v_mul_lo_u32 v40, v34, s41
	v_mad_u64_u32 v[37:38], null, v34, s40, 0
	s_lshl_b64 s[4:5], s[42:43], 3
	v_mad_u64_u32 v[41:42], null, v34, s46, 0
	s_add_u32 s2, s2, s4
	s_addc_u32 s3, s3, s5
	v_add3_u32 v38, v38, v40, v39
	v_add3_u32 v42, v42, v36, v35
	v_lshlrev_b64 v[37:38], 3, v[37:38]
	v_lshlrev_b64 v[34:35], 3, v[41:42]
	v_add_co_u32 v43, vcc_lo, s2, v37
	v_add_co_ci_u32_e64 v44, null, s3, v38, vcc_lo
	s_lshl_b64 s[2:3], s[46:47], 7
	v_add_co_u32 v37, vcc_lo, v43, v0
	v_add_co_ci_u32_e64 v38, null, v44, v1, vcc_lo
	v_add_co_u32 v36, vcc_lo, s0, v34
	flat_load_dwordx2 v[39:40], v[37:38]
	s_waitcnt vmcnt(0) lgkmcnt(0)
	v_mul_f64 v[39:40], s[36:37], v[39:40]
	v_fma_f64 v[30:31], s[14:15], v[30:31], v[39:40]
	v_add_co_ci_u32_e64 v39, null, s1, v35, vcc_lo
	v_add_co_u32 v34, vcc_lo, v36, v0
	s_lshl_b64 s[0:1], s[40:41], 7
	v_add_co_ci_u32_e64 v35, null, v39, v1, vcc_lo
	flat_store_dwordx2 v[34:35], v[30:31]
	flat_load_dwordx2 v[30:31], v[37:38] offset:128
	s_waitcnt vmcnt(0) lgkmcnt(0)
	v_mul_f64 v[30:31], s[36:37], v[30:31]
	v_fma_f64 v[26:27], s[14:15], v[26:27], v[30:31]
	v_add_co_u32 v30, vcc_lo, v43, s0
	v_add_co_ci_u32_e64 v31, null, s1, v44, vcc_lo
	flat_store_dwordx2 v[34:35], v[26:27] offset:128
	flat_load_dwordx2 v[26:27], v[37:38] offset:256
	s_waitcnt vmcnt(0) lgkmcnt(0)
	v_mul_f64 v[26:27], s[36:37], v[26:27]
	v_fma_f64 v[18:19], s[14:15], v[18:19], v[26:27]
	flat_store_dwordx2 v[34:35], v[18:19] offset:256
	flat_load_dwordx2 v[18:19], v[37:38] offset:384
	s_waitcnt vmcnt(0) lgkmcnt(0)
	v_mul_f64 v[18:19], s[36:37], v[18:19]
	v_fma_f64 v[16:17], s[14:15], v[16:17], v[18:19]
	v_add_co_u32 v18, vcc_lo, v30, v0
	v_add_co_ci_u32_e64 v19, null, v31, v1, vcc_lo
	flat_store_dwordx2 v[34:35], v[16:17] offset:384
	flat_load_dwordx2 v[16:17], v[18:19]
	s_waitcnt vmcnt(0) lgkmcnt(0)
	v_mul_f64 v[16:17], s[36:37], v[16:17]
	v_fma_f64 v[16:17], s[14:15], v[32:33], v[16:17]
	v_add_co_u32 v32, vcc_lo, v36, s2
	v_add_co_ci_u32_e64 v33, null, s3, v39, vcc_lo
	v_add_co_u32 v26, vcc_lo, v32, v0
	v_add_co_ci_u32_e64 v27, null, v33, v1, vcc_lo
	flat_store_dwordx2 v[26:27], v[16:17]
	flat_load_dwordx2 v[16:17], v[18:19] offset:128
	s_waitcnt vmcnt(0) lgkmcnt(0)
	v_mul_f64 v[16:17], s[36:37], v[16:17]
	v_fma_f64 v[16:17], s[14:15], v[28:29], v[16:17]
	flat_store_dwordx2 v[26:27], v[16:17] offset:128
	flat_load_dwordx2 v[16:17], v[18:19] offset:256
	s_waitcnt vmcnt(0) lgkmcnt(0)
	v_mul_f64 v[16:17], s[36:37], v[16:17]
	v_fma_f64 v[16:17], s[14:15], v[24:25], v[16:17]
	v_add_co_u32 v24, vcc_lo, v30, s0
	v_add_co_ci_u32_e64 v25, null, s1, v31, vcc_lo
	flat_store_dwordx2 v[26:27], v[16:17] offset:256
	flat_load_dwordx2 v[16:17], v[18:19] offset:384
	v_add_co_u32 v18, vcc_lo, v24, v0
	v_add_co_ci_u32_e64 v19, null, v25, v1, vcc_lo
	s_waitcnt vmcnt(0) lgkmcnt(0)
	v_mul_f64 v[16:17], s[36:37], v[16:17]
	v_fma_f64 v[16:17], s[14:15], v[20:21], v[16:17]
	flat_store_dwordx2 v[26:27], v[16:17] offset:384
	flat_load_dwordx2 v[16:17], v[18:19]
	s_waitcnt vmcnt(0) lgkmcnt(0)
	v_mul_f64 v[16:17], s[36:37], v[16:17]
	v_fma_f64 v[16:17], s[14:15], v[22:23], v[16:17]
	v_add_co_u32 v22, vcc_lo, v32, s2
	v_add_co_ci_u32_e64 v23, null, s3, v33, vcc_lo
	v_add_co_u32 v20, vcc_lo, v22, v0
	v_add_co_ci_u32_e64 v21, null, v23, v1, vcc_lo
	flat_store_dwordx2 v[20:21], v[16:17]
	flat_load_dwordx2 v[16:17], v[18:19] offset:128
	s_waitcnt vmcnt(0) lgkmcnt(0)
	v_mul_f64 v[16:17], s[36:37], v[16:17]
	v_fma_f64 v[14:15], s[14:15], v[14:15], v[16:17]
	flat_store_dwordx2 v[20:21], v[14:15] offset:128
	flat_load_dwordx2 v[14:15], v[18:19] offset:256
	s_waitcnt vmcnt(0) lgkmcnt(0)
	v_mul_f64 v[14:15], s[36:37], v[14:15]
	v_fma_f64 v[12:13], s[14:15], v[12:13], v[14:15]
	flat_store_dwordx2 v[20:21], v[12:13] offset:256
	flat_load_dwordx2 v[12:13], v[18:19] offset:384
	s_waitcnt vmcnt(0) lgkmcnt(0)
	v_mul_f64 v[12:13], s[36:37], v[12:13]
	v_fma_f64 v[10:11], s[14:15], v[10:11], v[12:13]
	v_add_co_u32 v12, vcc_lo, v24, s0
	v_add_co_ci_u32_e64 v13, null, s1, v25, vcc_lo
	v_add_co_u32 v12, vcc_lo, v12, v0
	v_add_co_ci_u32_e64 v13, null, v13, v1, vcc_lo
	flat_store_dwordx2 v[20:21], v[10:11] offset:384
	flat_load_dwordx2 v[10:11], v[12:13]
	s_waitcnt vmcnt(0) lgkmcnt(0)
	v_mul_f64 v[10:11], s[36:37], v[10:11]
	v_fma_f64 v[8:9], s[14:15], v[8:9], v[10:11]
	v_add_co_u32 v10, vcc_lo, v22, s2
	v_add_co_ci_u32_e64 v11, null, s3, v23, vcc_lo
	v_add_co_u32 v0, vcc_lo, v10, v0
	v_add_co_ci_u32_e64 v1, null, v11, v1, vcc_lo
	flat_store_dwordx2 v[0:1], v[8:9]
	flat_load_dwordx2 v[8:9], v[12:13] offset:128
	s_waitcnt vmcnt(0) lgkmcnt(0)
	v_mul_f64 v[8:9], s[36:37], v[8:9]
	v_fma_f64 v[6:7], s[14:15], v[6:7], v[8:9]
	flat_store_dwordx2 v[0:1], v[6:7] offset:128
	flat_load_dwordx2 v[6:7], v[12:13] offset:256
	s_waitcnt vmcnt(0) lgkmcnt(0)
	v_mul_f64 v[6:7], s[36:37], v[6:7]
	v_fma_f64 v[4:5], s[14:15], v[4:5], v[6:7]
	flat_store_dwordx2 v[0:1], v[4:5] offset:256
	;; [unrolled: 5-line block ×3, first 2 shown]
.LBB7_7:
	s_endpgm
.LBB7_8:
	s_branch .LBB7_6
	.section	.rodata,"a",@progbits
	.p2align	6, 0x0
	.amdhsa_kernel _ZN12_GLOBAL__N_127rocblas_gemm_batched_kernelIdLi16ELi16ELi64ELi64ELi4ELi64ELi4ELi4ELi64ELc67ELc84EKPKdS3_KPdEEvlllT_PT11_llS8_llS6_PT12_llPT13_lli
		.amdhsa_group_segment_fixed_size 4096
		.amdhsa_private_segment_fixed_size 0
		.amdhsa_kernarg_size 140
		.amdhsa_user_sgpr_count 6
		.amdhsa_user_sgpr_private_segment_buffer 1
		.amdhsa_user_sgpr_dispatch_ptr 0
		.amdhsa_user_sgpr_queue_ptr 0
		.amdhsa_user_sgpr_kernarg_segment_ptr 1
		.amdhsa_user_sgpr_dispatch_id 0
		.amdhsa_user_sgpr_flat_scratch_init 0
		.amdhsa_user_sgpr_private_segment_size 0
		.amdhsa_wavefront_size32 1
		.amdhsa_uses_dynamic_stack 0
		.amdhsa_system_sgpr_private_segment_wavefront_offset 0
		.amdhsa_system_sgpr_workgroup_id_x 1
		.amdhsa_system_sgpr_workgroup_id_y 1
		.amdhsa_system_sgpr_workgroup_id_z 1
		.amdhsa_system_sgpr_workgroup_info 0
		.amdhsa_system_vgpr_workitem_id 1
		.amdhsa_next_free_vgpr 78
		.amdhsa_next_free_sgpr 52
		.amdhsa_reserve_vcc 1
		.amdhsa_reserve_flat_scratch 0
		.amdhsa_float_round_mode_32 0
		.amdhsa_float_round_mode_16_64 0
		.amdhsa_float_denorm_mode_32 3
		.amdhsa_float_denorm_mode_16_64 3
		.amdhsa_dx10_clamp 1
		.amdhsa_ieee_mode 1
		.amdhsa_fp16_overflow 0
		.amdhsa_workgroup_processor_mode 1
		.amdhsa_memory_ordered 1
		.amdhsa_forward_progress 1
		.amdhsa_shared_vgpr_count 0
		.amdhsa_exception_fp_ieee_invalid_op 0
		.amdhsa_exception_fp_denorm_src 0
		.amdhsa_exception_fp_ieee_div_zero 0
		.amdhsa_exception_fp_ieee_overflow 0
		.amdhsa_exception_fp_ieee_underflow 0
		.amdhsa_exception_fp_ieee_inexact 0
		.amdhsa_exception_int_div_zero 0
	.end_amdhsa_kernel
	.section	.text._ZN12_GLOBAL__N_127rocblas_gemm_batched_kernelIdLi16ELi16ELi64ELi64ELi4ELi64ELi4ELi4ELi64ELc67ELc84EKPKdS3_KPdEEvlllT_PT11_llS8_llS6_PT12_llPT13_lli,"axG",@progbits,_ZN12_GLOBAL__N_127rocblas_gemm_batched_kernelIdLi16ELi16ELi64ELi64ELi4ELi64ELi4ELi4ELi64ELc67ELc84EKPKdS3_KPdEEvlllT_PT11_llS8_llS6_PT12_llPT13_lli,comdat
.Lfunc_end7:
	.size	_ZN12_GLOBAL__N_127rocblas_gemm_batched_kernelIdLi16ELi16ELi64ELi64ELi4ELi64ELi4ELi4ELi64ELc67ELc84EKPKdS3_KPdEEvlllT_PT11_llS8_llS6_PT12_llPT13_lli, .Lfunc_end7-_ZN12_GLOBAL__N_127rocblas_gemm_batched_kernelIdLi16ELi16ELi64ELi64ELi4ELi64ELi4ELi4ELi64ELc67ELc84EKPKdS3_KPdEEvlllT_PT11_llS8_llS6_PT12_llPT13_lli
                                        ; -- End function
	.set _ZN12_GLOBAL__N_127rocblas_gemm_batched_kernelIdLi16ELi16ELi64ELi64ELi4ELi64ELi4ELi4ELi64ELc67ELc84EKPKdS3_KPdEEvlllT_PT11_llS8_llS6_PT12_llPT13_lli.num_vgpr, 78
	.set _ZN12_GLOBAL__N_127rocblas_gemm_batched_kernelIdLi16ELi16ELi64ELi64ELi4ELi64ELi4ELi4ELi64ELc67ELc84EKPKdS3_KPdEEvlllT_PT11_llS8_llS6_PT12_llPT13_lli.num_agpr, 0
	.set _ZN12_GLOBAL__N_127rocblas_gemm_batched_kernelIdLi16ELi16ELi64ELi64ELi4ELi64ELi4ELi4ELi64ELc67ELc84EKPKdS3_KPdEEvlllT_PT11_llS8_llS6_PT12_llPT13_lli.numbered_sgpr, 52
	.set _ZN12_GLOBAL__N_127rocblas_gemm_batched_kernelIdLi16ELi16ELi64ELi64ELi4ELi64ELi4ELi4ELi64ELc67ELc84EKPKdS3_KPdEEvlllT_PT11_llS8_llS6_PT12_llPT13_lli.num_named_barrier, 0
	.set _ZN12_GLOBAL__N_127rocblas_gemm_batched_kernelIdLi16ELi16ELi64ELi64ELi4ELi64ELi4ELi4ELi64ELc67ELc84EKPKdS3_KPdEEvlllT_PT11_llS8_llS6_PT12_llPT13_lli.private_seg_size, 0
	.set _ZN12_GLOBAL__N_127rocblas_gemm_batched_kernelIdLi16ELi16ELi64ELi64ELi4ELi64ELi4ELi4ELi64ELc67ELc84EKPKdS3_KPdEEvlllT_PT11_llS8_llS6_PT12_llPT13_lli.uses_vcc, 1
	.set _ZN12_GLOBAL__N_127rocblas_gemm_batched_kernelIdLi16ELi16ELi64ELi64ELi4ELi64ELi4ELi4ELi64ELc67ELc84EKPKdS3_KPdEEvlllT_PT11_llS8_llS6_PT12_llPT13_lli.uses_flat_scratch, 0
	.set _ZN12_GLOBAL__N_127rocblas_gemm_batched_kernelIdLi16ELi16ELi64ELi64ELi4ELi64ELi4ELi4ELi64ELc67ELc84EKPKdS3_KPdEEvlllT_PT11_llS8_llS6_PT12_llPT13_lli.has_dyn_sized_stack, 0
	.set _ZN12_GLOBAL__N_127rocblas_gemm_batched_kernelIdLi16ELi16ELi64ELi64ELi4ELi64ELi4ELi4ELi64ELc67ELc84EKPKdS3_KPdEEvlllT_PT11_llS8_llS6_PT12_llPT13_lli.has_recursion, 0
	.set _ZN12_GLOBAL__N_127rocblas_gemm_batched_kernelIdLi16ELi16ELi64ELi64ELi4ELi64ELi4ELi4ELi64ELc67ELc84EKPKdS3_KPdEEvlllT_PT11_llS8_llS6_PT12_llPT13_lli.has_indirect_call, 0
	.section	.AMDGPU.csdata,"",@progbits
; Kernel info:
; codeLenInByte = 2900
; TotalNumSgprs: 54
; NumVgprs: 78
; ScratchSize: 0
; MemoryBound: 0
; FloatMode: 240
; IeeeMode: 1
; LDSByteSize: 4096 bytes/workgroup (compile time only)
; SGPRBlocks: 0
; VGPRBlocks: 9
; NumSGPRsForWavesPerEU: 54
; NumVGPRsForWavesPerEU: 78
; Occupancy: 12
; WaveLimiterHint : 1
; COMPUTE_PGM_RSRC2:SCRATCH_EN: 0
; COMPUTE_PGM_RSRC2:USER_SGPR: 6
; COMPUTE_PGM_RSRC2:TRAP_HANDLER: 0
; COMPUTE_PGM_RSRC2:TGID_X_EN: 1
; COMPUTE_PGM_RSRC2:TGID_Y_EN: 1
; COMPUTE_PGM_RSRC2:TGID_Z_EN: 1
; COMPUTE_PGM_RSRC2:TIDIG_COMP_CNT: 1
	.section	.text._ZN12_GLOBAL__N_127rocblas_gemm_batched_kernelIdLi16ELi16ELi64ELi64ELi4ELi64ELi4ELi4ELi64ELc78ELc67EKPKdS3_KPdEEvlllT_PT11_llS8_llS6_PT12_llPT13_lli,"axG",@progbits,_ZN12_GLOBAL__N_127rocblas_gemm_batched_kernelIdLi16ELi16ELi64ELi64ELi4ELi64ELi4ELi4ELi64ELc78ELc67EKPKdS3_KPdEEvlllT_PT11_llS8_llS6_PT12_llPT13_lli,comdat
	.globl	_ZN12_GLOBAL__N_127rocblas_gemm_batched_kernelIdLi16ELi16ELi64ELi64ELi4ELi64ELi4ELi4ELi64ELc78ELc67EKPKdS3_KPdEEvlllT_PT11_llS8_llS6_PT12_llPT13_lli ; -- Begin function _ZN12_GLOBAL__N_127rocblas_gemm_batched_kernelIdLi16ELi16ELi64ELi64ELi4ELi64ELi4ELi4ELi64ELc78ELc67EKPKdS3_KPdEEvlllT_PT11_llS8_llS6_PT12_llPT13_lli
	.p2align	8
	.type	_ZN12_GLOBAL__N_127rocblas_gemm_batched_kernelIdLi16ELi16ELi64ELi64ELi4ELi64ELi4ELi4ELi64ELc78ELc67EKPKdS3_KPdEEvlllT_PT11_llS8_llS6_PT12_llPT13_lli,@function
_ZN12_GLOBAL__N_127rocblas_gemm_batched_kernelIdLi16ELi16ELi64ELi64ELi4ELi64ELi4ELi4ELi64ELc78ELc67EKPKdS3_KPdEEvlllT_PT11_llS8_llS6_PT12_llPT13_lli: ; @_ZN12_GLOBAL__N_127rocblas_gemm_batched_kernelIdLi16ELi16ELi64ELi64ELi4ELi64ELi4ELi4ELi64ELc78ELc67EKPKdS3_KPdEEvlllT_PT11_llS8_llS6_PT12_llPT13_lli
; %bb.0:
	s_clause 0x2
	s_load_dwordx8 s[36:43], s[4:5], 0x50
	s_load_dwordx8 s[44:51], s[4:5], 0x70
	s_load_dwordx16 s[12:27], s[4:5], 0x10
	s_mov_b32 s9, 0
	s_mov_b32 s10, s7
	s_lshl_b64 s[0:1], s[8:9], 3
	v_mov_b32_e32 v3, 0
	s_waitcnt lgkmcnt(0)
	s_add_u32 s2, s38, s0
	s_addc_u32 s3, s39, s1
	s_add_u32 s4, s44, s0
	s_addc_u32 s5, s45, s1
	s_load_dwordx2 s[2:3], s[2:3], 0x0
	s_load_dwordx2 s[4:5], s[4:5], 0x0
	v_cmp_lt_i64_e64 s8, s[12:13], 1
	s_ashr_i32 s7, s6, 31
	s_ashr_i32 s11, s10, 31
	s_lshl_b64 s[6:7], s[6:7], 6
	s_and_b32 vcc_lo, exec_lo, s8
	s_lshl_b64 s[8:9], s[10:11], 6
	s_cbranch_vccnz .LBB8_3
; %bb.1:
	v_lshl_add_u32 v5, v1, 4, v0
	v_and_b32_e32 v7, 3, v0
	s_add_u32 s10, s16, s0
	s_addc_u32 s11, s17, s1
	s_add_u32 s0, s22, s0
	v_lshrrev_b32_e32 v2, 2, v5
	v_lshrrev_b32_e32 v9, 6, v5
	v_and_b32_e32 v10, 63, v5
	s_addc_u32 s1, s23, s1
	v_lshlrev_b32_e32 v11, 3, v7
	v_mad_u64_u32 v[3:4], null, s24, v7, v[2:3]
	v_mad_u64_u32 v[5:6], null, s18, v9, s[6:7]
	s_load_dwordx2 s[0:1], s[0:1], 0x0
	s_load_dwordx2 s[16:17], s[10:11], 0x0
	s_lshl_b64 s[10:11], s[26:27], 3
	v_lshlrev_b32_e32 v12, 3, v10
	v_add_co_u32 v3, vcc_lo, v3, s8
	v_mad_u64_u32 v[7:8], null, s25, v7, v[4:5]
	v_lshl_or_b32 v8, v2, 5, v11
	v_mov_b32_e32 v2, v6
	v_lshl_or_b32 v40, v9, 9, v12
	v_mov_b32_e32 v12, 0
	v_mov_b32_e32 v14, 0
	v_add_nc_u32_e32 v41, 0x800, v8
	v_add_co_ci_u32_e64 v4, null, s9, v7, vcc_lo
	v_mad_u64_u32 v[6:7], null, s19, v9, v[2:3]
	v_mov_b32_e32 v8, 0
	v_lshlrev_b64 v[2:3], 3, v[3:4]
	v_add_co_u32 v4, vcc_lo, v5, v10
	s_waitcnt lgkmcnt(0)
	s_add_u32 s0, s0, s10
	s_addc_u32 s1, s1, s11
	v_add_co_ci_u32_e64 v5, null, 0, v6, vcc_lo
	v_add_co_u32 v34, vcc_lo, s0, v2
	v_add_co_ci_u32_e64 v35, null, s1, v3, vcc_lo
	v_lshlrev_b64 v[36:37], 3, v[4:5]
	s_lshl_b64 s[0:1], s[20:21], 3
	s_lshl_b64 s[10:11], s[24:25], 5
	s_add_u32 s0, s16, s0
	s_addc_u32 s1, s17, s1
	v_mov_b32_e32 v2, 0
	v_add_co_u32 v36, vcc_lo, s0, v36
	v_mov_b32_e32 v4, 0
	v_mov_b32_e32 v6, 0
	;; [unrolled: 1-line block ×12, first 2 shown]
	v_lshlrev_b32_e32 v38, 3, v0
	v_lshl_add_u32 v39, v1, 5, 0x800
	v_mov_b32_e32 v3, 0
	v_mov_b32_e32 v5, 0
	;; [unrolled: 1-line block ×16, first 2 shown]
	v_add_co_ci_u32_e64 v37, null, s1, v37, vcc_lo
	s_lshl_b64 s[16:17], s[18:19], 5
	s_mov_b64 s[18:19], 0
.LBB8_2:                                ; =>This Inner Loop Header: Depth=1
	flat_load_dwordx2 v[42:43], v[36:37]
	s_add_u32 s18, s18, 4
	s_addc_u32 s19, s19, 0
	v_add_co_u32 v36, vcc_lo, v36, s16
	v_cmp_lt_i64_e64 s0, s[18:19], s[12:13]
	v_add_co_ci_u32_e64 v37, null, s17, v37, vcc_lo
	s_and_b32 vcc_lo, exec_lo, s0
	s_waitcnt vmcnt(0) lgkmcnt(0)
	ds_write_b64 v40, v[42:43]
	flat_load_dwordx2 v[42:43], v[34:35]
	v_add_co_u32 v34, s0, v34, s10
	v_add_co_ci_u32_e64 v35, null, s11, v35, s0
	s_waitcnt vmcnt(0) lgkmcnt(0)
	ds_write_b64 v41, v[42:43]
	s_waitcnt lgkmcnt(0)
	s_barrier
	buffer_gl0_inv
	ds_read_b128 v[42:45], v39
	ds_read2_b64 v[46:49], v38 offset1:16
	ds_read_b128 v[50:53], v39 offset:512
	ds_read_b128 v[54:57], v39 offset:16
	;; [unrolled: 1-line block ×3, first 2 shown]
	s_waitcnt lgkmcnt(3)
	v_fma_f64 v[70:71], v[46:47], v[42:43], v[30:31]
	v_fma_f64 v[72:73], v[48:49], v[42:43], v[26:27]
	s_waitcnt lgkmcnt(2)
	v_fma_f64 v[74:75], v[46:47], v[50:51], v[32:33]
	v_fma_f64 v[76:77], v[48:49], v[50:51], v[28:29]
	ds_read_b128 v[26:29], v39 offset:1024
	ds_read_b128 v[62:65], v39 offset:1040
	;; [unrolled: 1-line block ×4, first 2 shown]
	s_waitcnt lgkmcnt(3)
	v_fma_f64 v[22:23], v[46:47], v[26:27], v[22:23]
	v_fma_f64 v[14:15], v[48:49], v[26:27], v[14:15]
	s_waitcnt lgkmcnt(1)
	v_fma_f64 v[46:47], v[46:47], v[30:31], v[8:9]
	v_fma_f64 v[48:49], v[48:49], v[30:31], v[6:7]
	ds_read2_b64 v[6:9], v38 offset0:32 offset1:48
	s_waitcnt lgkmcnt(0)
	v_fma_f64 v[18:19], v[6:7], v[42:43], v[18:19]
	v_fma_f64 v[16:17], v[8:9], v[42:43], v[16:17]
	;; [unrolled: 1-line block ×8, first 2 shown]
	ds_read2_b64 v[2:5], v38 offset0:64 offset1:80
	ds_read2_b64 v[6:9], v38 offset0:96 offset1:112
	s_waitcnt lgkmcnt(1)
	v_fma_f64 v[42:43], v[2:3], v[44:45], v[70:71]
	v_fma_f64 v[50:51], v[4:5], v[44:45], v[72:73]
	s_waitcnt lgkmcnt(0)
	v_fma_f64 v[18:19], v[6:7], v[44:45], v[18:19]
	v_fma_f64 v[16:17], v[8:9], v[44:45], v[16:17]
	;; [unrolled: 1-line block ×10, first 2 shown]
	ds_read2_b64 v[2:5], v38 offset0:128 offset1:144
	v_fma_f64 v[24:25], v[6:7], v[52:53], v[24:25]
	v_fma_f64 v[20:21], v[8:9], v[52:53], v[20:21]
	;; [unrolled: 1-line block ×4, first 2 shown]
	s_waitcnt lgkmcnt(0)
	v_fma_f64 v[26:27], v[2:3], v[54:55], v[42:43]
	v_fma_f64 v[32:33], v[4:5], v[54:55], v[50:51]
	;; [unrolled: 1-line block ×8, first 2 shown]
	ds_read2_b64 v[2:5], v38 offset0:160 offset1:176
	ds_read2_b64 v[42:45], v38 offset0:224 offset1:240
	s_waitcnt lgkmcnt(1)
	v_fma_f64 v[18:19], v[2:3], v[54:55], v[18:19]
	v_fma_f64 v[16:17], v[4:5], v[54:55], v[16:17]
	;; [unrolled: 1-line block ×8, first 2 shown]
	ds_read2_b64 v[2:5], v38 offset0:192 offset1:208
	s_waitcnt lgkmcnt(0)
	s_barrier
	buffer_gl0_inv
	v_fma_f64 v[18:19], v[42:43], v[56:57], v[18:19]
	v_fma_f64 v[16:17], v[44:45], v[56:57], v[16:17]
	;; [unrolled: 1-line block ×16, first 2 shown]
	s_cbranch_vccnz .LBB8_2
	s_branch .LBB8_4
.LBB8_3:
	v_mov_b32_e32 v30, 0
	v_mov_b32_e32 v26, 0
	;; [unrolled: 1-line block ×32, first 2 shown]
.LBB8_4:
	v_cmp_neq_f64_e64 s10, s[36:37], 0
	v_add_co_u32 v34, s8, s8, v1
	v_add_co_ci_u32_e64 v37, null, s9, 0, s8
	v_add_co_u32 v0, s6, s6, v0
	v_add_co_ci_u32_e64 v1, null, s7, 0, s6
	v_mul_lo_u32 v35, v37, s46
	v_mul_lo_u32 v36, v34, s47
	s_lshl_b64 s[0:1], s[48:49], 3
	v_lshlrev_b64 v[0:1], 3, v[0:1]
	s_waitcnt lgkmcnt(0)
	s_add_u32 s0, s4, s0
	s_addc_u32 s1, s5, s1
	s_and_b32 vcc_lo, exec_lo, s10
	s_cbranch_vccnz .LBB8_8
; %bb.5:
	v_mad_u64_u32 v[38:39], null, v34, s46, 0
	v_mul_f64 v[40:41], s[14:15], v[30:31]
	v_mul_f64 v[42:43], s[14:15], v[26:27]
	;; [unrolled: 1-line block ×6, first 2 shown]
	v_add3_u32 v39, v39, v36, v35
	v_mul_f64 v[52:53], s[14:15], v[24:25]
	s_lshl_b64 s[4:5], s[46:47], 7
	v_lshlrev_b64 v[38:39], 3, v[38:39]
	v_add_co_u32 v54, vcc_lo, s0, v38
	v_add_co_ci_u32_e64 v55, null, s1, v39, vcc_lo
	v_mul_f64 v[38:39], s[14:15], v[20:21]
	v_add_co_u32 v58, vcc_lo, v54, s4
	v_add_co_ci_u32_e64 v59, null, s5, v55, vcc_lo
	v_add_co_u32 v54, vcc_lo, v54, v0
	v_add_co_ci_u32_e64 v55, null, v55, v1, vcc_lo
	;; [unrolled: 2-line block ×3, first 2 shown]
	flat_store_dwordx2 v[54:55], v[40:41]
	flat_store_dwordx2 v[54:55], v[42:43] offset:128
	flat_store_dwordx2 v[54:55], v[44:45] offset:256
	;; [unrolled: 1-line block ×3, first 2 shown]
	flat_store_dwordx2 v[56:57], v[48:49]
	flat_store_dwordx2 v[56:57], v[50:51] offset:128
	flat_store_dwordx2 v[56:57], v[52:53] offset:256
	v_mul_f64 v[40:41], s[14:15], v[22:23]
	v_mul_f64 v[54:55], s[14:15], v[2:3]
	;; [unrolled: 1-line block ×7, first 2 shown]
	v_add_co_u32 v58, vcc_lo, v58, s4
	v_mul_f64 v[52:53], s[14:15], v[4:5]
	v_add_co_ci_u32_e64 v59, null, s5, v59, vcc_lo
	flat_store_dwordx2 v[56:57], v[38:39] offset:384
	v_add_co_u32 v56, vcc_lo, v58, s4
	v_add_co_ci_u32_e64 v57, null, s5, v59, vcc_lo
	v_add_co_u32 v38, vcc_lo, v58, v0
	v_add_co_ci_u32_e64 v39, null, v59, v1, vcc_lo
	;; [unrolled: 2-line block ×3, first 2 shown]
	flat_store_dwordx2 v[38:39], v[40:41]
	flat_store_dwordx2 v[38:39], v[42:43] offset:128
	flat_store_dwordx2 v[38:39], v[44:45] offset:256
	;; [unrolled: 1-line block ×3, first 2 shown]
	flat_store_dwordx2 v[56:57], v[48:49]
	flat_store_dwordx2 v[56:57], v[50:51] offset:128
	flat_store_dwordx2 v[56:57], v[52:53] offset:256
	;; [unrolled: 1-line block ×3, first 2 shown]
	s_cbranch_execnz .LBB8_7
.LBB8_6:
	v_mul_lo_u32 v39, v37, s40
	v_mul_lo_u32 v40, v34, s41
	v_mad_u64_u32 v[37:38], null, v34, s40, 0
	s_lshl_b64 s[4:5], s[42:43], 3
	v_mad_u64_u32 v[41:42], null, v34, s46, 0
	s_add_u32 s2, s2, s4
	s_addc_u32 s3, s3, s5
	v_add3_u32 v38, v38, v40, v39
	v_add3_u32 v42, v42, v36, v35
	v_lshlrev_b64 v[37:38], 3, v[37:38]
	v_lshlrev_b64 v[34:35], 3, v[41:42]
	v_add_co_u32 v43, vcc_lo, s2, v37
	v_add_co_ci_u32_e64 v44, null, s3, v38, vcc_lo
	s_lshl_b64 s[2:3], s[46:47], 7
	v_add_co_u32 v37, vcc_lo, v43, v0
	v_add_co_ci_u32_e64 v38, null, v44, v1, vcc_lo
	v_add_co_u32 v36, vcc_lo, s0, v34
	flat_load_dwordx2 v[39:40], v[37:38]
	s_waitcnt vmcnt(0) lgkmcnt(0)
	v_mul_f64 v[39:40], s[36:37], v[39:40]
	v_fma_f64 v[30:31], s[14:15], v[30:31], v[39:40]
	v_add_co_ci_u32_e64 v39, null, s1, v35, vcc_lo
	v_add_co_u32 v34, vcc_lo, v36, v0
	s_lshl_b64 s[0:1], s[40:41], 7
	v_add_co_ci_u32_e64 v35, null, v39, v1, vcc_lo
	flat_store_dwordx2 v[34:35], v[30:31]
	flat_load_dwordx2 v[30:31], v[37:38] offset:128
	s_waitcnt vmcnt(0) lgkmcnt(0)
	v_mul_f64 v[30:31], s[36:37], v[30:31]
	v_fma_f64 v[26:27], s[14:15], v[26:27], v[30:31]
	v_add_co_u32 v30, vcc_lo, v43, s0
	v_add_co_ci_u32_e64 v31, null, s1, v44, vcc_lo
	flat_store_dwordx2 v[34:35], v[26:27] offset:128
	flat_load_dwordx2 v[26:27], v[37:38] offset:256
	s_waitcnt vmcnt(0) lgkmcnt(0)
	v_mul_f64 v[26:27], s[36:37], v[26:27]
	v_fma_f64 v[18:19], s[14:15], v[18:19], v[26:27]
	flat_store_dwordx2 v[34:35], v[18:19] offset:256
	flat_load_dwordx2 v[18:19], v[37:38] offset:384
	s_waitcnt vmcnt(0) lgkmcnt(0)
	v_mul_f64 v[18:19], s[36:37], v[18:19]
	v_fma_f64 v[16:17], s[14:15], v[16:17], v[18:19]
	v_add_co_u32 v18, vcc_lo, v30, v0
	v_add_co_ci_u32_e64 v19, null, v31, v1, vcc_lo
	flat_store_dwordx2 v[34:35], v[16:17] offset:384
	flat_load_dwordx2 v[16:17], v[18:19]
	s_waitcnt vmcnt(0) lgkmcnt(0)
	v_mul_f64 v[16:17], s[36:37], v[16:17]
	v_fma_f64 v[16:17], s[14:15], v[32:33], v[16:17]
	v_add_co_u32 v32, vcc_lo, v36, s2
	v_add_co_ci_u32_e64 v33, null, s3, v39, vcc_lo
	v_add_co_u32 v26, vcc_lo, v32, v0
	v_add_co_ci_u32_e64 v27, null, v33, v1, vcc_lo
	flat_store_dwordx2 v[26:27], v[16:17]
	flat_load_dwordx2 v[16:17], v[18:19] offset:128
	s_waitcnt vmcnt(0) lgkmcnt(0)
	v_mul_f64 v[16:17], s[36:37], v[16:17]
	v_fma_f64 v[16:17], s[14:15], v[28:29], v[16:17]
	flat_store_dwordx2 v[26:27], v[16:17] offset:128
	flat_load_dwordx2 v[16:17], v[18:19] offset:256
	s_waitcnt vmcnt(0) lgkmcnt(0)
	v_mul_f64 v[16:17], s[36:37], v[16:17]
	v_fma_f64 v[16:17], s[14:15], v[24:25], v[16:17]
	v_add_co_u32 v24, vcc_lo, v30, s0
	v_add_co_ci_u32_e64 v25, null, s1, v31, vcc_lo
	flat_store_dwordx2 v[26:27], v[16:17] offset:256
	flat_load_dwordx2 v[16:17], v[18:19] offset:384
	v_add_co_u32 v18, vcc_lo, v24, v0
	v_add_co_ci_u32_e64 v19, null, v25, v1, vcc_lo
	s_waitcnt vmcnt(0) lgkmcnt(0)
	v_mul_f64 v[16:17], s[36:37], v[16:17]
	v_fma_f64 v[16:17], s[14:15], v[20:21], v[16:17]
	flat_store_dwordx2 v[26:27], v[16:17] offset:384
	flat_load_dwordx2 v[16:17], v[18:19]
	s_waitcnt vmcnt(0) lgkmcnt(0)
	v_mul_f64 v[16:17], s[36:37], v[16:17]
	v_fma_f64 v[16:17], s[14:15], v[22:23], v[16:17]
	v_add_co_u32 v22, vcc_lo, v32, s2
	v_add_co_ci_u32_e64 v23, null, s3, v33, vcc_lo
	v_add_co_u32 v20, vcc_lo, v22, v0
	v_add_co_ci_u32_e64 v21, null, v23, v1, vcc_lo
	flat_store_dwordx2 v[20:21], v[16:17]
	flat_load_dwordx2 v[16:17], v[18:19] offset:128
	s_waitcnt vmcnt(0) lgkmcnt(0)
	v_mul_f64 v[16:17], s[36:37], v[16:17]
	v_fma_f64 v[14:15], s[14:15], v[14:15], v[16:17]
	flat_store_dwordx2 v[20:21], v[14:15] offset:128
	flat_load_dwordx2 v[14:15], v[18:19] offset:256
	s_waitcnt vmcnt(0) lgkmcnt(0)
	v_mul_f64 v[14:15], s[36:37], v[14:15]
	v_fma_f64 v[12:13], s[14:15], v[12:13], v[14:15]
	flat_store_dwordx2 v[20:21], v[12:13] offset:256
	flat_load_dwordx2 v[12:13], v[18:19] offset:384
	s_waitcnt vmcnt(0) lgkmcnt(0)
	v_mul_f64 v[12:13], s[36:37], v[12:13]
	v_fma_f64 v[10:11], s[14:15], v[10:11], v[12:13]
	v_add_co_u32 v12, vcc_lo, v24, s0
	v_add_co_ci_u32_e64 v13, null, s1, v25, vcc_lo
	v_add_co_u32 v12, vcc_lo, v12, v0
	v_add_co_ci_u32_e64 v13, null, v13, v1, vcc_lo
	flat_store_dwordx2 v[20:21], v[10:11] offset:384
	flat_load_dwordx2 v[10:11], v[12:13]
	s_waitcnt vmcnt(0) lgkmcnt(0)
	v_mul_f64 v[10:11], s[36:37], v[10:11]
	v_fma_f64 v[8:9], s[14:15], v[8:9], v[10:11]
	v_add_co_u32 v10, vcc_lo, v22, s2
	v_add_co_ci_u32_e64 v11, null, s3, v23, vcc_lo
	v_add_co_u32 v0, vcc_lo, v10, v0
	v_add_co_ci_u32_e64 v1, null, v11, v1, vcc_lo
	flat_store_dwordx2 v[0:1], v[8:9]
	flat_load_dwordx2 v[8:9], v[12:13] offset:128
	s_waitcnt vmcnt(0) lgkmcnt(0)
	v_mul_f64 v[8:9], s[36:37], v[8:9]
	v_fma_f64 v[6:7], s[14:15], v[6:7], v[8:9]
	flat_store_dwordx2 v[0:1], v[6:7] offset:128
	flat_load_dwordx2 v[6:7], v[12:13] offset:256
	s_waitcnt vmcnt(0) lgkmcnt(0)
	v_mul_f64 v[6:7], s[36:37], v[6:7]
	v_fma_f64 v[4:5], s[14:15], v[4:5], v[6:7]
	flat_store_dwordx2 v[0:1], v[4:5] offset:256
	;; [unrolled: 5-line block ×3, first 2 shown]
.LBB8_7:
	s_endpgm
.LBB8_8:
	s_branch .LBB8_6
	.section	.rodata,"a",@progbits
	.p2align	6, 0x0
	.amdhsa_kernel _ZN12_GLOBAL__N_127rocblas_gemm_batched_kernelIdLi16ELi16ELi64ELi64ELi4ELi64ELi4ELi4ELi64ELc78ELc67EKPKdS3_KPdEEvlllT_PT11_llS8_llS6_PT12_llPT13_lli
		.amdhsa_group_segment_fixed_size 4096
		.amdhsa_private_segment_fixed_size 0
		.amdhsa_kernarg_size 140
		.amdhsa_user_sgpr_count 6
		.amdhsa_user_sgpr_private_segment_buffer 1
		.amdhsa_user_sgpr_dispatch_ptr 0
		.amdhsa_user_sgpr_queue_ptr 0
		.amdhsa_user_sgpr_kernarg_segment_ptr 1
		.amdhsa_user_sgpr_dispatch_id 0
		.amdhsa_user_sgpr_flat_scratch_init 0
		.amdhsa_user_sgpr_private_segment_size 0
		.amdhsa_wavefront_size32 1
		.amdhsa_uses_dynamic_stack 0
		.amdhsa_system_sgpr_private_segment_wavefront_offset 0
		.amdhsa_system_sgpr_workgroup_id_x 1
		.amdhsa_system_sgpr_workgroup_id_y 1
		.amdhsa_system_sgpr_workgroup_id_z 1
		.amdhsa_system_sgpr_workgroup_info 0
		.amdhsa_system_vgpr_workitem_id 1
		.amdhsa_next_free_vgpr 78
		.amdhsa_next_free_sgpr 52
		.amdhsa_reserve_vcc 1
		.amdhsa_reserve_flat_scratch 0
		.amdhsa_float_round_mode_32 0
		.amdhsa_float_round_mode_16_64 0
		.amdhsa_float_denorm_mode_32 3
		.amdhsa_float_denorm_mode_16_64 3
		.amdhsa_dx10_clamp 1
		.amdhsa_ieee_mode 1
		.amdhsa_fp16_overflow 0
		.amdhsa_workgroup_processor_mode 1
		.amdhsa_memory_ordered 1
		.amdhsa_forward_progress 1
		.amdhsa_shared_vgpr_count 0
		.amdhsa_exception_fp_ieee_invalid_op 0
		.amdhsa_exception_fp_denorm_src 0
		.amdhsa_exception_fp_ieee_div_zero 0
		.amdhsa_exception_fp_ieee_overflow 0
		.amdhsa_exception_fp_ieee_underflow 0
		.amdhsa_exception_fp_ieee_inexact 0
		.amdhsa_exception_int_div_zero 0
	.end_amdhsa_kernel
	.section	.text._ZN12_GLOBAL__N_127rocblas_gemm_batched_kernelIdLi16ELi16ELi64ELi64ELi4ELi64ELi4ELi4ELi64ELc78ELc67EKPKdS3_KPdEEvlllT_PT11_llS8_llS6_PT12_llPT13_lli,"axG",@progbits,_ZN12_GLOBAL__N_127rocblas_gemm_batched_kernelIdLi16ELi16ELi64ELi64ELi4ELi64ELi4ELi4ELi64ELc78ELc67EKPKdS3_KPdEEvlllT_PT11_llS8_llS6_PT12_llPT13_lli,comdat
.Lfunc_end8:
	.size	_ZN12_GLOBAL__N_127rocblas_gemm_batched_kernelIdLi16ELi16ELi64ELi64ELi4ELi64ELi4ELi4ELi64ELc78ELc67EKPKdS3_KPdEEvlllT_PT11_llS8_llS6_PT12_llPT13_lli, .Lfunc_end8-_ZN12_GLOBAL__N_127rocblas_gemm_batched_kernelIdLi16ELi16ELi64ELi64ELi4ELi64ELi4ELi4ELi64ELc78ELc67EKPKdS3_KPdEEvlllT_PT11_llS8_llS6_PT12_llPT13_lli
                                        ; -- End function
	.set _ZN12_GLOBAL__N_127rocblas_gemm_batched_kernelIdLi16ELi16ELi64ELi64ELi4ELi64ELi4ELi4ELi64ELc78ELc67EKPKdS3_KPdEEvlllT_PT11_llS8_llS6_PT12_llPT13_lli.num_vgpr, 78
	.set _ZN12_GLOBAL__N_127rocblas_gemm_batched_kernelIdLi16ELi16ELi64ELi64ELi4ELi64ELi4ELi4ELi64ELc78ELc67EKPKdS3_KPdEEvlllT_PT11_llS8_llS6_PT12_llPT13_lli.num_agpr, 0
	.set _ZN12_GLOBAL__N_127rocblas_gemm_batched_kernelIdLi16ELi16ELi64ELi64ELi4ELi64ELi4ELi4ELi64ELc78ELc67EKPKdS3_KPdEEvlllT_PT11_llS8_llS6_PT12_llPT13_lli.numbered_sgpr, 52
	.set _ZN12_GLOBAL__N_127rocblas_gemm_batched_kernelIdLi16ELi16ELi64ELi64ELi4ELi64ELi4ELi4ELi64ELc78ELc67EKPKdS3_KPdEEvlllT_PT11_llS8_llS6_PT12_llPT13_lli.num_named_barrier, 0
	.set _ZN12_GLOBAL__N_127rocblas_gemm_batched_kernelIdLi16ELi16ELi64ELi64ELi4ELi64ELi4ELi4ELi64ELc78ELc67EKPKdS3_KPdEEvlllT_PT11_llS8_llS6_PT12_llPT13_lli.private_seg_size, 0
	.set _ZN12_GLOBAL__N_127rocblas_gemm_batched_kernelIdLi16ELi16ELi64ELi64ELi4ELi64ELi4ELi4ELi64ELc78ELc67EKPKdS3_KPdEEvlllT_PT11_llS8_llS6_PT12_llPT13_lli.uses_vcc, 1
	.set _ZN12_GLOBAL__N_127rocblas_gemm_batched_kernelIdLi16ELi16ELi64ELi64ELi4ELi64ELi4ELi4ELi64ELc78ELc67EKPKdS3_KPdEEvlllT_PT11_llS8_llS6_PT12_llPT13_lli.uses_flat_scratch, 0
	.set _ZN12_GLOBAL__N_127rocblas_gemm_batched_kernelIdLi16ELi16ELi64ELi64ELi4ELi64ELi4ELi4ELi64ELc78ELc67EKPKdS3_KPdEEvlllT_PT11_llS8_llS6_PT12_llPT13_lli.has_dyn_sized_stack, 0
	.set _ZN12_GLOBAL__N_127rocblas_gemm_batched_kernelIdLi16ELi16ELi64ELi64ELi4ELi64ELi4ELi4ELi64ELc78ELc67EKPKdS3_KPdEEvlllT_PT11_llS8_llS6_PT12_llPT13_lli.has_recursion, 0
	.set _ZN12_GLOBAL__N_127rocblas_gemm_batched_kernelIdLi16ELi16ELi64ELi64ELi4ELi64ELi4ELi4ELi64ELc78ELc67EKPKdS3_KPdEEvlllT_PT11_llS8_llS6_PT12_llPT13_lli.has_indirect_call, 0
	.section	.AMDGPU.csdata,"",@progbits
; Kernel info:
; codeLenInByte = 2864
; TotalNumSgprs: 54
; NumVgprs: 78
; ScratchSize: 0
; MemoryBound: 0
; FloatMode: 240
; IeeeMode: 1
; LDSByteSize: 4096 bytes/workgroup (compile time only)
; SGPRBlocks: 0
; VGPRBlocks: 9
; NumSGPRsForWavesPerEU: 54
; NumVGPRsForWavesPerEU: 78
; Occupancy: 12
; WaveLimiterHint : 1
; COMPUTE_PGM_RSRC2:SCRATCH_EN: 0
; COMPUTE_PGM_RSRC2:USER_SGPR: 6
; COMPUTE_PGM_RSRC2:TRAP_HANDLER: 0
; COMPUTE_PGM_RSRC2:TGID_X_EN: 1
; COMPUTE_PGM_RSRC2:TGID_Y_EN: 1
; COMPUTE_PGM_RSRC2:TGID_Z_EN: 1
; COMPUTE_PGM_RSRC2:TIDIG_COMP_CNT: 1
	.section	.text._ZN12_GLOBAL__N_127rocblas_gemm_batched_kernelIdLi16ELi16ELi64ELi64ELi4ELi64ELi4ELi4ELi64ELc84ELc67EKPKdS3_KPdEEvlllT_PT11_llS8_llS6_PT12_llPT13_lli,"axG",@progbits,_ZN12_GLOBAL__N_127rocblas_gemm_batched_kernelIdLi16ELi16ELi64ELi64ELi4ELi64ELi4ELi4ELi64ELc84ELc67EKPKdS3_KPdEEvlllT_PT11_llS8_llS6_PT12_llPT13_lli,comdat
	.globl	_ZN12_GLOBAL__N_127rocblas_gemm_batched_kernelIdLi16ELi16ELi64ELi64ELi4ELi64ELi4ELi4ELi64ELc84ELc67EKPKdS3_KPdEEvlllT_PT11_llS8_llS6_PT12_llPT13_lli ; -- Begin function _ZN12_GLOBAL__N_127rocblas_gemm_batched_kernelIdLi16ELi16ELi64ELi64ELi4ELi64ELi4ELi4ELi64ELc84ELc67EKPKdS3_KPdEEvlllT_PT11_llS8_llS6_PT12_llPT13_lli
	.p2align	8
	.type	_ZN12_GLOBAL__N_127rocblas_gemm_batched_kernelIdLi16ELi16ELi64ELi64ELi4ELi64ELi4ELi4ELi64ELc84ELc67EKPKdS3_KPdEEvlllT_PT11_llS8_llS6_PT12_llPT13_lli,@function
_ZN12_GLOBAL__N_127rocblas_gemm_batched_kernelIdLi16ELi16ELi64ELi64ELi4ELi64ELi4ELi4ELi64ELc84ELc67EKPKdS3_KPdEEvlllT_PT11_llS8_llS6_PT12_llPT13_lli: ; @_ZN12_GLOBAL__N_127rocblas_gemm_batched_kernelIdLi16ELi16ELi64ELi64ELi4ELi64ELi4ELi4ELi64ELc84ELc67EKPKdS3_KPdEEvlllT_PT11_llS8_llS6_PT12_llPT13_lli
; %bb.0:
	s_clause 0x2
	s_load_dwordx8 s[36:43], s[4:5], 0x50
	s_load_dwordx8 s[44:51], s[4:5], 0x70
	s_load_dwordx16 s[12:27], s[4:5], 0x10
	s_mov_b32 s9, 0
	s_mov_b32 s10, s7
	s_lshl_b64 s[0:1], s[8:9], 3
	v_mov_b32_e32 v3, 0
	s_waitcnt lgkmcnt(0)
	s_add_u32 s2, s38, s0
	s_addc_u32 s3, s39, s1
	s_add_u32 s4, s44, s0
	s_addc_u32 s5, s45, s1
	s_load_dwordx2 s[2:3], s[2:3], 0x0
	s_load_dwordx2 s[4:5], s[4:5], 0x0
	v_cmp_lt_i64_e64 s8, s[12:13], 1
	s_ashr_i32 s7, s6, 31
	s_ashr_i32 s11, s10, 31
	s_lshl_b64 s[6:7], s[6:7], 6
	s_and_b32 vcc_lo, exec_lo, s8
	s_lshl_b64 s[8:9], s[10:11], 6
	s_cbranch_vccnz .LBB9_3
; %bb.1:
	v_lshl_add_u32 v5, v1, 4, v0
	s_add_u32 s10, s16, s0
	v_and_b32_e32 v7, 3, v0
	s_addc_u32 s11, s17, s1
	s_add_u32 s0, s22, s0
	v_and_b32_e32 v8, 63, v5
	v_lshrrev_b32_e32 v2, 2, v5
	s_addc_u32 s1, s23, s1
	v_lshrrev_b32_e32 v10, 6, v5
	s_load_dwordx2 s[0:1], s[0:1], 0x0
	v_add_co_u32 v6, s16, s6, v8
	v_mad_u64_u32 v[3:4], null, s24, v7, v[2:3]
	v_add_co_ci_u32_e64 v9, null, s7, 0, s16
	v_mul_lo_u32 v12, s19, v6
	v_mad_u64_u32 v[5:6], null, s18, v6, 0
	v_lshlrev_b32_e32 v11, 3, v7
	v_mul_lo_u32 v9, s18, v9
	v_lshlrev_b32_e32 v13, 3, v8
	s_load_dwordx2 s[10:11], s[10:11], 0x0
	s_lshl_b64 s[16:17], s[26:27], 3
	v_lshl_or_b32 v2, v2, 5, v11
	v_mad_u64_u32 v[7:8], null, s25, v7, v[4:5]
	v_lshl_or_b32 v38, v10, 9, v13
	v_add3_u32 v6, v6, v9, v12
	v_add_nc_u32_e32 v39, 0x800, v2
	v_add_co_u32 v2, vcc_lo, v3, s8
	s_waitcnt lgkmcnt(0)
	s_add_u32 s16, s0, s16
	v_add_co_ci_u32_e64 v3, null, s9, v7, vcc_lo
	v_lshlrev_b64 v[4:5], 3, v[5:6]
	s_addc_u32 s17, s1, s17
	s_lshl_b64 s[0:1], s[20:21], 3
	v_lshlrev_b64 v[2:3], 3, v[2:3]
	v_lshlrev_b32_e32 v6, 3, v10
	v_mov_b32_e32 v8, 0
	v_add_co_u32 v4, vcc_lo, v4, s0
	v_add_co_ci_u32_e64 v5, null, s1, v5, vcc_lo
	v_add_co_u32 v34, vcc_lo, s16, v2
	v_add_co_ci_u32_e64 v35, null, s17, v3, vcc_lo
	;; [unrolled: 2-line block ×3, first 2 shown]
	v_mov_b32_e32 v2, 0
	v_add_co_u32 v36, vcc_lo, s10, v36
	v_mov_b32_e32 v4, 0
	v_mov_b32_e32 v6, 0
	;; [unrolled: 1-line block ×14, first 2 shown]
	v_lshlrev_b32_e32 v40, 3, v0
	v_lshl_add_u32 v41, v1, 5, 0x800
	v_mov_b32_e32 v3, 0
	v_mov_b32_e32 v5, 0
	v_mov_b32_e32 v7, 0
	v_mov_b32_e32 v9, 0
	v_mov_b32_e32 v11, 0
	v_mov_b32_e32 v13, 0
	v_mov_b32_e32 v15, 0
	v_mov_b32_e32 v23, 0
	v_mov_b32_e32 v21, 0
	v_mov_b32_e32 v25, 0
	v_mov_b32_e32 v29, 0
	v_mov_b32_e32 v33, 0
	v_mov_b32_e32 v17, 0
	v_mov_b32_e32 v19, 0
	v_mov_b32_e32 v27, 0
	v_mov_b32_e32 v31, 0
	v_add_co_ci_u32_e64 v37, null, s11, v37, vcc_lo
	s_lshl_b64 s[10:11], s[24:25], 5
	s_mov_b64 s[16:17], 0
.LBB9_2:                                ; =>This Inner Loop Header: Depth=1
	flat_load_dwordx2 v[42:43], v[36:37]
	s_add_u32 s16, s16, 4
	s_addc_u32 s17, s17, 0
	v_add_co_u32 v36, vcc_lo, v36, 32
	v_cmp_lt_i64_e64 s0, s[16:17], s[12:13]
	v_add_co_ci_u32_e64 v37, null, 0, v37, vcc_lo
	s_and_b32 vcc_lo, exec_lo, s0
	s_waitcnt vmcnt(0) lgkmcnt(0)
	ds_write_b64 v38, v[42:43]
	flat_load_dwordx2 v[42:43], v[34:35]
	v_add_co_u32 v34, s0, v34, s10
	v_add_co_ci_u32_e64 v35, null, s11, v35, s0
	s_waitcnt vmcnt(0) lgkmcnt(0)
	ds_write_b64 v39, v[42:43]
	s_waitcnt lgkmcnt(0)
	s_barrier
	buffer_gl0_inv
	ds_read_b128 v[42:45], v41
	ds_read2_b64 v[46:49], v40 offset1:16
	ds_read_b128 v[50:53], v41 offset:512
	ds_read_b128 v[54:57], v41 offset:16
	;; [unrolled: 1-line block ×3, first 2 shown]
	s_waitcnt lgkmcnt(3)
	v_fma_f64 v[70:71], v[46:47], v[42:43], v[30:31]
	v_fma_f64 v[72:73], v[48:49], v[42:43], v[26:27]
	s_waitcnt lgkmcnt(2)
	v_fma_f64 v[74:75], v[46:47], v[50:51], v[32:33]
	v_fma_f64 v[76:77], v[48:49], v[50:51], v[28:29]
	ds_read_b128 v[26:29], v41 offset:1024
	ds_read_b128 v[62:65], v41 offset:1040
	;; [unrolled: 1-line block ×4, first 2 shown]
	s_waitcnt lgkmcnt(3)
	v_fma_f64 v[22:23], v[46:47], v[26:27], v[22:23]
	v_fma_f64 v[14:15], v[48:49], v[26:27], v[14:15]
	s_waitcnt lgkmcnt(1)
	v_fma_f64 v[46:47], v[46:47], v[30:31], v[8:9]
	v_fma_f64 v[48:49], v[48:49], v[30:31], v[6:7]
	ds_read2_b64 v[6:9], v40 offset0:32 offset1:48
	s_waitcnt lgkmcnt(0)
	v_fma_f64 v[18:19], v[6:7], v[42:43], v[18:19]
	v_fma_f64 v[16:17], v[8:9], v[42:43], v[16:17]
	;; [unrolled: 1-line block ×8, first 2 shown]
	ds_read2_b64 v[2:5], v40 offset0:64 offset1:80
	ds_read2_b64 v[6:9], v40 offset0:96 offset1:112
	s_waitcnt lgkmcnt(1)
	v_fma_f64 v[42:43], v[2:3], v[44:45], v[70:71]
	v_fma_f64 v[50:51], v[4:5], v[44:45], v[72:73]
	s_waitcnt lgkmcnt(0)
	v_fma_f64 v[18:19], v[6:7], v[44:45], v[18:19]
	v_fma_f64 v[16:17], v[8:9], v[44:45], v[16:17]
	;; [unrolled: 1-line block ×10, first 2 shown]
	ds_read2_b64 v[2:5], v40 offset0:128 offset1:144
	v_fma_f64 v[24:25], v[6:7], v[52:53], v[24:25]
	v_fma_f64 v[20:21], v[8:9], v[52:53], v[20:21]
	v_fma_f64 v[6:7], v[6:7], v[32:33], v[26:27]
	v_fma_f64 v[8:9], v[8:9], v[32:33], v[30:31]
	s_waitcnt lgkmcnt(0)
	v_fma_f64 v[26:27], v[2:3], v[54:55], v[42:43]
	v_fma_f64 v[32:33], v[4:5], v[54:55], v[50:51]
	v_fma_f64 v[48:49], v[2:3], v[58:59], v[44:45]
	v_fma_f64 v[50:51], v[4:5], v[58:59], v[70:71]
	v_fma_f64 v[22:23], v[2:3], v[62:63], v[22:23]
	v_fma_f64 v[14:15], v[4:5], v[62:63], v[14:15]
	v_fma_f64 v[52:53], v[2:3], v[66:67], v[28:29]
	v_fma_f64 v[46:47], v[4:5], v[66:67], v[46:47]
	ds_read2_b64 v[2:5], v40 offset0:160 offset1:176
	ds_read2_b64 v[42:45], v40 offset0:224 offset1:240
	s_waitcnt lgkmcnt(1)
	v_fma_f64 v[18:19], v[2:3], v[54:55], v[18:19]
	v_fma_f64 v[16:17], v[4:5], v[54:55], v[16:17]
	v_fma_f64 v[24:25], v[2:3], v[58:59], v[24:25]
	v_fma_f64 v[20:21], v[4:5], v[58:59], v[20:21]
	v_fma_f64 v[12:13], v[2:3], v[62:63], v[12:13]
	v_fma_f64 v[10:11], v[4:5], v[62:63], v[10:11]
	v_fma_f64 v[54:55], v[2:3], v[66:67], v[6:7]
	v_fma_f64 v[58:59], v[4:5], v[66:67], v[8:9]
	ds_read2_b64 v[2:5], v40 offset0:192 offset1:208
	s_waitcnt lgkmcnt(0)
	s_barrier
	buffer_gl0_inv
	v_fma_f64 v[18:19], v[42:43], v[56:57], v[18:19]
	v_fma_f64 v[16:17], v[44:45], v[56:57], v[16:17]
	;; [unrolled: 1-line block ×16, first 2 shown]
	s_cbranch_vccnz .LBB9_2
	s_branch .LBB9_4
.LBB9_3:
	v_mov_b32_e32 v30, 0
	v_mov_b32_e32 v26, 0
	;; [unrolled: 1-line block ×32, first 2 shown]
.LBB9_4:
	v_cmp_neq_f64_e64 s10, s[36:37], 0
	v_add_co_u32 v34, s8, s8, v1
	v_add_co_ci_u32_e64 v37, null, s9, 0, s8
	v_add_co_u32 v0, s6, s6, v0
	v_add_co_ci_u32_e64 v1, null, s7, 0, s6
	v_mul_lo_u32 v35, v37, s46
	v_mul_lo_u32 v36, v34, s47
	s_lshl_b64 s[0:1], s[48:49], 3
	v_lshlrev_b64 v[0:1], 3, v[0:1]
	s_waitcnt lgkmcnt(0)
	s_add_u32 s0, s4, s0
	s_addc_u32 s1, s5, s1
	s_and_b32 vcc_lo, exec_lo, s10
	s_cbranch_vccnz .LBB9_8
; %bb.5:
	v_mad_u64_u32 v[38:39], null, v34, s46, 0
	v_mul_f64 v[40:41], s[14:15], v[30:31]
	v_mul_f64 v[42:43], s[14:15], v[26:27]
	;; [unrolled: 1-line block ×6, first 2 shown]
	v_add3_u32 v39, v39, v36, v35
	v_mul_f64 v[52:53], s[14:15], v[24:25]
	s_lshl_b64 s[4:5], s[46:47], 7
	v_lshlrev_b64 v[38:39], 3, v[38:39]
	v_add_co_u32 v54, vcc_lo, s0, v38
	v_add_co_ci_u32_e64 v55, null, s1, v39, vcc_lo
	v_mul_f64 v[38:39], s[14:15], v[20:21]
	v_add_co_u32 v58, vcc_lo, v54, s4
	v_add_co_ci_u32_e64 v59, null, s5, v55, vcc_lo
	v_add_co_u32 v54, vcc_lo, v54, v0
	v_add_co_ci_u32_e64 v55, null, v55, v1, vcc_lo
	;; [unrolled: 2-line block ×3, first 2 shown]
	flat_store_dwordx2 v[54:55], v[40:41]
	flat_store_dwordx2 v[54:55], v[42:43] offset:128
	flat_store_dwordx2 v[54:55], v[44:45] offset:256
	;; [unrolled: 1-line block ×3, first 2 shown]
	flat_store_dwordx2 v[56:57], v[48:49]
	flat_store_dwordx2 v[56:57], v[50:51] offset:128
	flat_store_dwordx2 v[56:57], v[52:53] offset:256
	v_mul_f64 v[40:41], s[14:15], v[22:23]
	v_mul_f64 v[54:55], s[14:15], v[2:3]
	;; [unrolled: 1-line block ×7, first 2 shown]
	v_add_co_u32 v58, vcc_lo, v58, s4
	v_mul_f64 v[52:53], s[14:15], v[4:5]
	v_add_co_ci_u32_e64 v59, null, s5, v59, vcc_lo
	flat_store_dwordx2 v[56:57], v[38:39] offset:384
	v_add_co_u32 v56, vcc_lo, v58, s4
	v_add_co_ci_u32_e64 v57, null, s5, v59, vcc_lo
	v_add_co_u32 v38, vcc_lo, v58, v0
	v_add_co_ci_u32_e64 v39, null, v59, v1, vcc_lo
	;; [unrolled: 2-line block ×3, first 2 shown]
	flat_store_dwordx2 v[38:39], v[40:41]
	flat_store_dwordx2 v[38:39], v[42:43] offset:128
	flat_store_dwordx2 v[38:39], v[44:45] offset:256
	;; [unrolled: 1-line block ×3, first 2 shown]
	flat_store_dwordx2 v[56:57], v[48:49]
	flat_store_dwordx2 v[56:57], v[50:51] offset:128
	flat_store_dwordx2 v[56:57], v[52:53] offset:256
	flat_store_dwordx2 v[56:57], v[54:55] offset:384
	s_cbranch_execnz .LBB9_7
.LBB9_6:
	v_mul_lo_u32 v39, v37, s40
	v_mul_lo_u32 v40, v34, s41
	v_mad_u64_u32 v[37:38], null, v34, s40, 0
	s_lshl_b64 s[4:5], s[42:43], 3
	v_mad_u64_u32 v[41:42], null, v34, s46, 0
	s_add_u32 s2, s2, s4
	s_addc_u32 s3, s3, s5
	v_add3_u32 v38, v38, v40, v39
	v_add3_u32 v42, v42, v36, v35
	v_lshlrev_b64 v[37:38], 3, v[37:38]
	v_lshlrev_b64 v[34:35], 3, v[41:42]
	v_add_co_u32 v43, vcc_lo, s2, v37
	v_add_co_ci_u32_e64 v44, null, s3, v38, vcc_lo
	s_lshl_b64 s[2:3], s[46:47], 7
	v_add_co_u32 v37, vcc_lo, v43, v0
	v_add_co_ci_u32_e64 v38, null, v44, v1, vcc_lo
	v_add_co_u32 v36, vcc_lo, s0, v34
	flat_load_dwordx2 v[39:40], v[37:38]
	s_waitcnt vmcnt(0) lgkmcnt(0)
	v_mul_f64 v[39:40], s[36:37], v[39:40]
	v_fma_f64 v[30:31], s[14:15], v[30:31], v[39:40]
	v_add_co_ci_u32_e64 v39, null, s1, v35, vcc_lo
	v_add_co_u32 v34, vcc_lo, v36, v0
	s_lshl_b64 s[0:1], s[40:41], 7
	v_add_co_ci_u32_e64 v35, null, v39, v1, vcc_lo
	flat_store_dwordx2 v[34:35], v[30:31]
	flat_load_dwordx2 v[30:31], v[37:38] offset:128
	s_waitcnt vmcnt(0) lgkmcnt(0)
	v_mul_f64 v[30:31], s[36:37], v[30:31]
	v_fma_f64 v[26:27], s[14:15], v[26:27], v[30:31]
	v_add_co_u32 v30, vcc_lo, v43, s0
	v_add_co_ci_u32_e64 v31, null, s1, v44, vcc_lo
	flat_store_dwordx2 v[34:35], v[26:27] offset:128
	flat_load_dwordx2 v[26:27], v[37:38] offset:256
	s_waitcnt vmcnt(0) lgkmcnt(0)
	v_mul_f64 v[26:27], s[36:37], v[26:27]
	v_fma_f64 v[18:19], s[14:15], v[18:19], v[26:27]
	flat_store_dwordx2 v[34:35], v[18:19] offset:256
	flat_load_dwordx2 v[18:19], v[37:38] offset:384
	s_waitcnt vmcnt(0) lgkmcnt(0)
	v_mul_f64 v[18:19], s[36:37], v[18:19]
	v_fma_f64 v[16:17], s[14:15], v[16:17], v[18:19]
	v_add_co_u32 v18, vcc_lo, v30, v0
	v_add_co_ci_u32_e64 v19, null, v31, v1, vcc_lo
	flat_store_dwordx2 v[34:35], v[16:17] offset:384
	flat_load_dwordx2 v[16:17], v[18:19]
	s_waitcnt vmcnt(0) lgkmcnt(0)
	v_mul_f64 v[16:17], s[36:37], v[16:17]
	v_fma_f64 v[16:17], s[14:15], v[32:33], v[16:17]
	v_add_co_u32 v32, vcc_lo, v36, s2
	v_add_co_ci_u32_e64 v33, null, s3, v39, vcc_lo
	v_add_co_u32 v26, vcc_lo, v32, v0
	v_add_co_ci_u32_e64 v27, null, v33, v1, vcc_lo
	flat_store_dwordx2 v[26:27], v[16:17]
	flat_load_dwordx2 v[16:17], v[18:19] offset:128
	s_waitcnt vmcnt(0) lgkmcnt(0)
	v_mul_f64 v[16:17], s[36:37], v[16:17]
	v_fma_f64 v[16:17], s[14:15], v[28:29], v[16:17]
	flat_store_dwordx2 v[26:27], v[16:17] offset:128
	flat_load_dwordx2 v[16:17], v[18:19] offset:256
	s_waitcnt vmcnt(0) lgkmcnt(0)
	v_mul_f64 v[16:17], s[36:37], v[16:17]
	v_fma_f64 v[16:17], s[14:15], v[24:25], v[16:17]
	v_add_co_u32 v24, vcc_lo, v30, s0
	v_add_co_ci_u32_e64 v25, null, s1, v31, vcc_lo
	flat_store_dwordx2 v[26:27], v[16:17] offset:256
	flat_load_dwordx2 v[16:17], v[18:19] offset:384
	v_add_co_u32 v18, vcc_lo, v24, v0
	v_add_co_ci_u32_e64 v19, null, v25, v1, vcc_lo
	s_waitcnt vmcnt(0) lgkmcnt(0)
	v_mul_f64 v[16:17], s[36:37], v[16:17]
	v_fma_f64 v[16:17], s[14:15], v[20:21], v[16:17]
	flat_store_dwordx2 v[26:27], v[16:17] offset:384
	flat_load_dwordx2 v[16:17], v[18:19]
	s_waitcnt vmcnt(0) lgkmcnt(0)
	v_mul_f64 v[16:17], s[36:37], v[16:17]
	v_fma_f64 v[16:17], s[14:15], v[22:23], v[16:17]
	v_add_co_u32 v22, vcc_lo, v32, s2
	v_add_co_ci_u32_e64 v23, null, s3, v33, vcc_lo
	v_add_co_u32 v20, vcc_lo, v22, v0
	v_add_co_ci_u32_e64 v21, null, v23, v1, vcc_lo
	flat_store_dwordx2 v[20:21], v[16:17]
	flat_load_dwordx2 v[16:17], v[18:19] offset:128
	s_waitcnt vmcnt(0) lgkmcnt(0)
	v_mul_f64 v[16:17], s[36:37], v[16:17]
	v_fma_f64 v[14:15], s[14:15], v[14:15], v[16:17]
	flat_store_dwordx2 v[20:21], v[14:15] offset:128
	flat_load_dwordx2 v[14:15], v[18:19] offset:256
	s_waitcnt vmcnt(0) lgkmcnt(0)
	v_mul_f64 v[14:15], s[36:37], v[14:15]
	v_fma_f64 v[12:13], s[14:15], v[12:13], v[14:15]
	flat_store_dwordx2 v[20:21], v[12:13] offset:256
	flat_load_dwordx2 v[12:13], v[18:19] offset:384
	s_waitcnt vmcnt(0) lgkmcnt(0)
	v_mul_f64 v[12:13], s[36:37], v[12:13]
	v_fma_f64 v[10:11], s[14:15], v[10:11], v[12:13]
	v_add_co_u32 v12, vcc_lo, v24, s0
	v_add_co_ci_u32_e64 v13, null, s1, v25, vcc_lo
	v_add_co_u32 v12, vcc_lo, v12, v0
	v_add_co_ci_u32_e64 v13, null, v13, v1, vcc_lo
	flat_store_dwordx2 v[20:21], v[10:11] offset:384
	flat_load_dwordx2 v[10:11], v[12:13]
	s_waitcnt vmcnt(0) lgkmcnt(0)
	v_mul_f64 v[10:11], s[36:37], v[10:11]
	v_fma_f64 v[8:9], s[14:15], v[8:9], v[10:11]
	v_add_co_u32 v10, vcc_lo, v22, s2
	v_add_co_ci_u32_e64 v11, null, s3, v23, vcc_lo
	v_add_co_u32 v0, vcc_lo, v10, v0
	v_add_co_ci_u32_e64 v1, null, v11, v1, vcc_lo
	flat_store_dwordx2 v[0:1], v[8:9]
	flat_load_dwordx2 v[8:9], v[12:13] offset:128
	s_waitcnt vmcnt(0) lgkmcnt(0)
	v_mul_f64 v[8:9], s[36:37], v[8:9]
	v_fma_f64 v[6:7], s[14:15], v[6:7], v[8:9]
	flat_store_dwordx2 v[0:1], v[6:7] offset:128
	flat_load_dwordx2 v[6:7], v[12:13] offset:256
	s_waitcnt vmcnt(0) lgkmcnt(0)
	v_mul_f64 v[6:7], s[36:37], v[6:7]
	v_fma_f64 v[4:5], s[14:15], v[4:5], v[6:7]
	flat_store_dwordx2 v[0:1], v[4:5] offset:256
	;; [unrolled: 5-line block ×3, first 2 shown]
.LBB9_7:
	s_endpgm
.LBB9_8:
	s_branch .LBB9_6
	.section	.rodata,"a",@progbits
	.p2align	6, 0x0
	.amdhsa_kernel _ZN12_GLOBAL__N_127rocblas_gemm_batched_kernelIdLi16ELi16ELi64ELi64ELi4ELi64ELi4ELi4ELi64ELc84ELc67EKPKdS3_KPdEEvlllT_PT11_llS8_llS6_PT12_llPT13_lli
		.amdhsa_group_segment_fixed_size 4096
		.amdhsa_private_segment_fixed_size 0
		.amdhsa_kernarg_size 140
		.amdhsa_user_sgpr_count 6
		.amdhsa_user_sgpr_private_segment_buffer 1
		.amdhsa_user_sgpr_dispatch_ptr 0
		.amdhsa_user_sgpr_queue_ptr 0
		.amdhsa_user_sgpr_kernarg_segment_ptr 1
		.amdhsa_user_sgpr_dispatch_id 0
		.amdhsa_user_sgpr_flat_scratch_init 0
		.amdhsa_user_sgpr_private_segment_size 0
		.amdhsa_wavefront_size32 1
		.amdhsa_uses_dynamic_stack 0
		.amdhsa_system_sgpr_private_segment_wavefront_offset 0
		.amdhsa_system_sgpr_workgroup_id_x 1
		.amdhsa_system_sgpr_workgroup_id_y 1
		.amdhsa_system_sgpr_workgroup_id_z 1
		.amdhsa_system_sgpr_workgroup_info 0
		.amdhsa_system_vgpr_workitem_id 1
		.amdhsa_next_free_vgpr 78
		.amdhsa_next_free_sgpr 52
		.amdhsa_reserve_vcc 1
		.amdhsa_reserve_flat_scratch 0
		.amdhsa_float_round_mode_32 0
		.amdhsa_float_round_mode_16_64 0
		.amdhsa_float_denorm_mode_32 3
		.amdhsa_float_denorm_mode_16_64 3
		.amdhsa_dx10_clamp 1
		.amdhsa_ieee_mode 1
		.amdhsa_fp16_overflow 0
		.amdhsa_workgroup_processor_mode 1
		.amdhsa_memory_ordered 1
		.amdhsa_forward_progress 1
		.amdhsa_shared_vgpr_count 0
		.amdhsa_exception_fp_ieee_invalid_op 0
		.amdhsa_exception_fp_denorm_src 0
		.amdhsa_exception_fp_ieee_div_zero 0
		.amdhsa_exception_fp_ieee_overflow 0
		.amdhsa_exception_fp_ieee_underflow 0
		.amdhsa_exception_fp_ieee_inexact 0
		.amdhsa_exception_int_div_zero 0
	.end_amdhsa_kernel
	.section	.text._ZN12_GLOBAL__N_127rocblas_gemm_batched_kernelIdLi16ELi16ELi64ELi64ELi4ELi64ELi4ELi4ELi64ELc84ELc67EKPKdS3_KPdEEvlllT_PT11_llS8_llS6_PT12_llPT13_lli,"axG",@progbits,_ZN12_GLOBAL__N_127rocblas_gemm_batched_kernelIdLi16ELi16ELi64ELi64ELi4ELi64ELi4ELi4ELi64ELc84ELc67EKPKdS3_KPdEEvlllT_PT11_llS8_llS6_PT12_llPT13_lli,comdat
.Lfunc_end9:
	.size	_ZN12_GLOBAL__N_127rocblas_gemm_batched_kernelIdLi16ELi16ELi64ELi64ELi4ELi64ELi4ELi4ELi64ELc84ELc67EKPKdS3_KPdEEvlllT_PT11_llS8_llS6_PT12_llPT13_lli, .Lfunc_end9-_ZN12_GLOBAL__N_127rocblas_gemm_batched_kernelIdLi16ELi16ELi64ELi64ELi4ELi64ELi4ELi4ELi64ELc84ELc67EKPKdS3_KPdEEvlllT_PT11_llS8_llS6_PT12_llPT13_lli
                                        ; -- End function
	.set _ZN12_GLOBAL__N_127rocblas_gemm_batched_kernelIdLi16ELi16ELi64ELi64ELi4ELi64ELi4ELi4ELi64ELc84ELc67EKPKdS3_KPdEEvlllT_PT11_llS8_llS6_PT12_llPT13_lli.num_vgpr, 78
	.set _ZN12_GLOBAL__N_127rocblas_gemm_batched_kernelIdLi16ELi16ELi64ELi64ELi4ELi64ELi4ELi4ELi64ELc84ELc67EKPKdS3_KPdEEvlllT_PT11_llS8_llS6_PT12_llPT13_lli.num_agpr, 0
	.set _ZN12_GLOBAL__N_127rocblas_gemm_batched_kernelIdLi16ELi16ELi64ELi64ELi4ELi64ELi4ELi4ELi64ELc84ELc67EKPKdS3_KPdEEvlllT_PT11_llS8_llS6_PT12_llPT13_lli.numbered_sgpr, 52
	.set _ZN12_GLOBAL__N_127rocblas_gemm_batched_kernelIdLi16ELi16ELi64ELi64ELi4ELi64ELi4ELi4ELi64ELc84ELc67EKPKdS3_KPdEEvlllT_PT11_llS8_llS6_PT12_llPT13_lli.num_named_barrier, 0
	.set _ZN12_GLOBAL__N_127rocblas_gemm_batched_kernelIdLi16ELi16ELi64ELi64ELi4ELi64ELi4ELi4ELi64ELc84ELc67EKPKdS3_KPdEEvlllT_PT11_llS8_llS6_PT12_llPT13_lli.private_seg_size, 0
	.set _ZN12_GLOBAL__N_127rocblas_gemm_batched_kernelIdLi16ELi16ELi64ELi64ELi4ELi64ELi4ELi4ELi64ELc84ELc67EKPKdS3_KPdEEvlllT_PT11_llS8_llS6_PT12_llPT13_lli.uses_vcc, 1
	.set _ZN12_GLOBAL__N_127rocblas_gemm_batched_kernelIdLi16ELi16ELi64ELi64ELi4ELi64ELi4ELi4ELi64ELc84ELc67EKPKdS3_KPdEEvlllT_PT11_llS8_llS6_PT12_llPT13_lli.uses_flat_scratch, 0
	.set _ZN12_GLOBAL__N_127rocblas_gemm_batched_kernelIdLi16ELi16ELi64ELi64ELi4ELi64ELi4ELi4ELi64ELc84ELc67EKPKdS3_KPdEEvlllT_PT11_llS8_llS6_PT12_llPT13_lli.has_dyn_sized_stack, 0
	.set _ZN12_GLOBAL__N_127rocblas_gemm_batched_kernelIdLi16ELi16ELi64ELi64ELi4ELi64ELi4ELi4ELi64ELc84ELc67EKPKdS3_KPdEEvlllT_PT11_llS8_llS6_PT12_llPT13_lli.has_recursion, 0
	.set _ZN12_GLOBAL__N_127rocblas_gemm_batched_kernelIdLi16ELi16ELi64ELi64ELi4ELi64ELi4ELi4ELi64ELc84ELc67EKPKdS3_KPdEEvlllT_PT11_llS8_llS6_PT12_llPT13_lli.has_indirect_call, 0
	.section	.AMDGPU.csdata,"",@progbits
; Kernel info:
; codeLenInByte = 2900
; TotalNumSgprs: 54
; NumVgprs: 78
; ScratchSize: 0
; MemoryBound: 0
; FloatMode: 240
; IeeeMode: 1
; LDSByteSize: 4096 bytes/workgroup (compile time only)
; SGPRBlocks: 0
; VGPRBlocks: 9
; NumSGPRsForWavesPerEU: 54
; NumVGPRsForWavesPerEU: 78
; Occupancy: 12
; WaveLimiterHint : 1
; COMPUTE_PGM_RSRC2:SCRATCH_EN: 0
; COMPUTE_PGM_RSRC2:USER_SGPR: 6
; COMPUTE_PGM_RSRC2:TRAP_HANDLER: 0
; COMPUTE_PGM_RSRC2:TGID_X_EN: 1
; COMPUTE_PGM_RSRC2:TGID_Y_EN: 1
; COMPUTE_PGM_RSRC2:TGID_Z_EN: 1
; COMPUTE_PGM_RSRC2:TIDIG_COMP_CNT: 1
	.section	.text._ZN12_GLOBAL__N_127rocblas_gemm_batched_kernelIdLi16ELi16ELi32ELi32ELi8ELi32ELi8ELi8ELi32ELc78ELc78EKPKdS3_KPdEEvlllT_PT11_llS8_llS6_PT12_llPT13_lli,"axG",@progbits,_ZN12_GLOBAL__N_127rocblas_gemm_batched_kernelIdLi16ELi16ELi32ELi32ELi8ELi32ELi8ELi8ELi32ELc78ELc78EKPKdS3_KPdEEvlllT_PT11_llS8_llS6_PT12_llPT13_lli,comdat
	.globl	_ZN12_GLOBAL__N_127rocblas_gemm_batched_kernelIdLi16ELi16ELi32ELi32ELi8ELi32ELi8ELi8ELi32ELc78ELc78EKPKdS3_KPdEEvlllT_PT11_llS8_llS6_PT12_llPT13_lli ; -- Begin function _ZN12_GLOBAL__N_127rocblas_gemm_batched_kernelIdLi16ELi16ELi32ELi32ELi8ELi32ELi8ELi8ELi32ELc78ELc78EKPKdS3_KPdEEvlllT_PT11_llS8_llS6_PT12_llPT13_lli
	.p2align	8
	.type	_ZN12_GLOBAL__N_127rocblas_gemm_batched_kernelIdLi16ELi16ELi32ELi32ELi8ELi32ELi8ELi8ELi32ELc78ELc78EKPKdS3_KPdEEvlllT_PT11_llS8_llS6_PT12_llPT13_lli,@function
_ZN12_GLOBAL__N_127rocblas_gemm_batched_kernelIdLi16ELi16ELi32ELi32ELi8ELi32ELi8ELi8ELi32ELc78ELc78EKPKdS3_KPdEEvlllT_PT11_llS8_llS6_PT12_llPT13_lli: ; @_ZN12_GLOBAL__N_127rocblas_gemm_batched_kernelIdLi16ELi16ELi32ELi32ELi8ELi32ELi8ELi8ELi32ELc78ELc78EKPKdS3_KPdEEvlllT_PT11_llS8_llS6_PT12_llPT13_lli
; %bb.0:
	s_clause 0x2
	s_load_dwordx8 s[36:43], s[4:5], 0x50
	s_load_dwordx8 s[44:51], s[4:5], 0x70
	s_load_dwordx16 s[12:27], s[4:5], 0x10
	s_mov_b32 s9, 0
	s_mov_b32 s10, s7
	s_lshl_b64 s[0:1], s[8:9], 3
	s_waitcnt lgkmcnt(0)
	s_add_u32 s2, s38, s0
	s_addc_u32 s3, s39, s1
	s_add_u32 s4, s44, s0
	s_addc_u32 s5, s45, s1
	s_load_dwordx2 s[2:3], s[2:3], 0x0
	s_load_dwordx2 s[4:5], s[4:5], 0x0
	v_cmp_lt_i64_e64 s8, s[12:13], 1
	s_ashr_i32 s7, s6, 31
	s_ashr_i32 s11, s10, 31
	s_lshl_b64 s[6:7], s[6:7], 5
	s_and_b32 vcc_lo, exec_lo, s8
	s_lshl_b64 s[8:9], s[10:11], 5
	s_cbranch_vccnz .LBB10_3
; %bb.1:
	v_lshl_add_u32 v4, v1, 4, v0
	v_and_b32_e32 v5, 7, v0
	s_add_u32 s10, s16, s0
	v_lshlrev_b32_e32 v14, 3, v0
	v_lshl_add_u32 v15, v1, 6, 0x800
	v_lshrrev_b32_e32 v6, 3, v4
	v_lshlrev_b32_e32 v11, 3, v5
	v_lshrrev_b32_e32 v9, 5, v4
	v_and_b32_e32 v10, 31, v4
	v_add_co_u32 v2, s11, v6, s8
	v_add_co_ci_u32_e64 v3, null, 0, s9, s11
	s_addc_u32 s11, s17, s1
	v_mul_lo_u32 v7, s25, v2
	s_add_u32 s0, s22, s0
	v_mul_lo_u32 v8, s24, v3
	v_mad_u64_u32 v[2:3], null, s24, v2, 0
	v_lshl_or_b32 v6, v6, 6, v11
	s_addc_u32 s1, s23, s1
	v_mad_u64_u32 v[4:5], null, s18, v9, s[6:7]
	s_load_dwordx2 s[0:1], s[0:1], 0x0
	s_lshl_b64 s[16:17], s[26:27], 3
	v_add3_u32 v3, v3, v8, v7
	v_lshlrev_b32_e32 v7, 3, v10
	v_add_nc_u32_e32 v17, 0x800, v6
	s_load_dwordx2 s[10:11], s[10:11], 0x0
	v_lshlrev_b64 v[2:3], 3, v[2:3]
	v_lshl_or_b32 v16, v9, 8, v7
	v_add_co_u32 v6, vcc_lo, v2, s16
	v_add_co_ci_u32_e64 v7, null, s17, v3, vcc_lo
	s_mov_b64 s[16:17], 0
	v_mad_u64_u32 v[2:3], null, s19, v9, v[5:6]
	v_add_co_u32 v5, vcc_lo, v6, v11
	v_add_co_ci_u32_e64 v6, null, 0, v7, vcc_lo
	v_add_co_u32 v3, vcc_lo, v4, v10
	v_add_co_ci_u32_e64 v4, null, 0, v2, vcc_lo
	s_waitcnt lgkmcnt(0)
	v_add_co_u32 v10, vcc_lo, s0, v5
	v_add_co_ci_u32_e64 v11, null, s1, v6, vcc_lo
	v_lshlrev_b64 v[12:13], 3, v[3:4]
	s_lshl_b64 s[0:1], s[20:21], 3
	v_mov_b32_e32 v2, 0
	s_add_u32 s0, s10, s0
	s_addc_u32 s1, s11, s1
	v_mov_b32_e32 v4, 0
	v_add_co_u32 v12, vcc_lo, s0, v12
	v_mov_b32_e32 v6, 0
	v_mov_b32_e32 v8, 0
	;; [unrolled: 1-line block ×6, first 2 shown]
	v_add_co_ci_u32_e64 v13, null, s1, v13, vcc_lo
	s_lshl_b64 s[10:11], s[18:19], 6
.LBB10_2:                               ; =>This Inner Loop Header: Depth=1
	flat_load_dwordx2 v[18:19], v[12:13]
	s_add_u32 s16, s16, 8
	s_addc_u32 s17, s17, 0
	v_add_co_u32 v12, vcc_lo, v12, s10
	v_cmp_lt_i64_e64 s0, s[16:17], s[12:13]
	v_add_co_ci_u32_e64 v13, null, s11, v13, vcc_lo
	s_and_b32 vcc_lo, exec_lo, s0
	s_waitcnt vmcnt(0) lgkmcnt(0)
	ds_write_b64 v16, v[18:19]
	flat_load_dwordx2 v[18:19], v[10:11]
	v_add_co_u32 v10, s0, v10, 64
	v_add_co_ci_u32_e64 v11, null, 0, v11, s0
	s_waitcnt vmcnt(0) lgkmcnt(0)
	ds_write_b64 v17, v[18:19]
	s_waitcnt lgkmcnt(0)
	s_barrier
	buffer_gl0_inv
	ds_read_b128 v[18:21], v15
	ds_read2_b64 v[22:25], v14 offset1:16
	ds_read_b128 v[26:29], v15 offset:1024
	ds_read_b128 v[30:33], v15 offset:16
	;; [unrolled: 1-line block ×3, first 2 shown]
	s_waitcnt lgkmcnt(3)
	v_fma_f64 v[8:9], v[22:23], v[18:19], v[8:9]
	v_fma_f64 v[6:7], v[24:25], v[18:19], v[6:7]
	s_waitcnt lgkmcnt(2)
	v_fma_f64 v[18:19], v[22:23], v[26:27], v[4:5]
	v_fma_f64 v[22:23], v[24:25], v[26:27], v[2:3]
	ds_read2_b64 v[2:5], v14 offset0:32 offset1:48
	s_waitcnt lgkmcnt(0)
	v_fma_f64 v[8:9], v[2:3], v[20:21], v[8:9]
	v_fma_f64 v[6:7], v[4:5], v[20:21], v[6:7]
	;; [unrolled: 1-line block ×4, first 2 shown]
	ds_read2_b64 v[2:5], v14 offset0:64 offset1:80
	s_waitcnt lgkmcnt(0)
	v_fma_f64 v[22:23], v[2:3], v[30:31], v[8:9]
	v_fma_f64 v[24:25], v[4:5], v[30:31], v[6:7]
	;; [unrolled: 1-line block ×4, first 2 shown]
	ds_read2_b64 v[2:5], v14 offset0:96 offset1:112
	ds_read_b128 v[6:9], v15 offset:32
	ds_read2_b64 v[18:21], v14 offset0:128 offset1:144
	s_waitcnt lgkmcnt(2)
	v_fma_f64 v[30:31], v[2:3], v[32:33], v[22:23]
	v_fma_f64 v[32:33], v[4:5], v[32:33], v[24:25]
	;; [unrolled: 1-line block ×4, first 2 shown]
	ds_read_b128 v[2:5], v15 offset:1056
	ds_read_b128 v[22:25], v15 offset:48
	;; [unrolled: 1-line block ×3, first 2 shown]
	s_waitcnt lgkmcnt(3)
	v_fma_f64 v[30:31], v[18:19], v[6:7], v[30:31]
	v_fma_f64 v[6:7], v[20:21], v[6:7], v[32:33]
	s_waitcnt lgkmcnt(2)
	v_fma_f64 v[32:33], v[18:19], v[2:3], v[34:35]
	v_fma_f64 v[2:3], v[20:21], v[2:3], v[36:37]
	ds_read2_b64 v[18:21], v14 offset0:160 offset1:176
	s_waitcnt lgkmcnt(0)
	v_fma_f64 v[30:31], v[18:19], v[8:9], v[30:31]
	v_fma_f64 v[6:7], v[20:21], v[8:9], v[6:7]
	;; [unrolled: 1-line block ×4, first 2 shown]
	ds_read2_b64 v[2:5], v14 offset0:192 offset1:208
	s_waitcnt lgkmcnt(0)
	v_fma_f64 v[30:31], v[2:3], v[22:23], v[30:31]
	v_fma_f64 v[6:7], v[4:5], v[22:23], v[6:7]
	v_fma_f64 v[2:3], v[2:3], v[26:27], v[8:9]
	v_fma_f64 v[22:23], v[4:5], v[26:27], v[18:19]
	ds_read2_b64 v[18:21], v14 offset0:224 offset1:240
	s_waitcnt lgkmcnt(0)
	s_barrier
	buffer_gl0_inv
	v_fma_f64 v[8:9], v[18:19], v[24:25], v[30:31]
	v_fma_f64 v[6:7], v[20:21], v[24:25], v[6:7]
	;; [unrolled: 1-line block ×4, first 2 shown]
	s_cbranch_vccnz .LBB10_2
	s_branch .LBB10_4
.LBB10_3:
	v_mov_b32_e32 v8, 0
	v_mov_b32_e32 v6, 0
	;; [unrolled: 1-line block ×8, first 2 shown]
.LBB10_4:
	v_cmp_neq_f64_e64 s10, s[36:37], 0
	v_add_co_u32 v10, s8, s8, v1
	v_add_co_ci_u32_e64 v13, null, s9, 0, s8
	v_add_co_u32 v0, s6, s6, v0
	v_add_co_ci_u32_e64 v1, null, s7, 0, s6
	v_mul_lo_u32 v11, v13, s46
	v_mul_lo_u32 v12, v10, s47
	s_lshl_b64 s[0:1], s[48:49], 3
	v_lshlrev_b64 v[0:1], 3, v[0:1]
	s_waitcnt lgkmcnt(0)
	s_add_u32 s0, s4, s0
	s_addc_u32 s1, s5, s1
	s_and_b32 vcc_lo, exec_lo, s10
	s_cbranch_vccnz .LBB10_8
; %bb.5:
	v_mad_u64_u32 v[14:15], null, v10, s46, 0
	v_mul_f64 v[16:17], s[14:15], v[8:9]
	v_mul_f64 v[18:19], s[14:15], v[6:7]
	v_mul_f64 v[20:21], s[14:15], v[4:5]
	v_mul_f64 v[22:23], s[14:15], v[2:3]
	s_lshl_b64 s[4:5], s[46:47], 7
	v_add3_u32 v15, v15, v12, v11
	v_lshlrev_b64 v[14:15], 3, v[14:15]
	v_add_co_u32 v14, vcc_lo, s0, v14
	v_add_co_ci_u32_e64 v15, null, s1, v15, vcc_lo
	v_add_co_u32 v24, vcc_lo, v14, s4
	v_add_co_ci_u32_e64 v25, null, s5, v15, vcc_lo
	;; [unrolled: 2-line block ×4, first 2 shown]
	flat_store_dwordx2 v[14:15], v[16:17]
	flat_store_dwordx2 v[14:15], v[18:19] offset:128
	flat_store_dwordx2 v[24:25], v[20:21]
	flat_store_dwordx2 v[24:25], v[22:23] offset:128
	s_cbranch_execnz .LBB10_7
.LBB10_6:
	v_mul_lo_u32 v15, v13, s40
	v_mul_lo_u32 v16, v10, s41
	v_mad_u64_u32 v[13:14], null, v10, s40, 0
	s_lshl_b64 s[4:5], s[42:43], 3
	v_mad_u64_u32 v[17:18], null, v10, s46, 0
	s_add_u32 s2, s2, s4
	s_addc_u32 s3, s3, s5
	v_add3_u32 v14, v14, v16, v15
	v_add3_u32 v18, v18, v12, v11
	v_lshlrev_b64 v[13:14], 3, v[13:14]
	v_lshlrev_b64 v[10:11], 3, v[17:18]
	v_add_co_u32 v19, vcc_lo, s2, v13
	v_add_co_ci_u32_e64 v20, null, s3, v14, vcc_lo
	v_add_co_u32 v13, vcc_lo, v19, v0
	v_add_co_ci_u32_e64 v14, null, v20, v1, vcc_lo
	v_add_co_u32 v12, vcc_lo, s0, v10
	flat_load_dwordx2 v[15:16], v[13:14]
	s_waitcnt vmcnt(0) lgkmcnt(0)
	v_mul_f64 v[15:16], s[36:37], v[15:16]
	v_fma_f64 v[8:9], s[14:15], v[8:9], v[15:16]
	v_add_co_ci_u32_e64 v15, null, s1, v11, vcc_lo
	v_add_co_u32 v10, vcc_lo, v12, v0
	s_lshl_b64 s[0:1], s[40:41], 7
	v_add_co_ci_u32_e64 v11, null, v15, v1, vcc_lo
	flat_store_dwordx2 v[10:11], v[8:9]
	flat_load_dwordx2 v[8:9], v[13:14] offset:128
	s_waitcnt vmcnt(0) lgkmcnt(0)
	v_mul_f64 v[8:9], s[36:37], v[8:9]
	v_fma_f64 v[6:7], s[14:15], v[6:7], v[8:9]
	v_add_co_u32 v8, vcc_lo, v19, s0
	v_add_co_ci_u32_e64 v9, null, s1, v20, vcc_lo
	s_lshl_b64 s[0:1], s[46:47], 7
	v_add_co_u32 v8, vcc_lo, v8, v0
	v_add_co_ci_u32_e64 v9, null, v9, v1, vcc_lo
	flat_store_dwordx2 v[10:11], v[6:7] offset:128
	flat_load_dwordx2 v[6:7], v[8:9]
	s_waitcnt vmcnt(0) lgkmcnt(0)
	v_mul_f64 v[6:7], s[36:37], v[6:7]
	v_fma_f64 v[4:5], s[14:15], v[4:5], v[6:7]
	v_add_co_u32 v6, vcc_lo, v12, s0
	v_add_co_ci_u32_e64 v7, null, s1, v15, vcc_lo
	v_add_co_u32 v0, vcc_lo, v6, v0
	v_add_co_ci_u32_e64 v1, null, v7, v1, vcc_lo
	flat_store_dwordx2 v[0:1], v[4:5]
	flat_load_dwordx2 v[4:5], v[8:9] offset:128
	s_waitcnt vmcnt(0) lgkmcnt(0)
	v_mul_f64 v[4:5], s[36:37], v[4:5]
	v_fma_f64 v[2:3], s[14:15], v[2:3], v[4:5]
	flat_store_dwordx2 v[0:1], v[2:3] offset:128
.LBB10_7:
	s_endpgm
.LBB10_8:
	s_branch .LBB10_6
	.section	.rodata,"a",@progbits
	.p2align	6, 0x0
	.amdhsa_kernel _ZN12_GLOBAL__N_127rocblas_gemm_batched_kernelIdLi16ELi16ELi32ELi32ELi8ELi32ELi8ELi8ELi32ELc78ELc78EKPKdS3_KPdEEvlllT_PT11_llS8_llS6_PT12_llPT13_lli
		.amdhsa_group_segment_fixed_size 4096
		.amdhsa_private_segment_fixed_size 0
		.amdhsa_kernarg_size 140
		.amdhsa_user_sgpr_count 6
		.amdhsa_user_sgpr_private_segment_buffer 1
		.amdhsa_user_sgpr_dispatch_ptr 0
		.amdhsa_user_sgpr_queue_ptr 0
		.amdhsa_user_sgpr_kernarg_segment_ptr 1
		.amdhsa_user_sgpr_dispatch_id 0
		.amdhsa_user_sgpr_flat_scratch_init 0
		.amdhsa_user_sgpr_private_segment_size 0
		.amdhsa_wavefront_size32 1
		.amdhsa_uses_dynamic_stack 0
		.amdhsa_system_sgpr_private_segment_wavefront_offset 0
		.amdhsa_system_sgpr_workgroup_id_x 1
		.amdhsa_system_sgpr_workgroup_id_y 1
		.amdhsa_system_sgpr_workgroup_id_z 1
		.amdhsa_system_sgpr_workgroup_info 0
		.amdhsa_system_vgpr_workitem_id 1
		.amdhsa_next_free_vgpr 38
		.amdhsa_next_free_sgpr 52
		.amdhsa_reserve_vcc 1
		.amdhsa_reserve_flat_scratch 0
		.amdhsa_float_round_mode_32 0
		.amdhsa_float_round_mode_16_64 0
		.amdhsa_float_denorm_mode_32 3
		.amdhsa_float_denorm_mode_16_64 3
		.amdhsa_dx10_clamp 1
		.amdhsa_ieee_mode 1
		.amdhsa_fp16_overflow 0
		.amdhsa_workgroup_processor_mode 1
		.amdhsa_memory_ordered 1
		.amdhsa_forward_progress 1
		.amdhsa_shared_vgpr_count 0
		.amdhsa_exception_fp_ieee_invalid_op 0
		.amdhsa_exception_fp_denorm_src 0
		.amdhsa_exception_fp_ieee_div_zero 0
		.amdhsa_exception_fp_ieee_overflow 0
		.amdhsa_exception_fp_ieee_underflow 0
		.amdhsa_exception_fp_ieee_inexact 0
		.amdhsa_exception_int_div_zero 0
	.end_amdhsa_kernel
	.section	.text._ZN12_GLOBAL__N_127rocblas_gemm_batched_kernelIdLi16ELi16ELi32ELi32ELi8ELi32ELi8ELi8ELi32ELc78ELc78EKPKdS3_KPdEEvlllT_PT11_llS8_llS6_PT12_llPT13_lli,"axG",@progbits,_ZN12_GLOBAL__N_127rocblas_gemm_batched_kernelIdLi16ELi16ELi32ELi32ELi8ELi32ELi8ELi8ELi32ELc78ELc78EKPKdS3_KPdEEvlllT_PT11_llS8_llS6_PT12_llPT13_lli,comdat
.Lfunc_end10:
	.size	_ZN12_GLOBAL__N_127rocblas_gemm_batched_kernelIdLi16ELi16ELi32ELi32ELi8ELi32ELi8ELi8ELi32ELc78ELc78EKPKdS3_KPdEEvlllT_PT11_llS8_llS6_PT12_llPT13_lli, .Lfunc_end10-_ZN12_GLOBAL__N_127rocblas_gemm_batched_kernelIdLi16ELi16ELi32ELi32ELi8ELi32ELi8ELi8ELi32ELc78ELc78EKPKdS3_KPdEEvlllT_PT11_llS8_llS6_PT12_llPT13_lli
                                        ; -- End function
	.set _ZN12_GLOBAL__N_127rocblas_gemm_batched_kernelIdLi16ELi16ELi32ELi32ELi8ELi32ELi8ELi8ELi32ELc78ELc78EKPKdS3_KPdEEvlllT_PT11_llS8_llS6_PT12_llPT13_lli.num_vgpr, 38
	.set _ZN12_GLOBAL__N_127rocblas_gemm_batched_kernelIdLi16ELi16ELi32ELi32ELi8ELi32ELi8ELi8ELi32ELc78ELc78EKPKdS3_KPdEEvlllT_PT11_llS8_llS6_PT12_llPT13_lli.num_agpr, 0
	.set _ZN12_GLOBAL__N_127rocblas_gemm_batched_kernelIdLi16ELi16ELi32ELi32ELi8ELi32ELi8ELi8ELi32ELc78ELc78EKPKdS3_KPdEEvlllT_PT11_llS8_llS6_PT12_llPT13_lli.numbered_sgpr, 52
	.set _ZN12_GLOBAL__N_127rocblas_gemm_batched_kernelIdLi16ELi16ELi32ELi32ELi8ELi32ELi8ELi8ELi32ELc78ELc78EKPKdS3_KPdEEvlllT_PT11_llS8_llS6_PT12_llPT13_lli.num_named_barrier, 0
	.set _ZN12_GLOBAL__N_127rocblas_gemm_batched_kernelIdLi16ELi16ELi32ELi32ELi8ELi32ELi8ELi8ELi32ELc78ELc78EKPKdS3_KPdEEvlllT_PT11_llS8_llS6_PT12_llPT13_lli.private_seg_size, 0
	.set _ZN12_GLOBAL__N_127rocblas_gemm_batched_kernelIdLi16ELi16ELi32ELi32ELi8ELi32ELi8ELi8ELi32ELc78ELc78EKPKdS3_KPdEEvlllT_PT11_llS8_llS6_PT12_llPT13_lli.uses_vcc, 1
	.set _ZN12_GLOBAL__N_127rocblas_gemm_batched_kernelIdLi16ELi16ELi32ELi32ELi8ELi32ELi8ELi8ELi32ELc78ELc78EKPKdS3_KPdEEvlllT_PT11_llS8_llS6_PT12_llPT13_lli.uses_flat_scratch, 0
	.set _ZN12_GLOBAL__N_127rocblas_gemm_batched_kernelIdLi16ELi16ELi32ELi32ELi8ELi32ELi8ELi8ELi32ELc78ELc78EKPKdS3_KPdEEvlllT_PT11_llS8_llS6_PT12_llPT13_lli.has_dyn_sized_stack, 0
	.set _ZN12_GLOBAL__N_127rocblas_gemm_batched_kernelIdLi16ELi16ELi32ELi32ELi8ELi32ELi8ELi8ELi32ELc78ELc78EKPKdS3_KPdEEvlllT_PT11_llS8_llS6_PT12_llPT13_lli.has_recursion, 0
	.set _ZN12_GLOBAL__N_127rocblas_gemm_batched_kernelIdLi16ELi16ELi32ELi32ELi8ELi32ELi8ELi8ELi32ELc78ELc78EKPKdS3_KPdEEvlllT_PT11_llS8_llS6_PT12_llPT13_lli.has_indirect_call, 0
	.section	.AMDGPU.csdata,"",@progbits
; Kernel info:
; codeLenInByte = 1628
; TotalNumSgprs: 54
; NumVgprs: 38
; ScratchSize: 0
; MemoryBound: 0
; FloatMode: 240
; IeeeMode: 1
; LDSByteSize: 4096 bytes/workgroup (compile time only)
; SGPRBlocks: 0
; VGPRBlocks: 4
; NumSGPRsForWavesPerEU: 54
; NumVGPRsForWavesPerEU: 38
; Occupancy: 16
; WaveLimiterHint : 1
; COMPUTE_PGM_RSRC2:SCRATCH_EN: 0
; COMPUTE_PGM_RSRC2:USER_SGPR: 6
; COMPUTE_PGM_RSRC2:TRAP_HANDLER: 0
; COMPUTE_PGM_RSRC2:TGID_X_EN: 1
; COMPUTE_PGM_RSRC2:TGID_Y_EN: 1
; COMPUTE_PGM_RSRC2:TGID_Z_EN: 1
; COMPUTE_PGM_RSRC2:TIDIG_COMP_CNT: 1
	.section	.text._ZN12_GLOBAL__N_127rocblas_gemm_batched_kernelIdLi16ELi16ELi32ELi32ELi8ELi32ELi8ELi8ELi32ELc84ELc78EKPKdS3_KPdEEvlllT_PT11_llS8_llS6_PT12_llPT13_lli,"axG",@progbits,_ZN12_GLOBAL__N_127rocblas_gemm_batched_kernelIdLi16ELi16ELi32ELi32ELi8ELi32ELi8ELi8ELi32ELc84ELc78EKPKdS3_KPdEEvlllT_PT11_llS8_llS6_PT12_llPT13_lli,comdat
	.globl	_ZN12_GLOBAL__N_127rocblas_gemm_batched_kernelIdLi16ELi16ELi32ELi32ELi8ELi32ELi8ELi8ELi32ELc84ELc78EKPKdS3_KPdEEvlllT_PT11_llS8_llS6_PT12_llPT13_lli ; -- Begin function _ZN12_GLOBAL__N_127rocblas_gemm_batched_kernelIdLi16ELi16ELi32ELi32ELi8ELi32ELi8ELi8ELi32ELc84ELc78EKPKdS3_KPdEEvlllT_PT11_llS8_llS6_PT12_llPT13_lli
	.p2align	8
	.type	_ZN12_GLOBAL__N_127rocblas_gemm_batched_kernelIdLi16ELi16ELi32ELi32ELi8ELi32ELi8ELi8ELi32ELc84ELc78EKPKdS3_KPdEEvlllT_PT11_llS8_llS6_PT12_llPT13_lli,@function
_ZN12_GLOBAL__N_127rocblas_gemm_batched_kernelIdLi16ELi16ELi32ELi32ELi8ELi32ELi8ELi8ELi32ELc84ELc78EKPKdS3_KPdEEvlllT_PT11_llS8_llS6_PT12_llPT13_lli: ; @_ZN12_GLOBAL__N_127rocblas_gemm_batched_kernelIdLi16ELi16ELi32ELi32ELi8ELi32ELi8ELi8ELi32ELc84ELc78EKPKdS3_KPdEEvlllT_PT11_llS8_llS6_PT12_llPT13_lli
; %bb.0:
	s_clause 0x2
	s_load_dwordx8 s[36:43], s[4:5], 0x50
	s_load_dwordx8 s[44:51], s[4:5], 0x70
	s_load_dwordx16 s[12:27], s[4:5], 0x10
	s_mov_b32 s9, 0
	s_mov_b32 s10, s7
	s_lshl_b64 s[0:1], s[8:9], 3
	s_waitcnt lgkmcnt(0)
	s_add_u32 s2, s38, s0
	s_addc_u32 s3, s39, s1
	s_add_u32 s4, s44, s0
	s_addc_u32 s5, s45, s1
	s_load_dwordx2 s[2:3], s[2:3], 0x0
	s_load_dwordx2 s[4:5], s[4:5], 0x0
	v_cmp_lt_i64_e64 s8, s[12:13], 1
	s_ashr_i32 s7, s6, 31
	s_ashr_i32 s11, s10, 31
	s_lshl_b64 s[6:7], s[6:7], 5
	s_and_b32 vcc_lo, exec_lo, s8
	s_lshl_b64 s[8:9], s[10:11], 5
	s_cbranch_vccnz .LBB11_3
; %bb.1:
	v_lshl_add_u32 v2, v1, 4, v0
	s_add_u32 s10, s16, s0
	v_and_b32_e32 v4, 7, v0
	s_addc_u32 s11, s17, s1
	s_add_u32 s0, s22, s0
	v_lshrrev_b32_e32 v5, 3, v2
	v_and_b32_e32 v7, 31, v2
	v_lshrrev_b32_e32 v8, 5, v2
	v_lshlrev_b32_e32 v10, 3, v4
	s_addc_u32 s1, s23, s1
	v_add_co_u32 v3, s16, v5, s8
	v_add_co_ci_u32_e64 v6, null, 0, s9, s16
	v_add_co_u32 v4, s16, s6, v7
	v_mul_lo_u32 v9, s25, v3
	v_mul_lo_u32 v6, s24, v6
	v_mad_u64_u32 v[2:3], null, s24, v3, 0
	v_add_co_ci_u32_e64 v11, null, s7, 0, s16
	v_lshl_or_b32 v12, v5, 6, v10
	s_load_dwordx2 s[0:1], s[0:1], 0x0
	v_lshlrev_b32_e32 v7, 3, v7
	s_load_dwordx2 s[10:11], s[10:11], 0x0
	v_add3_u32 v3, v3, v6, v9
	v_mul_lo_u32 v6, s19, v4
	v_mul_lo_u32 v9, s18, v11
	v_mad_u64_u32 v[4:5], null, s18, v4, 0
	v_lshlrev_b64 v[2:3], 3, v[2:3]
	s_lshl_b64 s[16:17], s[26:27], 3
	v_lshl_or_b32 v14, v8, 8, v7
	v_add_nc_u32_e32 v15, 0x800, v12
	v_lshlrev_b32_e32 v16, 3, v0
	v_lshl_add_u32 v17, v1, 6, 0x800
	v_add3_u32 v5, v5, v9, v6
	v_add_co_u32 v6, vcc_lo, v2, s16
	v_add_co_ci_u32_e64 v7, null, s17, v3, vcc_lo
	v_lshlrev_b64 v[2:3], 3, v[4:5]
	v_add_co_u32 v4, vcc_lo, v6, v10
	s_lshl_b64 s[16:17], s[20:21], 3
	v_add_co_ci_u32_e64 v5, null, 0, v7, vcc_lo
	v_add_co_u32 v2, vcc_lo, v2, s16
	v_lshlrev_b32_e32 v6, 3, v8
	v_add_co_ci_u32_e64 v3, null, s17, v3, vcc_lo
	s_waitcnt lgkmcnt(0)
	v_add_co_u32 v10, vcc_lo, s0, v4
	v_add_co_ci_u32_e64 v11, null, s1, v5, vcc_lo
	v_add_co_u32 v12, vcc_lo, v2, v6
	v_add_co_ci_u32_e64 v13, null, 0, v3, vcc_lo
	v_mov_b32_e32 v2, 0
	v_add_co_u32 v12, vcc_lo, s10, v12
	v_mov_b32_e32 v4, 0
	v_mov_b32_e32 v6, 0
	;; [unrolled: 1-line block ×7, first 2 shown]
	v_add_co_ci_u32_e64 v13, null, s11, v13, vcc_lo
	s_mov_b64 s[10:11], 0
.LBB11_2:                               ; =>This Inner Loop Header: Depth=1
	flat_load_dwordx2 v[18:19], v[12:13]
	s_add_u32 s10, s10, 8
	s_addc_u32 s11, s11, 0
	v_add_co_u32 v12, vcc_lo, v12, 64
	v_cmp_lt_i64_e64 s0, s[10:11], s[12:13]
	v_add_co_ci_u32_e64 v13, null, 0, v13, vcc_lo
	s_and_b32 vcc_lo, exec_lo, s0
	s_waitcnt vmcnt(0) lgkmcnt(0)
	ds_write_b64 v14, v[18:19]
	flat_load_dwordx2 v[18:19], v[10:11]
	v_add_co_u32 v10, s0, v10, 64
	v_add_co_ci_u32_e64 v11, null, 0, v11, s0
	s_waitcnt vmcnt(0) lgkmcnt(0)
	ds_write_b64 v15, v[18:19]
	s_waitcnt lgkmcnt(0)
	s_barrier
	buffer_gl0_inv
	ds_read_b128 v[18:21], v17
	ds_read2_b64 v[22:25], v16 offset1:16
	ds_read_b128 v[26:29], v17 offset:1024
	ds_read_b128 v[30:33], v17 offset:16
	;; [unrolled: 1-line block ×3, first 2 shown]
	s_waitcnt lgkmcnt(3)
	v_fma_f64 v[8:9], v[22:23], v[18:19], v[8:9]
	v_fma_f64 v[6:7], v[24:25], v[18:19], v[6:7]
	s_waitcnt lgkmcnt(2)
	v_fma_f64 v[18:19], v[22:23], v[26:27], v[4:5]
	v_fma_f64 v[22:23], v[24:25], v[26:27], v[2:3]
	ds_read2_b64 v[2:5], v16 offset0:32 offset1:48
	s_waitcnt lgkmcnt(0)
	v_fma_f64 v[8:9], v[2:3], v[20:21], v[8:9]
	v_fma_f64 v[6:7], v[4:5], v[20:21], v[6:7]
	;; [unrolled: 1-line block ×4, first 2 shown]
	ds_read2_b64 v[2:5], v16 offset0:64 offset1:80
	s_waitcnt lgkmcnt(0)
	v_fma_f64 v[22:23], v[2:3], v[30:31], v[8:9]
	v_fma_f64 v[24:25], v[4:5], v[30:31], v[6:7]
	;; [unrolled: 1-line block ×4, first 2 shown]
	ds_read2_b64 v[2:5], v16 offset0:96 offset1:112
	ds_read_b128 v[6:9], v17 offset:32
	ds_read2_b64 v[18:21], v16 offset0:128 offset1:144
	s_waitcnt lgkmcnt(2)
	v_fma_f64 v[30:31], v[2:3], v[32:33], v[22:23]
	v_fma_f64 v[32:33], v[4:5], v[32:33], v[24:25]
	;; [unrolled: 1-line block ×4, first 2 shown]
	ds_read_b128 v[2:5], v17 offset:1056
	ds_read_b128 v[22:25], v17 offset:48
	;; [unrolled: 1-line block ×3, first 2 shown]
	s_waitcnt lgkmcnt(3)
	v_fma_f64 v[30:31], v[18:19], v[6:7], v[30:31]
	v_fma_f64 v[6:7], v[20:21], v[6:7], v[32:33]
	s_waitcnt lgkmcnt(2)
	v_fma_f64 v[32:33], v[18:19], v[2:3], v[34:35]
	v_fma_f64 v[2:3], v[20:21], v[2:3], v[36:37]
	ds_read2_b64 v[18:21], v16 offset0:160 offset1:176
	s_waitcnt lgkmcnt(0)
	v_fma_f64 v[30:31], v[18:19], v[8:9], v[30:31]
	v_fma_f64 v[6:7], v[20:21], v[8:9], v[6:7]
	;; [unrolled: 1-line block ×4, first 2 shown]
	ds_read2_b64 v[2:5], v16 offset0:192 offset1:208
	s_waitcnt lgkmcnt(0)
	v_fma_f64 v[30:31], v[2:3], v[22:23], v[30:31]
	v_fma_f64 v[6:7], v[4:5], v[22:23], v[6:7]
	;; [unrolled: 1-line block ×4, first 2 shown]
	ds_read2_b64 v[18:21], v16 offset0:224 offset1:240
	s_waitcnt lgkmcnt(0)
	s_barrier
	buffer_gl0_inv
	v_fma_f64 v[8:9], v[18:19], v[24:25], v[30:31]
	v_fma_f64 v[6:7], v[20:21], v[24:25], v[6:7]
	;; [unrolled: 1-line block ×4, first 2 shown]
	s_cbranch_vccnz .LBB11_2
	s_branch .LBB11_4
.LBB11_3:
	v_mov_b32_e32 v8, 0
	v_mov_b32_e32 v6, 0
	;; [unrolled: 1-line block ×8, first 2 shown]
.LBB11_4:
	v_cmp_neq_f64_e64 s10, s[36:37], 0
	v_add_co_u32 v10, s8, s8, v1
	v_add_co_ci_u32_e64 v13, null, s9, 0, s8
	v_add_co_u32 v0, s6, s6, v0
	v_add_co_ci_u32_e64 v1, null, s7, 0, s6
	v_mul_lo_u32 v11, v13, s46
	v_mul_lo_u32 v12, v10, s47
	s_lshl_b64 s[0:1], s[48:49], 3
	v_lshlrev_b64 v[0:1], 3, v[0:1]
	s_waitcnt lgkmcnt(0)
	s_add_u32 s0, s4, s0
	s_addc_u32 s1, s5, s1
	s_and_b32 vcc_lo, exec_lo, s10
	s_cbranch_vccnz .LBB11_8
; %bb.5:
	v_mad_u64_u32 v[14:15], null, v10, s46, 0
	v_mul_f64 v[16:17], s[14:15], v[8:9]
	v_mul_f64 v[18:19], s[14:15], v[6:7]
	;; [unrolled: 1-line block ×4, first 2 shown]
	s_lshl_b64 s[4:5], s[46:47], 7
	v_add3_u32 v15, v15, v12, v11
	v_lshlrev_b64 v[14:15], 3, v[14:15]
	v_add_co_u32 v14, vcc_lo, s0, v14
	v_add_co_ci_u32_e64 v15, null, s1, v15, vcc_lo
	v_add_co_u32 v24, vcc_lo, v14, s4
	v_add_co_ci_u32_e64 v25, null, s5, v15, vcc_lo
	;; [unrolled: 2-line block ×4, first 2 shown]
	flat_store_dwordx2 v[14:15], v[16:17]
	flat_store_dwordx2 v[14:15], v[18:19] offset:128
	flat_store_dwordx2 v[24:25], v[20:21]
	flat_store_dwordx2 v[24:25], v[22:23] offset:128
	s_cbranch_execnz .LBB11_7
.LBB11_6:
	v_mul_lo_u32 v15, v13, s40
	v_mul_lo_u32 v16, v10, s41
	v_mad_u64_u32 v[13:14], null, v10, s40, 0
	s_lshl_b64 s[4:5], s[42:43], 3
	v_mad_u64_u32 v[17:18], null, v10, s46, 0
	s_add_u32 s2, s2, s4
	s_addc_u32 s3, s3, s5
	v_add3_u32 v14, v14, v16, v15
	v_add3_u32 v18, v18, v12, v11
	v_lshlrev_b64 v[13:14], 3, v[13:14]
	v_lshlrev_b64 v[10:11], 3, v[17:18]
	v_add_co_u32 v19, vcc_lo, s2, v13
	v_add_co_ci_u32_e64 v20, null, s3, v14, vcc_lo
	v_add_co_u32 v13, vcc_lo, v19, v0
	v_add_co_ci_u32_e64 v14, null, v20, v1, vcc_lo
	v_add_co_u32 v12, vcc_lo, s0, v10
	flat_load_dwordx2 v[15:16], v[13:14]
	s_waitcnt vmcnt(0) lgkmcnt(0)
	v_mul_f64 v[15:16], s[36:37], v[15:16]
	v_fma_f64 v[8:9], s[14:15], v[8:9], v[15:16]
	v_add_co_ci_u32_e64 v15, null, s1, v11, vcc_lo
	v_add_co_u32 v10, vcc_lo, v12, v0
	s_lshl_b64 s[0:1], s[40:41], 7
	v_add_co_ci_u32_e64 v11, null, v15, v1, vcc_lo
	flat_store_dwordx2 v[10:11], v[8:9]
	flat_load_dwordx2 v[8:9], v[13:14] offset:128
	s_waitcnt vmcnt(0) lgkmcnt(0)
	v_mul_f64 v[8:9], s[36:37], v[8:9]
	v_fma_f64 v[6:7], s[14:15], v[6:7], v[8:9]
	v_add_co_u32 v8, vcc_lo, v19, s0
	v_add_co_ci_u32_e64 v9, null, s1, v20, vcc_lo
	s_lshl_b64 s[0:1], s[46:47], 7
	v_add_co_u32 v8, vcc_lo, v8, v0
	v_add_co_ci_u32_e64 v9, null, v9, v1, vcc_lo
	flat_store_dwordx2 v[10:11], v[6:7] offset:128
	flat_load_dwordx2 v[6:7], v[8:9]
	s_waitcnt vmcnt(0) lgkmcnt(0)
	v_mul_f64 v[6:7], s[36:37], v[6:7]
	v_fma_f64 v[4:5], s[14:15], v[4:5], v[6:7]
	v_add_co_u32 v6, vcc_lo, v12, s0
	v_add_co_ci_u32_e64 v7, null, s1, v15, vcc_lo
	v_add_co_u32 v0, vcc_lo, v6, v0
	v_add_co_ci_u32_e64 v1, null, v7, v1, vcc_lo
	flat_store_dwordx2 v[0:1], v[4:5]
	flat_load_dwordx2 v[4:5], v[8:9] offset:128
	s_waitcnt vmcnt(0) lgkmcnt(0)
	v_mul_f64 v[4:5], s[36:37], v[4:5]
	v_fma_f64 v[2:3], s[14:15], v[2:3], v[4:5]
	flat_store_dwordx2 v[0:1], v[2:3] offset:128
.LBB11_7:
	s_endpgm
.LBB11_8:
	s_branch .LBB11_6
	.section	.rodata,"a",@progbits
	.p2align	6, 0x0
	.amdhsa_kernel _ZN12_GLOBAL__N_127rocblas_gemm_batched_kernelIdLi16ELi16ELi32ELi32ELi8ELi32ELi8ELi8ELi32ELc84ELc78EKPKdS3_KPdEEvlllT_PT11_llS8_llS6_PT12_llPT13_lli
		.amdhsa_group_segment_fixed_size 4096
		.amdhsa_private_segment_fixed_size 0
		.amdhsa_kernarg_size 140
		.amdhsa_user_sgpr_count 6
		.amdhsa_user_sgpr_private_segment_buffer 1
		.amdhsa_user_sgpr_dispatch_ptr 0
		.amdhsa_user_sgpr_queue_ptr 0
		.amdhsa_user_sgpr_kernarg_segment_ptr 1
		.amdhsa_user_sgpr_dispatch_id 0
		.amdhsa_user_sgpr_flat_scratch_init 0
		.amdhsa_user_sgpr_private_segment_size 0
		.amdhsa_wavefront_size32 1
		.amdhsa_uses_dynamic_stack 0
		.amdhsa_system_sgpr_private_segment_wavefront_offset 0
		.amdhsa_system_sgpr_workgroup_id_x 1
		.amdhsa_system_sgpr_workgroup_id_y 1
		.amdhsa_system_sgpr_workgroup_id_z 1
		.amdhsa_system_sgpr_workgroup_info 0
		.amdhsa_system_vgpr_workitem_id 1
		.amdhsa_next_free_vgpr 38
		.amdhsa_next_free_sgpr 52
		.amdhsa_reserve_vcc 1
		.amdhsa_reserve_flat_scratch 0
		.amdhsa_float_round_mode_32 0
		.amdhsa_float_round_mode_16_64 0
		.amdhsa_float_denorm_mode_32 3
		.amdhsa_float_denorm_mode_16_64 3
		.amdhsa_dx10_clamp 1
		.amdhsa_ieee_mode 1
		.amdhsa_fp16_overflow 0
		.amdhsa_workgroup_processor_mode 1
		.amdhsa_memory_ordered 1
		.amdhsa_forward_progress 1
		.amdhsa_shared_vgpr_count 0
		.amdhsa_exception_fp_ieee_invalid_op 0
		.amdhsa_exception_fp_denorm_src 0
		.amdhsa_exception_fp_ieee_div_zero 0
		.amdhsa_exception_fp_ieee_overflow 0
		.amdhsa_exception_fp_ieee_underflow 0
		.amdhsa_exception_fp_ieee_inexact 0
		.amdhsa_exception_int_div_zero 0
	.end_amdhsa_kernel
	.section	.text._ZN12_GLOBAL__N_127rocblas_gemm_batched_kernelIdLi16ELi16ELi32ELi32ELi8ELi32ELi8ELi8ELi32ELc84ELc78EKPKdS3_KPdEEvlllT_PT11_llS8_llS6_PT12_llPT13_lli,"axG",@progbits,_ZN12_GLOBAL__N_127rocblas_gemm_batched_kernelIdLi16ELi16ELi32ELi32ELi8ELi32ELi8ELi8ELi32ELc84ELc78EKPKdS3_KPdEEvlllT_PT11_llS8_llS6_PT12_llPT13_lli,comdat
.Lfunc_end11:
	.size	_ZN12_GLOBAL__N_127rocblas_gemm_batched_kernelIdLi16ELi16ELi32ELi32ELi8ELi32ELi8ELi8ELi32ELc84ELc78EKPKdS3_KPdEEvlllT_PT11_llS8_llS6_PT12_llPT13_lli, .Lfunc_end11-_ZN12_GLOBAL__N_127rocblas_gemm_batched_kernelIdLi16ELi16ELi32ELi32ELi8ELi32ELi8ELi8ELi32ELc84ELc78EKPKdS3_KPdEEvlllT_PT11_llS8_llS6_PT12_llPT13_lli
                                        ; -- End function
	.set _ZN12_GLOBAL__N_127rocblas_gemm_batched_kernelIdLi16ELi16ELi32ELi32ELi8ELi32ELi8ELi8ELi32ELc84ELc78EKPKdS3_KPdEEvlllT_PT11_llS8_llS6_PT12_llPT13_lli.num_vgpr, 38
	.set _ZN12_GLOBAL__N_127rocblas_gemm_batched_kernelIdLi16ELi16ELi32ELi32ELi8ELi32ELi8ELi8ELi32ELc84ELc78EKPKdS3_KPdEEvlllT_PT11_llS8_llS6_PT12_llPT13_lli.num_agpr, 0
	.set _ZN12_GLOBAL__N_127rocblas_gemm_batched_kernelIdLi16ELi16ELi32ELi32ELi8ELi32ELi8ELi8ELi32ELc84ELc78EKPKdS3_KPdEEvlllT_PT11_llS8_llS6_PT12_llPT13_lli.numbered_sgpr, 52
	.set _ZN12_GLOBAL__N_127rocblas_gemm_batched_kernelIdLi16ELi16ELi32ELi32ELi8ELi32ELi8ELi8ELi32ELc84ELc78EKPKdS3_KPdEEvlllT_PT11_llS8_llS6_PT12_llPT13_lli.num_named_barrier, 0
	.set _ZN12_GLOBAL__N_127rocblas_gemm_batched_kernelIdLi16ELi16ELi32ELi32ELi8ELi32ELi8ELi8ELi32ELc84ELc78EKPKdS3_KPdEEvlllT_PT11_llS8_llS6_PT12_llPT13_lli.private_seg_size, 0
	.set _ZN12_GLOBAL__N_127rocblas_gemm_batched_kernelIdLi16ELi16ELi32ELi32ELi8ELi32ELi8ELi8ELi32ELc84ELc78EKPKdS3_KPdEEvlllT_PT11_llS8_llS6_PT12_llPT13_lli.uses_vcc, 1
	.set _ZN12_GLOBAL__N_127rocblas_gemm_batched_kernelIdLi16ELi16ELi32ELi32ELi8ELi32ELi8ELi8ELi32ELc84ELc78EKPKdS3_KPdEEvlllT_PT11_llS8_llS6_PT12_llPT13_lli.uses_flat_scratch, 0
	.set _ZN12_GLOBAL__N_127rocblas_gemm_batched_kernelIdLi16ELi16ELi32ELi32ELi8ELi32ELi8ELi8ELi32ELc84ELc78EKPKdS3_KPdEEvlllT_PT11_llS8_llS6_PT12_llPT13_lli.has_dyn_sized_stack, 0
	.set _ZN12_GLOBAL__N_127rocblas_gemm_batched_kernelIdLi16ELi16ELi32ELi32ELi8ELi32ELi8ELi8ELi32ELc84ELc78EKPKdS3_KPdEEvlllT_PT11_llS8_llS6_PT12_llPT13_lli.has_recursion, 0
	.set _ZN12_GLOBAL__N_127rocblas_gemm_batched_kernelIdLi16ELi16ELi32ELi32ELi8ELi32ELi8ELi8ELi32ELc84ELc78EKPKdS3_KPdEEvlllT_PT11_llS8_llS6_PT12_llPT13_lli.has_indirect_call, 0
	.section	.AMDGPU.csdata,"",@progbits
; Kernel info:
; codeLenInByte = 1668
; TotalNumSgprs: 54
; NumVgprs: 38
; ScratchSize: 0
; MemoryBound: 0
; FloatMode: 240
; IeeeMode: 1
; LDSByteSize: 4096 bytes/workgroup (compile time only)
; SGPRBlocks: 0
; VGPRBlocks: 4
; NumSGPRsForWavesPerEU: 54
; NumVGPRsForWavesPerEU: 38
; Occupancy: 16
; WaveLimiterHint : 1
; COMPUTE_PGM_RSRC2:SCRATCH_EN: 0
; COMPUTE_PGM_RSRC2:USER_SGPR: 6
; COMPUTE_PGM_RSRC2:TRAP_HANDLER: 0
; COMPUTE_PGM_RSRC2:TGID_X_EN: 1
; COMPUTE_PGM_RSRC2:TGID_Y_EN: 1
; COMPUTE_PGM_RSRC2:TGID_Z_EN: 1
; COMPUTE_PGM_RSRC2:TIDIG_COMP_CNT: 1
	.section	.text._ZN12_GLOBAL__N_127rocblas_gemm_batched_kernelIdLi16ELi16ELi32ELi32ELi8ELi32ELi8ELi8ELi32ELc78ELc84EKPKdS3_KPdEEvlllT_PT11_llS8_llS6_PT12_llPT13_lli,"axG",@progbits,_ZN12_GLOBAL__N_127rocblas_gemm_batched_kernelIdLi16ELi16ELi32ELi32ELi8ELi32ELi8ELi8ELi32ELc78ELc84EKPKdS3_KPdEEvlllT_PT11_llS8_llS6_PT12_llPT13_lli,comdat
	.globl	_ZN12_GLOBAL__N_127rocblas_gemm_batched_kernelIdLi16ELi16ELi32ELi32ELi8ELi32ELi8ELi8ELi32ELc78ELc84EKPKdS3_KPdEEvlllT_PT11_llS8_llS6_PT12_llPT13_lli ; -- Begin function _ZN12_GLOBAL__N_127rocblas_gemm_batched_kernelIdLi16ELi16ELi32ELi32ELi8ELi32ELi8ELi8ELi32ELc78ELc84EKPKdS3_KPdEEvlllT_PT11_llS8_llS6_PT12_llPT13_lli
	.p2align	8
	.type	_ZN12_GLOBAL__N_127rocblas_gemm_batched_kernelIdLi16ELi16ELi32ELi32ELi8ELi32ELi8ELi8ELi32ELc78ELc84EKPKdS3_KPdEEvlllT_PT11_llS8_llS6_PT12_llPT13_lli,@function
_ZN12_GLOBAL__N_127rocblas_gemm_batched_kernelIdLi16ELi16ELi32ELi32ELi8ELi32ELi8ELi8ELi32ELc78ELc84EKPKdS3_KPdEEvlllT_PT11_llS8_llS6_PT12_llPT13_lli: ; @_ZN12_GLOBAL__N_127rocblas_gemm_batched_kernelIdLi16ELi16ELi32ELi32ELi8ELi32ELi8ELi8ELi32ELc78ELc84EKPKdS3_KPdEEvlllT_PT11_llS8_llS6_PT12_llPT13_lli
; %bb.0:
	s_clause 0x2
	s_load_dwordx8 s[36:43], s[4:5], 0x50
	s_load_dwordx8 s[44:51], s[4:5], 0x70
	s_load_dwordx16 s[12:27], s[4:5], 0x10
	s_mov_b32 s9, 0
	s_mov_b32 s10, s7
	s_lshl_b64 s[0:1], s[8:9], 3
	v_mov_b32_e32 v3, 0
	s_waitcnt lgkmcnt(0)
	s_add_u32 s2, s38, s0
	s_addc_u32 s3, s39, s1
	s_add_u32 s4, s44, s0
	s_addc_u32 s5, s45, s1
	s_load_dwordx2 s[2:3], s[2:3], 0x0
	s_load_dwordx2 s[4:5], s[4:5], 0x0
	v_cmp_lt_i64_e64 s8, s[12:13], 1
	s_ashr_i32 s7, s6, 31
	s_ashr_i32 s11, s10, 31
	s_lshl_b64 s[6:7], s[6:7], 5
	s_and_b32 vcc_lo, exec_lo, s8
	s_lshl_b64 s[8:9], s[10:11], 5
	s_cbranch_vccnz .LBB12_3
; %bb.1:
	v_lshl_add_u32 v5, v1, 4, v0
	v_and_b32_e32 v7, 7, v0
	s_add_u32 s10, s16, s0
	s_addc_u32 s11, s17, s1
	s_add_u32 s0, s22, s0
	v_lshrrev_b32_e32 v2, 3, v5
	v_lshrrev_b32_e32 v9, 5, v5
	v_and_b32_e32 v10, 31, v5
	s_addc_u32 s1, s23, s1
	v_lshlrev_b32_e32 v11, 3, v7
	v_mad_u64_u32 v[3:4], null, s24, v7, v[2:3]
	v_mad_u64_u32 v[5:6], null, s18, v9, s[6:7]
	s_load_dwordx2 s[0:1], s[0:1], 0x0
	s_load_dwordx2 s[16:17], s[10:11], 0x0
	v_lshlrev_b32_e32 v12, 3, v10
	s_lshl_b64 s[10:11], s[26:27], 3
	v_add_co_u32 v3, vcc_lo, v3, s8
	v_mad_u64_u32 v[7:8], null, s25, v7, v[4:5]
	v_lshl_or_b32 v8, v2, 6, v11
	v_mov_b32_e32 v2, v6
	v_lshl_or_b32 v16, v9, 8, v12
	v_lshlrev_b32_e32 v14, 3, v0
	v_lshl_add_u32 v15, v1, 6, 0x800
	v_add_nc_u32_e32 v17, 0x800, v8
	v_add_co_ci_u32_e64 v4, null, s9, v7, vcc_lo
	v_mad_u64_u32 v[6:7], null, s19, v9, v[2:3]
	v_mov_b32_e32 v8, 0
	v_lshlrev_b64 v[2:3], 3, v[3:4]
	v_add_co_u32 v4, vcc_lo, v5, v10
	s_waitcnt lgkmcnt(0)
	s_add_u32 s0, s0, s10
	s_addc_u32 s1, s1, s11
	v_add_co_ci_u32_e64 v5, null, 0, v6, vcc_lo
	v_add_co_u32 v10, vcc_lo, s0, v2
	v_add_co_ci_u32_e64 v11, null, s1, v3, vcc_lo
	v_lshlrev_b64 v[12:13], 3, v[4:5]
	s_lshl_b64 s[0:1], s[20:21], 3
	s_lshl_b64 s[10:11], s[24:25], 6
	s_add_u32 s0, s16, s0
	s_addc_u32 s1, s17, s1
	v_mov_b32_e32 v2, 0
	v_add_co_u32 v12, vcc_lo, s0, v12
	v_mov_b32_e32 v4, 0
	v_mov_b32_e32 v6, 0
	;; [unrolled: 1-line block ×6, first 2 shown]
	v_add_co_ci_u32_e64 v13, null, s1, v13, vcc_lo
	s_lshl_b64 s[16:17], s[18:19], 6
	s_mov_b64 s[18:19], 0
.LBB12_2:                               ; =>This Inner Loop Header: Depth=1
	flat_load_dwordx2 v[18:19], v[12:13]
	s_add_u32 s18, s18, 8
	s_addc_u32 s19, s19, 0
	v_add_co_u32 v12, vcc_lo, v12, s16
	v_cmp_lt_i64_e64 s0, s[18:19], s[12:13]
	v_add_co_ci_u32_e64 v13, null, s17, v13, vcc_lo
	s_and_b32 vcc_lo, exec_lo, s0
	s_waitcnt vmcnt(0) lgkmcnt(0)
	ds_write_b64 v16, v[18:19]
	flat_load_dwordx2 v[18:19], v[10:11]
	v_add_co_u32 v10, s0, v10, s10
	v_add_co_ci_u32_e64 v11, null, s11, v11, s0
	s_waitcnt vmcnt(0) lgkmcnt(0)
	ds_write_b64 v17, v[18:19]
	s_waitcnt lgkmcnt(0)
	s_barrier
	buffer_gl0_inv
	ds_read_b128 v[18:21], v15
	ds_read2_b64 v[22:25], v14 offset1:16
	ds_read_b128 v[26:29], v15 offset:1024
	ds_read_b128 v[30:33], v15 offset:16
	;; [unrolled: 1-line block ×3, first 2 shown]
	s_waitcnt lgkmcnt(3)
	v_fma_f64 v[8:9], v[22:23], v[18:19], v[8:9]
	v_fma_f64 v[6:7], v[24:25], v[18:19], v[6:7]
	s_waitcnt lgkmcnt(2)
	v_fma_f64 v[18:19], v[22:23], v[26:27], v[4:5]
	v_fma_f64 v[22:23], v[24:25], v[26:27], v[2:3]
	ds_read2_b64 v[2:5], v14 offset0:32 offset1:48
	s_waitcnt lgkmcnt(0)
	v_fma_f64 v[8:9], v[2:3], v[20:21], v[8:9]
	v_fma_f64 v[6:7], v[4:5], v[20:21], v[6:7]
	;; [unrolled: 1-line block ×4, first 2 shown]
	ds_read2_b64 v[2:5], v14 offset0:64 offset1:80
	s_waitcnt lgkmcnt(0)
	v_fma_f64 v[22:23], v[2:3], v[30:31], v[8:9]
	v_fma_f64 v[24:25], v[4:5], v[30:31], v[6:7]
	;; [unrolled: 1-line block ×4, first 2 shown]
	ds_read2_b64 v[2:5], v14 offset0:96 offset1:112
	ds_read_b128 v[6:9], v15 offset:32
	ds_read2_b64 v[18:21], v14 offset0:128 offset1:144
	s_waitcnt lgkmcnt(2)
	v_fma_f64 v[30:31], v[2:3], v[32:33], v[22:23]
	v_fma_f64 v[32:33], v[4:5], v[32:33], v[24:25]
	;; [unrolled: 1-line block ×4, first 2 shown]
	ds_read_b128 v[2:5], v15 offset:1056
	ds_read_b128 v[22:25], v15 offset:48
	;; [unrolled: 1-line block ×3, first 2 shown]
	s_waitcnt lgkmcnt(3)
	v_fma_f64 v[30:31], v[18:19], v[6:7], v[30:31]
	v_fma_f64 v[6:7], v[20:21], v[6:7], v[32:33]
	s_waitcnt lgkmcnt(2)
	v_fma_f64 v[32:33], v[18:19], v[2:3], v[34:35]
	v_fma_f64 v[2:3], v[20:21], v[2:3], v[36:37]
	ds_read2_b64 v[18:21], v14 offset0:160 offset1:176
	s_waitcnt lgkmcnt(0)
	v_fma_f64 v[30:31], v[18:19], v[8:9], v[30:31]
	v_fma_f64 v[6:7], v[20:21], v[8:9], v[6:7]
	;; [unrolled: 1-line block ×4, first 2 shown]
	ds_read2_b64 v[2:5], v14 offset0:192 offset1:208
	s_waitcnt lgkmcnt(0)
	v_fma_f64 v[30:31], v[2:3], v[22:23], v[30:31]
	v_fma_f64 v[6:7], v[4:5], v[22:23], v[6:7]
	;; [unrolled: 1-line block ×4, first 2 shown]
	ds_read2_b64 v[18:21], v14 offset0:224 offset1:240
	s_waitcnt lgkmcnt(0)
	s_barrier
	buffer_gl0_inv
	v_fma_f64 v[8:9], v[18:19], v[24:25], v[30:31]
	v_fma_f64 v[6:7], v[20:21], v[24:25], v[6:7]
	;; [unrolled: 1-line block ×4, first 2 shown]
	s_cbranch_vccnz .LBB12_2
	s_branch .LBB12_4
.LBB12_3:
	v_mov_b32_e32 v8, 0
	v_mov_b32_e32 v6, 0
	;; [unrolled: 1-line block ×8, first 2 shown]
.LBB12_4:
	v_cmp_neq_f64_e64 s10, s[36:37], 0
	v_add_co_u32 v10, s8, s8, v1
	v_add_co_ci_u32_e64 v13, null, s9, 0, s8
	v_add_co_u32 v0, s6, s6, v0
	v_add_co_ci_u32_e64 v1, null, s7, 0, s6
	v_mul_lo_u32 v11, v13, s46
	v_mul_lo_u32 v12, v10, s47
	s_lshl_b64 s[0:1], s[48:49], 3
	v_lshlrev_b64 v[0:1], 3, v[0:1]
	s_waitcnt lgkmcnt(0)
	s_add_u32 s0, s4, s0
	s_addc_u32 s1, s5, s1
	s_and_b32 vcc_lo, exec_lo, s10
	s_cbranch_vccnz .LBB12_8
; %bb.5:
	v_mad_u64_u32 v[14:15], null, v10, s46, 0
	v_mul_f64 v[16:17], s[14:15], v[8:9]
	v_mul_f64 v[18:19], s[14:15], v[6:7]
	;; [unrolled: 1-line block ×4, first 2 shown]
	s_lshl_b64 s[4:5], s[46:47], 7
	v_add3_u32 v15, v15, v12, v11
	v_lshlrev_b64 v[14:15], 3, v[14:15]
	v_add_co_u32 v14, vcc_lo, s0, v14
	v_add_co_ci_u32_e64 v15, null, s1, v15, vcc_lo
	v_add_co_u32 v24, vcc_lo, v14, s4
	v_add_co_ci_u32_e64 v25, null, s5, v15, vcc_lo
	;; [unrolled: 2-line block ×4, first 2 shown]
	flat_store_dwordx2 v[14:15], v[16:17]
	flat_store_dwordx2 v[14:15], v[18:19] offset:128
	flat_store_dwordx2 v[24:25], v[20:21]
	flat_store_dwordx2 v[24:25], v[22:23] offset:128
	s_cbranch_execnz .LBB12_7
.LBB12_6:
	v_mul_lo_u32 v15, v13, s40
	v_mul_lo_u32 v16, v10, s41
	v_mad_u64_u32 v[13:14], null, v10, s40, 0
	s_lshl_b64 s[4:5], s[42:43], 3
	v_mad_u64_u32 v[17:18], null, v10, s46, 0
	s_add_u32 s2, s2, s4
	s_addc_u32 s3, s3, s5
	v_add3_u32 v14, v14, v16, v15
	v_add3_u32 v18, v18, v12, v11
	v_lshlrev_b64 v[13:14], 3, v[13:14]
	v_lshlrev_b64 v[10:11], 3, v[17:18]
	v_add_co_u32 v19, vcc_lo, s2, v13
	v_add_co_ci_u32_e64 v20, null, s3, v14, vcc_lo
	v_add_co_u32 v13, vcc_lo, v19, v0
	v_add_co_ci_u32_e64 v14, null, v20, v1, vcc_lo
	v_add_co_u32 v12, vcc_lo, s0, v10
	flat_load_dwordx2 v[15:16], v[13:14]
	s_waitcnt vmcnt(0) lgkmcnt(0)
	v_mul_f64 v[15:16], s[36:37], v[15:16]
	v_fma_f64 v[8:9], s[14:15], v[8:9], v[15:16]
	v_add_co_ci_u32_e64 v15, null, s1, v11, vcc_lo
	v_add_co_u32 v10, vcc_lo, v12, v0
	s_lshl_b64 s[0:1], s[40:41], 7
	v_add_co_ci_u32_e64 v11, null, v15, v1, vcc_lo
	flat_store_dwordx2 v[10:11], v[8:9]
	flat_load_dwordx2 v[8:9], v[13:14] offset:128
	s_waitcnt vmcnt(0) lgkmcnt(0)
	v_mul_f64 v[8:9], s[36:37], v[8:9]
	v_fma_f64 v[6:7], s[14:15], v[6:7], v[8:9]
	v_add_co_u32 v8, vcc_lo, v19, s0
	v_add_co_ci_u32_e64 v9, null, s1, v20, vcc_lo
	s_lshl_b64 s[0:1], s[46:47], 7
	v_add_co_u32 v8, vcc_lo, v8, v0
	v_add_co_ci_u32_e64 v9, null, v9, v1, vcc_lo
	flat_store_dwordx2 v[10:11], v[6:7] offset:128
	flat_load_dwordx2 v[6:7], v[8:9]
	s_waitcnt vmcnt(0) lgkmcnt(0)
	v_mul_f64 v[6:7], s[36:37], v[6:7]
	v_fma_f64 v[4:5], s[14:15], v[4:5], v[6:7]
	v_add_co_u32 v6, vcc_lo, v12, s0
	v_add_co_ci_u32_e64 v7, null, s1, v15, vcc_lo
	v_add_co_u32 v0, vcc_lo, v6, v0
	v_add_co_ci_u32_e64 v1, null, v7, v1, vcc_lo
	flat_store_dwordx2 v[0:1], v[4:5]
	flat_load_dwordx2 v[4:5], v[8:9] offset:128
	s_waitcnt vmcnt(0) lgkmcnt(0)
	v_mul_f64 v[4:5], s[36:37], v[4:5]
	v_fma_f64 v[2:3], s[14:15], v[2:3], v[4:5]
	flat_store_dwordx2 v[0:1], v[2:3] offset:128
.LBB12_7:
	s_endpgm
.LBB12_8:
	s_branch .LBB12_6
	.section	.rodata,"a",@progbits
	.p2align	6, 0x0
	.amdhsa_kernel _ZN12_GLOBAL__N_127rocblas_gemm_batched_kernelIdLi16ELi16ELi32ELi32ELi8ELi32ELi8ELi8ELi32ELc78ELc84EKPKdS3_KPdEEvlllT_PT11_llS8_llS6_PT12_llPT13_lli
		.amdhsa_group_segment_fixed_size 4096
		.amdhsa_private_segment_fixed_size 0
		.amdhsa_kernarg_size 140
		.amdhsa_user_sgpr_count 6
		.amdhsa_user_sgpr_private_segment_buffer 1
		.amdhsa_user_sgpr_dispatch_ptr 0
		.amdhsa_user_sgpr_queue_ptr 0
		.amdhsa_user_sgpr_kernarg_segment_ptr 1
		.amdhsa_user_sgpr_dispatch_id 0
		.amdhsa_user_sgpr_flat_scratch_init 0
		.amdhsa_user_sgpr_private_segment_size 0
		.amdhsa_wavefront_size32 1
		.amdhsa_uses_dynamic_stack 0
		.amdhsa_system_sgpr_private_segment_wavefront_offset 0
		.amdhsa_system_sgpr_workgroup_id_x 1
		.amdhsa_system_sgpr_workgroup_id_y 1
		.amdhsa_system_sgpr_workgroup_id_z 1
		.amdhsa_system_sgpr_workgroup_info 0
		.amdhsa_system_vgpr_workitem_id 1
		.amdhsa_next_free_vgpr 38
		.amdhsa_next_free_sgpr 52
		.amdhsa_reserve_vcc 1
		.amdhsa_reserve_flat_scratch 0
		.amdhsa_float_round_mode_32 0
		.amdhsa_float_round_mode_16_64 0
		.amdhsa_float_denorm_mode_32 3
		.amdhsa_float_denorm_mode_16_64 3
		.amdhsa_dx10_clamp 1
		.amdhsa_ieee_mode 1
		.amdhsa_fp16_overflow 0
		.amdhsa_workgroup_processor_mode 1
		.amdhsa_memory_ordered 1
		.amdhsa_forward_progress 1
		.amdhsa_shared_vgpr_count 0
		.amdhsa_exception_fp_ieee_invalid_op 0
		.amdhsa_exception_fp_denorm_src 0
		.amdhsa_exception_fp_ieee_div_zero 0
		.amdhsa_exception_fp_ieee_overflow 0
		.amdhsa_exception_fp_ieee_underflow 0
		.amdhsa_exception_fp_ieee_inexact 0
		.amdhsa_exception_int_div_zero 0
	.end_amdhsa_kernel
	.section	.text._ZN12_GLOBAL__N_127rocblas_gemm_batched_kernelIdLi16ELi16ELi32ELi32ELi8ELi32ELi8ELi8ELi32ELc78ELc84EKPKdS3_KPdEEvlllT_PT11_llS8_llS6_PT12_llPT13_lli,"axG",@progbits,_ZN12_GLOBAL__N_127rocblas_gemm_batched_kernelIdLi16ELi16ELi32ELi32ELi8ELi32ELi8ELi8ELi32ELc78ELc84EKPKdS3_KPdEEvlllT_PT11_llS8_llS6_PT12_llPT13_lli,comdat
.Lfunc_end12:
	.size	_ZN12_GLOBAL__N_127rocblas_gemm_batched_kernelIdLi16ELi16ELi32ELi32ELi8ELi32ELi8ELi8ELi32ELc78ELc84EKPKdS3_KPdEEvlllT_PT11_llS8_llS6_PT12_llPT13_lli, .Lfunc_end12-_ZN12_GLOBAL__N_127rocblas_gemm_batched_kernelIdLi16ELi16ELi32ELi32ELi8ELi32ELi8ELi8ELi32ELc78ELc84EKPKdS3_KPdEEvlllT_PT11_llS8_llS6_PT12_llPT13_lli
                                        ; -- End function
	.set _ZN12_GLOBAL__N_127rocblas_gemm_batched_kernelIdLi16ELi16ELi32ELi32ELi8ELi32ELi8ELi8ELi32ELc78ELc84EKPKdS3_KPdEEvlllT_PT11_llS8_llS6_PT12_llPT13_lli.num_vgpr, 38
	.set _ZN12_GLOBAL__N_127rocblas_gemm_batched_kernelIdLi16ELi16ELi32ELi32ELi8ELi32ELi8ELi8ELi32ELc78ELc84EKPKdS3_KPdEEvlllT_PT11_llS8_llS6_PT12_llPT13_lli.num_agpr, 0
	.set _ZN12_GLOBAL__N_127rocblas_gemm_batched_kernelIdLi16ELi16ELi32ELi32ELi8ELi32ELi8ELi8ELi32ELc78ELc84EKPKdS3_KPdEEvlllT_PT11_llS8_llS6_PT12_llPT13_lli.numbered_sgpr, 52
	.set _ZN12_GLOBAL__N_127rocblas_gemm_batched_kernelIdLi16ELi16ELi32ELi32ELi8ELi32ELi8ELi8ELi32ELc78ELc84EKPKdS3_KPdEEvlllT_PT11_llS8_llS6_PT12_llPT13_lli.num_named_barrier, 0
	.set _ZN12_GLOBAL__N_127rocblas_gemm_batched_kernelIdLi16ELi16ELi32ELi32ELi8ELi32ELi8ELi8ELi32ELc78ELc84EKPKdS3_KPdEEvlllT_PT11_llS8_llS6_PT12_llPT13_lli.private_seg_size, 0
	.set _ZN12_GLOBAL__N_127rocblas_gemm_batched_kernelIdLi16ELi16ELi32ELi32ELi8ELi32ELi8ELi8ELi32ELc78ELc84EKPKdS3_KPdEEvlllT_PT11_llS8_llS6_PT12_llPT13_lli.uses_vcc, 1
	.set _ZN12_GLOBAL__N_127rocblas_gemm_batched_kernelIdLi16ELi16ELi32ELi32ELi8ELi32ELi8ELi8ELi32ELc78ELc84EKPKdS3_KPdEEvlllT_PT11_llS8_llS6_PT12_llPT13_lli.uses_flat_scratch, 0
	.set _ZN12_GLOBAL__N_127rocblas_gemm_batched_kernelIdLi16ELi16ELi32ELi32ELi8ELi32ELi8ELi8ELi32ELc78ELc84EKPKdS3_KPdEEvlllT_PT11_llS8_llS6_PT12_llPT13_lli.has_dyn_sized_stack, 0
	.set _ZN12_GLOBAL__N_127rocblas_gemm_batched_kernelIdLi16ELi16ELi32ELi32ELi8ELi32ELi8ELi8ELi32ELc78ELc84EKPKdS3_KPdEEvlllT_PT11_llS8_llS6_PT12_llPT13_lli.has_recursion, 0
	.set _ZN12_GLOBAL__N_127rocblas_gemm_batched_kernelIdLi16ELi16ELi32ELi32ELi8ELi32ELi8ELi8ELi32ELc78ELc84EKPKdS3_KPdEEvlllT_PT11_llS8_llS6_PT12_llPT13_lli.has_indirect_call, 0
	.section	.AMDGPU.csdata,"",@progbits
; Kernel info:
; codeLenInByte = 1600
; TotalNumSgprs: 54
; NumVgprs: 38
; ScratchSize: 0
; MemoryBound: 0
; FloatMode: 240
; IeeeMode: 1
; LDSByteSize: 4096 bytes/workgroup (compile time only)
; SGPRBlocks: 0
; VGPRBlocks: 4
; NumSGPRsForWavesPerEU: 54
; NumVGPRsForWavesPerEU: 38
; Occupancy: 16
; WaveLimiterHint : 1
; COMPUTE_PGM_RSRC2:SCRATCH_EN: 0
; COMPUTE_PGM_RSRC2:USER_SGPR: 6
; COMPUTE_PGM_RSRC2:TRAP_HANDLER: 0
; COMPUTE_PGM_RSRC2:TGID_X_EN: 1
; COMPUTE_PGM_RSRC2:TGID_Y_EN: 1
; COMPUTE_PGM_RSRC2:TGID_Z_EN: 1
; COMPUTE_PGM_RSRC2:TIDIG_COMP_CNT: 1
	.section	.text._ZN12_GLOBAL__N_127rocblas_gemm_batched_kernelIdLi16ELi16ELi32ELi32ELi8ELi32ELi8ELi8ELi32ELc84ELc84EKPKdS3_KPdEEvlllT_PT11_llS8_llS6_PT12_llPT13_lli,"axG",@progbits,_ZN12_GLOBAL__N_127rocblas_gemm_batched_kernelIdLi16ELi16ELi32ELi32ELi8ELi32ELi8ELi8ELi32ELc84ELc84EKPKdS3_KPdEEvlllT_PT11_llS8_llS6_PT12_llPT13_lli,comdat
	.globl	_ZN12_GLOBAL__N_127rocblas_gemm_batched_kernelIdLi16ELi16ELi32ELi32ELi8ELi32ELi8ELi8ELi32ELc84ELc84EKPKdS3_KPdEEvlllT_PT11_llS8_llS6_PT12_llPT13_lli ; -- Begin function _ZN12_GLOBAL__N_127rocblas_gemm_batched_kernelIdLi16ELi16ELi32ELi32ELi8ELi32ELi8ELi8ELi32ELc84ELc84EKPKdS3_KPdEEvlllT_PT11_llS8_llS6_PT12_llPT13_lli
	.p2align	8
	.type	_ZN12_GLOBAL__N_127rocblas_gemm_batched_kernelIdLi16ELi16ELi32ELi32ELi8ELi32ELi8ELi8ELi32ELc84ELc84EKPKdS3_KPdEEvlllT_PT11_llS8_llS6_PT12_llPT13_lli,@function
_ZN12_GLOBAL__N_127rocblas_gemm_batched_kernelIdLi16ELi16ELi32ELi32ELi8ELi32ELi8ELi8ELi32ELc84ELc84EKPKdS3_KPdEEvlllT_PT11_llS8_llS6_PT12_llPT13_lli: ; @_ZN12_GLOBAL__N_127rocblas_gemm_batched_kernelIdLi16ELi16ELi32ELi32ELi8ELi32ELi8ELi8ELi32ELc84ELc84EKPKdS3_KPdEEvlllT_PT11_llS8_llS6_PT12_llPT13_lli
; %bb.0:
	s_clause 0x2
	s_load_dwordx8 s[36:43], s[4:5], 0x50
	s_load_dwordx8 s[44:51], s[4:5], 0x70
	s_load_dwordx16 s[12:27], s[4:5], 0x10
	s_mov_b32 s9, 0
	s_mov_b32 s10, s7
	s_lshl_b64 s[0:1], s[8:9], 3
	v_mov_b32_e32 v3, 0
	s_waitcnt lgkmcnt(0)
	s_add_u32 s2, s38, s0
	s_addc_u32 s3, s39, s1
	s_add_u32 s4, s44, s0
	s_addc_u32 s5, s45, s1
	s_load_dwordx2 s[2:3], s[2:3], 0x0
	s_load_dwordx2 s[4:5], s[4:5], 0x0
	v_cmp_lt_i64_e64 s8, s[12:13], 1
	s_ashr_i32 s7, s6, 31
	s_ashr_i32 s11, s10, 31
	s_lshl_b64 s[6:7], s[6:7], 5
	s_and_b32 vcc_lo, exec_lo, s8
	s_lshl_b64 s[8:9], s[10:11], 5
	s_cbranch_vccnz .LBB13_3
; %bb.1:
	v_lshl_add_u32 v5, v1, 4, v0
	s_add_u32 s10, s16, s0
	v_and_b32_e32 v7, 7, v0
	s_addc_u32 s11, s17, s1
	s_add_u32 s0, s22, s0
	v_and_b32_e32 v8, 31, v5
	v_lshrrev_b32_e32 v2, 3, v5
	s_addc_u32 s1, s23, s1
	v_lshrrev_b32_e32 v10, 5, v5
	s_load_dwordx2 s[0:1], s[0:1], 0x0
	v_add_co_u32 v6, s16, s6, v8
	v_mad_u64_u32 v[3:4], null, s24, v7, v[2:3]
	v_add_co_ci_u32_e64 v9, null, s7, 0, s16
	v_mul_lo_u32 v12, s19, v6
	v_mad_u64_u32 v[5:6], null, s18, v6, 0
	v_lshlrev_b32_e32 v11, 3, v7
	v_mul_lo_u32 v9, s18, v9
	v_lshlrev_b32_e32 v13, 3, v8
	s_load_dwordx2 s[10:11], s[10:11], 0x0
	s_lshl_b64 s[16:17], s[26:27], 3
	v_lshl_or_b32 v2, v2, 6, v11
	v_mad_u64_u32 v[7:8], null, s25, v7, v[4:5]
	v_lshl_or_b32 v14, v10, 8, v13
	v_add3_u32 v6, v6, v9, v12
	v_add_nc_u32_e32 v15, 0x800, v2
	v_add_co_u32 v2, vcc_lo, v3, s8
	s_waitcnt lgkmcnt(0)
	s_add_u32 s16, s0, s16
	v_add_co_ci_u32_e64 v3, null, s9, v7, vcc_lo
	v_lshlrev_b64 v[4:5], 3, v[5:6]
	s_addc_u32 s17, s1, s17
	s_lshl_b64 s[0:1], s[20:21], 3
	v_lshlrev_b64 v[2:3], 3, v[2:3]
	v_lshlrev_b32_e32 v6, 3, v10
	v_mov_b32_e32 v8, 0
	v_add_co_u32 v4, vcc_lo, v4, s0
	v_add_co_ci_u32_e64 v5, null, s1, v5, vcc_lo
	v_add_co_u32 v10, vcc_lo, s16, v2
	v_add_co_ci_u32_e64 v11, null, s17, v3, vcc_lo
	;; [unrolled: 2-line block ×3, first 2 shown]
	v_mov_b32_e32 v2, 0
	v_add_co_u32 v12, vcc_lo, s10, v12
	v_mov_b32_e32 v4, 0
	v_mov_b32_e32 v6, 0
	v_lshlrev_b32_e32 v16, 3, v0
	v_lshl_add_u32 v17, v1, 6, 0x800
	v_mov_b32_e32 v3, 0
	v_mov_b32_e32 v5, 0
	;; [unrolled: 1-line block ×4, first 2 shown]
	v_add_co_ci_u32_e64 v13, null, s11, v13, vcc_lo
	s_lshl_b64 s[10:11], s[24:25], 6
	s_mov_b64 s[16:17], 0
.LBB13_2:                               ; =>This Inner Loop Header: Depth=1
	flat_load_dwordx2 v[18:19], v[12:13]
	s_add_u32 s16, s16, 8
	s_addc_u32 s17, s17, 0
	v_add_co_u32 v12, vcc_lo, v12, 64
	v_cmp_lt_i64_e64 s0, s[16:17], s[12:13]
	v_add_co_ci_u32_e64 v13, null, 0, v13, vcc_lo
	s_and_b32 vcc_lo, exec_lo, s0
	s_waitcnt vmcnt(0) lgkmcnt(0)
	ds_write_b64 v14, v[18:19]
	flat_load_dwordx2 v[18:19], v[10:11]
	v_add_co_u32 v10, s0, v10, s10
	v_add_co_ci_u32_e64 v11, null, s11, v11, s0
	s_waitcnt vmcnt(0) lgkmcnt(0)
	ds_write_b64 v15, v[18:19]
	s_waitcnt lgkmcnt(0)
	s_barrier
	buffer_gl0_inv
	ds_read_b128 v[18:21], v17
	ds_read2_b64 v[22:25], v16 offset1:16
	ds_read_b128 v[26:29], v17 offset:1024
	ds_read_b128 v[30:33], v17 offset:16
	;; [unrolled: 1-line block ×3, first 2 shown]
	s_waitcnt lgkmcnt(3)
	v_fma_f64 v[8:9], v[22:23], v[18:19], v[8:9]
	v_fma_f64 v[6:7], v[24:25], v[18:19], v[6:7]
	s_waitcnt lgkmcnt(2)
	v_fma_f64 v[18:19], v[22:23], v[26:27], v[4:5]
	v_fma_f64 v[22:23], v[24:25], v[26:27], v[2:3]
	ds_read2_b64 v[2:5], v16 offset0:32 offset1:48
	s_waitcnt lgkmcnt(0)
	v_fma_f64 v[8:9], v[2:3], v[20:21], v[8:9]
	v_fma_f64 v[6:7], v[4:5], v[20:21], v[6:7]
	;; [unrolled: 1-line block ×4, first 2 shown]
	ds_read2_b64 v[2:5], v16 offset0:64 offset1:80
	s_waitcnt lgkmcnt(0)
	v_fma_f64 v[22:23], v[2:3], v[30:31], v[8:9]
	v_fma_f64 v[24:25], v[4:5], v[30:31], v[6:7]
	;; [unrolled: 1-line block ×4, first 2 shown]
	ds_read2_b64 v[2:5], v16 offset0:96 offset1:112
	ds_read_b128 v[6:9], v17 offset:32
	ds_read2_b64 v[18:21], v16 offset0:128 offset1:144
	s_waitcnt lgkmcnt(2)
	v_fma_f64 v[30:31], v[2:3], v[32:33], v[22:23]
	v_fma_f64 v[32:33], v[4:5], v[32:33], v[24:25]
	;; [unrolled: 1-line block ×4, first 2 shown]
	ds_read_b128 v[2:5], v17 offset:1056
	ds_read_b128 v[22:25], v17 offset:48
	;; [unrolled: 1-line block ×3, first 2 shown]
	s_waitcnt lgkmcnt(3)
	v_fma_f64 v[30:31], v[18:19], v[6:7], v[30:31]
	v_fma_f64 v[6:7], v[20:21], v[6:7], v[32:33]
	s_waitcnt lgkmcnt(2)
	v_fma_f64 v[32:33], v[18:19], v[2:3], v[34:35]
	v_fma_f64 v[2:3], v[20:21], v[2:3], v[36:37]
	ds_read2_b64 v[18:21], v16 offset0:160 offset1:176
	s_waitcnt lgkmcnt(0)
	v_fma_f64 v[30:31], v[18:19], v[8:9], v[30:31]
	v_fma_f64 v[6:7], v[20:21], v[8:9], v[6:7]
	;; [unrolled: 1-line block ×4, first 2 shown]
	ds_read2_b64 v[2:5], v16 offset0:192 offset1:208
	s_waitcnt lgkmcnt(0)
	v_fma_f64 v[30:31], v[2:3], v[22:23], v[30:31]
	v_fma_f64 v[6:7], v[4:5], v[22:23], v[6:7]
	;; [unrolled: 1-line block ×4, first 2 shown]
	ds_read2_b64 v[18:21], v16 offset0:224 offset1:240
	s_waitcnt lgkmcnt(0)
	s_barrier
	buffer_gl0_inv
	v_fma_f64 v[8:9], v[18:19], v[24:25], v[30:31]
	v_fma_f64 v[6:7], v[20:21], v[24:25], v[6:7]
	;; [unrolled: 1-line block ×4, first 2 shown]
	s_cbranch_vccnz .LBB13_2
	s_branch .LBB13_4
.LBB13_3:
	v_mov_b32_e32 v8, 0
	v_mov_b32_e32 v6, 0
	;; [unrolled: 1-line block ×8, first 2 shown]
.LBB13_4:
	v_cmp_neq_f64_e64 s10, s[36:37], 0
	v_add_co_u32 v10, s8, s8, v1
	v_add_co_ci_u32_e64 v13, null, s9, 0, s8
	v_add_co_u32 v0, s6, s6, v0
	v_add_co_ci_u32_e64 v1, null, s7, 0, s6
	v_mul_lo_u32 v11, v13, s46
	v_mul_lo_u32 v12, v10, s47
	s_lshl_b64 s[0:1], s[48:49], 3
	v_lshlrev_b64 v[0:1], 3, v[0:1]
	s_waitcnt lgkmcnt(0)
	s_add_u32 s0, s4, s0
	s_addc_u32 s1, s5, s1
	s_and_b32 vcc_lo, exec_lo, s10
	s_cbranch_vccnz .LBB13_8
; %bb.5:
	v_mad_u64_u32 v[14:15], null, v10, s46, 0
	v_mul_f64 v[16:17], s[14:15], v[8:9]
	v_mul_f64 v[18:19], s[14:15], v[6:7]
	;; [unrolled: 1-line block ×4, first 2 shown]
	s_lshl_b64 s[4:5], s[46:47], 7
	v_add3_u32 v15, v15, v12, v11
	v_lshlrev_b64 v[14:15], 3, v[14:15]
	v_add_co_u32 v14, vcc_lo, s0, v14
	v_add_co_ci_u32_e64 v15, null, s1, v15, vcc_lo
	v_add_co_u32 v24, vcc_lo, v14, s4
	v_add_co_ci_u32_e64 v25, null, s5, v15, vcc_lo
	;; [unrolled: 2-line block ×4, first 2 shown]
	flat_store_dwordx2 v[14:15], v[16:17]
	flat_store_dwordx2 v[14:15], v[18:19] offset:128
	flat_store_dwordx2 v[24:25], v[20:21]
	flat_store_dwordx2 v[24:25], v[22:23] offset:128
	s_cbranch_execnz .LBB13_7
.LBB13_6:
	v_mul_lo_u32 v15, v13, s40
	v_mul_lo_u32 v16, v10, s41
	v_mad_u64_u32 v[13:14], null, v10, s40, 0
	s_lshl_b64 s[4:5], s[42:43], 3
	v_mad_u64_u32 v[17:18], null, v10, s46, 0
	s_add_u32 s2, s2, s4
	s_addc_u32 s3, s3, s5
	v_add3_u32 v14, v14, v16, v15
	v_add3_u32 v18, v18, v12, v11
	v_lshlrev_b64 v[13:14], 3, v[13:14]
	v_lshlrev_b64 v[10:11], 3, v[17:18]
	v_add_co_u32 v19, vcc_lo, s2, v13
	v_add_co_ci_u32_e64 v20, null, s3, v14, vcc_lo
	v_add_co_u32 v13, vcc_lo, v19, v0
	v_add_co_ci_u32_e64 v14, null, v20, v1, vcc_lo
	v_add_co_u32 v12, vcc_lo, s0, v10
	flat_load_dwordx2 v[15:16], v[13:14]
	s_waitcnt vmcnt(0) lgkmcnt(0)
	v_mul_f64 v[15:16], s[36:37], v[15:16]
	v_fma_f64 v[8:9], s[14:15], v[8:9], v[15:16]
	v_add_co_ci_u32_e64 v15, null, s1, v11, vcc_lo
	v_add_co_u32 v10, vcc_lo, v12, v0
	s_lshl_b64 s[0:1], s[40:41], 7
	v_add_co_ci_u32_e64 v11, null, v15, v1, vcc_lo
	flat_store_dwordx2 v[10:11], v[8:9]
	flat_load_dwordx2 v[8:9], v[13:14] offset:128
	s_waitcnt vmcnt(0) lgkmcnt(0)
	v_mul_f64 v[8:9], s[36:37], v[8:9]
	v_fma_f64 v[6:7], s[14:15], v[6:7], v[8:9]
	v_add_co_u32 v8, vcc_lo, v19, s0
	v_add_co_ci_u32_e64 v9, null, s1, v20, vcc_lo
	s_lshl_b64 s[0:1], s[46:47], 7
	v_add_co_u32 v8, vcc_lo, v8, v0
	v_add_co_ci_u32_e64 v9, null, v9, v1, vcc_lo
	flat_store_dwordx2 v[10:11], v[6:7] offset:128
	flat_load_dwordx2 v[6:7], v[8:9]
	s_waitcnt vmcnt(0) lgkmcnt(0)
	v_mul_f64 v[6:7], s[36:37], v[6:7]
	v_fma_f64 v[4:5], s[14:15], v[4:5], v[6:7]
	v_add_co_u32 v6, vcc_lo, v12, s0
	v_add_co_ci_u32_e64 v7, null, s1, v15, vcc_lo
	v_add_co_u32 v0, vcc_lo, v6, v0
	v_add_co_ci_u32_e64 v1, null, v7, v1, vcc_lo
	flat_store_dwordx2 v[0:1], v[4:5]
	flat_load_dwordx2 v[4:5], v[8:9] offset:128
	s_waitcnt vmcnt(0) lgkmcnt(0)
	v_mul_f64 v[4:5], s[36:37], v[4:5]
	v_fma_f64 v[2:3], s[14:15], v[2:3], v[4:5]
	flat_store_dwordx2 v[0:1], v[2:3] offset:128
.LBB13_7:
	s_endpgm
.LBB13_8:
	s_branch .LBB13_6
	.section	.rodata,"a",@progbits
	.p2align	6, 0x0
	.amdhsa_kernel _ZN12_GLOBAL__N_127rocblas_gemm_batched_kernelIdLi16ELi16ELi32ELi32ELi8ELi32ELi8ELi8ELi32ELc84ELc84EKPKdS3_KPdEEvlllT_PT11_llS8_llS6_PT12_llPT13_lli
		.amdhsa_group_segment_fixed_size 4096
		.amdhsa_private_segment_fixed_size 0
		.amdhsa_kernarg_size 140
		.amdhsa_user_sgpr_count 6
		.amdhsa_user_sgpr_private_segment_buffer 1
		.amdhsa_user_sgpr_dispatch_ptr 0
		.amdhsa_user_sgpr_queue_ptr 0
		.amdhsa_user_sgpr_kernarg_segment_ptr 1
		.amdhsa_user_sgpr_dispatch_id 0
		.amdhsa_user_sgpr_flat_scratch_init 0
		.amdhsa_user_sgpr_private_segment_size 0
		.amdhsa_wavefront_size32 1
		.amdhsa_uses_dynamic_stack 0
		.amdhsa_system_sgpr_private_segment_wavefront_offset 0
		.amdhsa_system_sgpr_workgroup_id_x 1
		.amdhsa_system_sgpr_workgroup_id_y 1
		.amdhsa_system_sgpr_workgroup_id_z 1
		.amdhsa_system_sgpr_workgroup_info 0
		.amdhsa_system_vgpr_workitem_id 1
		.amdhsa_next_free_vgpr 38
		.amdhsa_next_free_sgpr 52
		.amdhsa_reserve_vcc 1
		.amdhsa_reserve_flat_scratch 0
		.amdhsa_float_round_mode_32 0
		.amdhsa_float_round_mode_16_64 0
		.amdhsa_float_denorm_mode_32 3
		.amdhsa_float_denorm_mode_16_64 3
		.amdhsa_dx10_clamp 1
		.amdhsa_ieee_mode 1
		.amdhsa_fp16_overflow 0
		.amdhsa_workgroup_processor_mode 1
		.amdhsa_memory_ordered 1
		.amdhsa_forward_progress 1
		.amdhsa_shared_vgpr_count 0
		.amdhsa_exception_fp_ieee_invalid_op 0
		.amdhsa_exception_fp_denorm_src 0
		.amdhsa_exception_fp_ieee_div_zero 0
		.amdhsa_exception_fp_ieee_overflow 0
		.amdhsa_exception_fp_ieee_underflow 0
		.amdhsa_exception_fp_ieee_inexact 0
		.amdhsa_exception_int_div_zero 0
	.end_amdhsa_kernel
	.section	.text._ZN12_GLOBAL__N_127rocblas_gemm_batched_kernelIdLi16ELi16ELi32ELi32ELi8ELi32ELi8ELi8ELi32ELc84ELc84EKPKdS3_KPdEEvlllT_PT11_llS8_llS6_PT12_llPT13_lli,"axG",@progbits,_ZN12_GLOBAL__N_127rocblas_gemm_batched_kernelIdLi16ELi16ELi32ELi32ELi8ELi32ELi8ELi8ELi32ELc84ELc84EKPKdS3_KPdEEvlllT_PT11_llS8_llS6_PT12_llPT13_lli,comdat
.Lfunc_end13:
	.size	_ZN12_GLOBAL__N_127rocblas_gemm_batched_kernelIdLi16ELi16ELi32ELi32ELi8ELi32ELi8ELi8ELi32ELc84ELc84EKPKdS3_KPdEEvlllT_PT11_llS8_llS6_PT12_llPT13_lli, .Lfunc_end13-_ZN12_GLOBAL__N_127rocblas_gemm_batched_kernelIdLi16ELi16ELi32ELi32ELi8ELi32ELi8ELi8ELi32ELc84ELc84EKPKdS3_KPdEEvlllT_PT11_llS8_llS6_PT12_llPT13_lli
                                        ; -- End function
	.set _ZN12_GLOBAL__N_127rocblas_gemm_batched_kernelIdLi16ELi16ELi32ELi32ELi8ELi32ELi8ELi8ELi32ELc84ELc84EKPKdS3_KPdEEvlllT_PT11_llS8_llS6_PT12_llPT13_lli.num_vgpr, 38
	.set _ZN12_GLOBAL__N_127rocblas_gemm_batched_kernelIdLi16ELi16ELi32ELi32ELi8ELi32ELi8ELi8ELi32ELc84ELc84EKPKdS3_KPdEEvlllT_PT11_llS8_llS6_PT12_llPT13_lli.num_agpr, 0
	.set _ZN12_GLOBAL__N_127rocblas_gemm_batched_kernelIdLi16ELi16ELi32ELi32ELi8ELi32ELi8ELi8ELi32ELc84ELc84EKPKdS3_KPdEEvlllT_PT11_llS8_llS6_PT12_llPT13_lli.numbered_sgpr, 52
	.set _ZN12_GLOBAL__N_127rocblas_gemm_batched_kernelIdLi16ELi16ELi32ELi32ELi8ELi32ELi8ELi8ELi32ELc84ELc84EKPKdS3_KPdEEvlllT_PT11_llS8_llS6_PT12_llPT13_lli.num_named_barrier, 0
	.set _ZN12_GLOBAL__N_127rocblas_gemm_batched_kernelIdLi16ELi16ELi32ELi32ELi8ELi32ELi8ELi8ELi32ELc84ELc84EKPKdS3_KPdEEvlllT_PT11_llS8_llS6_PT12_llPT13_lli.private_seg_size, 0
	.set _ZN12_GLOBAL__N_127rocblas_gemm_batched_kernelIdLi16ELi16ELi32ELi32ELi8ELi32ELi8ELi8ELi32ELc84ELc84EKPKdS3_KPdEEvlllT_PT11_llS8_llS6_PT12_llPT13_lli.uses_vcc, 1
	.set _ZN12_GLOBAL__N_127rocblas_gemm_batched_kernelIdLi16ELi16ELi32ELi32ELi8ELi32ELi8ELi8ELi32ELc84ELc84EKPKdS3_KPdEEvlllT_PT11_llS8_llS6_PT12_llPT13_lli.uses_flat_scratch, 0
	.set _ZN12_GLOBAL__N_127rocblas_gemm_batched_kernelIdLi16ELi16ELi32ELi32ELi8ELi32ELi8ELi8ELi32ELc84ELc84EKPKdS3_KPdEEvlllT_PT11_llS8_llS6_PT12_llPT13_lli.has_dyn_sized_stack, 0
	.set _ZN12_GLOBAL__N_127rocblas_gemm_batched_kernelIdLi16ELi16ELi32ELi32ELi8ELi32ELi8ELi8ELi32ELc84ELc84EKPKdS3_KPdEEvlllT_PT11_llS8_llS6_PT12_llPT13_lli.has_recursion, 0
	.set _ZN12_GLOBAL__N_127rocblas_gemm_batched_kernelIdLi16ELi16ELi32ELi32ELi8ELi32ELi8ELi8ELi32ELc84ELc84EKPKdS3_KPdEEvlllT_PT11_llS8_llS6_PT12_llPT13_lli.has_indirect_call, 0
	.section	.AMDGPU.csdata,"",@progbits
; Kernel info:
; codeLenInByte = 1636
; TotalNumSgprs: 54
; NumVgprs: 38
; ScratchSize: 0
; MemoryBound: 0
; FloatMode: 240
; IeeeMode: 1
; LDSByteSize: 4096 bytes/workgroup (compile time only)
; SGPRBlocks: 0
; VGPRBlocks: 4
; NumSGPRsForWavesPerEU: 54
; NumVGPRsForWavesPerEU: 38
; Occupancy: 16
; WaveLimiterHint : 1
; COMPUTE_PGM_RSRC2:SCRATCH_EN: 0
; COMPUTE_PGM_RSRC2:USER_SGPR: 6
; COMPUTE_PGM_RSRC2:TRAP_HANDLER: 0
; COMPUTE_PGM_RSRC2:TGID_X_EN: 1
; COMPUTE_PGM_RSRC2:TGID_Y_EN: 1
; COMPUTE_PGM_RSRC2:TGID_Z_EN: 1
; COMPUTE_PGM_RSRC2:TIDIG_COMP_CNT: 1
	.section	.text._ZN12_GLOBAL__N_127rocblas_gemm_batched_kernelIdLi16ELi16ELi32ELi32ELi8ELi32ELi8ELi8ELi32ELc67ELc67EKPKdS3_KPdEEvlllT_PT11_llS8_llS6_PT12_llPT13_lli,"axG",@progbits,_ZN12_GLOBAL__N_127rocblas_gemm_batched_kernelIdLi16ELi16ELi32ELi32ELi8ELi32ELi8ELi8ELi32ELc67ELc67EKPKdS3_KPdEEvlllT_PT11_llS8_llS6_PT12_llPT13_lli,comdat
	.globl	_ZN12_GLOBAL__N_127rocblas_gemm_batched_kernelIdLi16ELi16ELi32ELi32ELi8ELi32ELi8ELi8ELi32ELc67ELc67EKPKdS3_KPdEEvlllT_PT11_llS8_llS6_PT12_llPT13_lli ; -- Begin function _ZN12_GLOBAL__N_127rocblas_gemm_batched_kernelIdLi16ELi16ELi32ELi32ELi8ELi32ELi8ELi8ELi32ELc67ELc67EKPKdS3_KPdEEvlllT_PT11_llS8_llS6_PT12_llPT13_lli
	.p2align	8
	.type	_ZN12_GLOBAL__N_127rocblas_gemm_batched_kernelIdLi16ELi16ELi32ELi32ELi8ELi32ELi8ELi8ELi32ELc67ELc67EKPKdS3_KPdEEvlllT_PT11_llS8_llS6_PT12_llPT13_lli,@function
_ZN12_GLOBAL__N_127rocblas_gemm_batched_kernelIdLi16ELi16ELi32ELi32ELi8ELi32ELi8ELi8ELi32ELc67ELc67EKPKdS3_KPdEEvlllT_PT11_llS8_llS6_PT12_llPT13_lli: ; @_ZN12_GLOBAL__N_127rocblas_gemm_batched_kernelIdLi16ELi16ELi32ELi32ELi8ELi32ELi8ELi8ELi32ELc67ELc67EKPKdS3_KPdEEvlllT_PT11_llS8_llS6_PT12_llPT13_lli
; %bb.0:
	s_clause 0x2
	s_load_dwordx8 s[36:43], s[4:5], 0x50
	s_load_dwordx8 s[44:51], s[4:5], 0x70
	s_load_dwordx16 s[12:27], s[4:5], 0x10
	s_mov_b32 s9, 0
	s_mov_b32 s10, s7
	s_lshl_b64 s[0:1], s[8:9], 3
	v_mov_b32_e32 v3, 0
	s_waitcnt lgkmcnt(0)
	s_add_u32 s2, s38, s0
	s_addc_u32 s3, s39, s1
	s_add_u32 s4, s44, s0
	s_addc_u32 s5, s45, s1
	s_load_dwordx2 s[2:3], s[2:3], 0x0
	s_load_dwordx2 s[4:5], s[4:5], 0x0
	v_cmp_lt_i64_e64 s8, s[12:13], 1
	s_ashr_i32 s7, s6, 31
	s_ashr_i32 s11, s10, 31
	s_lshl_b64 s[6:7], s[6:7], 5
	s_and_b32 vcc_lo, exec_lo, s8
	s_lshl_b64 s[8:9], s[10:11], 5
	s_cbranch_vccnz .LBB14_3
; %bb.1:
	v_lshl_add_u32 v5, v1, 4, v0
	s_add_u32 s10, s16, s0
	v_and_b32_e32 v7, 7, v0
	s_addc_u32 s11, s17, s1
	s_add_u32 s0, s22, s0
	v_and_b32_e32 v8, 31, v5
	v_lshrrev_b32_e32 v2, 3, v5
	s_addc_u32 s1, s23, s1
	v_lshrrev_b32_e32 v10, 5, v5
	s_load_dwordx2 s[0:1], s[0:1], 0x0
	v_add_co_u32 v6, s16, s6, v8
	v_mad_u64_u32 v[3:4], null, s24, v7, v[2:3]
	v_add_co_ci_u32_e64 v9, null, s7, 0, s16
	v_mul_lo_u32 v12, s19, v6
	v_mad_u64_u32 v[5:6], null, s18, v6, 0
	v_lshlrev_b32_e32 v11, 3, v7
	v_mul_lo_u32 v9, s18, v9
	v_lshlrev_b32_e32 v13, 3, v8
	s_load_dwordx2 s[10:11], s[10:11], 0x0
	s_lshl_b64 s[16:17], s[26:27], 3
	v_lshl_or_b32 v2, v2, 6, v11
	v_mad_u64_u32 v[7:8], null, s25, v7, v[4:5]
	v_lshl_or_b32 v14, v10, 8, v13
	v_add3_u32 v6, v6, v9, v12
	v_add_nc_u32_e32 v15, 0x800, v2
	v_add_co_u32 v2, vcc_lo, v3, s8
	s_waitcnt lgkmcnt(0)
	s_add_u32 s16, s0, s16
	v_add_co_ci_u32_e64 v3, null, s9, v7, vcc_lo
	v_lshlrev_b64 v[4:5], 3, v[5:6]
	s_addc_u32 s17, s1, s17
	s_lshl_b64 s[0:1], s[20:21], 3
	v_lshlrev_b64 v[2:3], 3, v[2:3]
	v_lshlrev_b32_e32 v6, 3, v10
	v_mov_b32_e32 v8, 0
	v_add_co_u32 v4, vcc_lo, v4, s0
	v_add_co_ci_u32_e64 v5, null, s1, v5, vcc_lo
	v_add_co_u32 v10, vcc_lo, s16, v2
	v_add_co_ci_u32_e64 v11, null, s17, v3, vcc_lo
	;; [unrolled: 2-line block ×3, first 2 shown]
	v_mov_b32_e32 v2, 0
	v_add_co_u32 v12, vcc_lo, s10, v12
	v_mov_b32_e32 v4, 0
	v_mov_b32_e32 v6, 0
	v_lshlrev_b32_e32 v16, 3, v0
	v_lshl_add_u32 v17, v1, 6, 0x800
	v_mov_b32_e32 v3, 0
	v_mov_b32_e32 v5, 0
	;; [unrolled: 1-line block ×4, first 2 shown]
	v_add_co_ci_u32_e64 v13, null, s11, v13, vcc_lo
	s_lshl_b64 s[10:11], s[24:25], 6
	s_mov_b64 s[16:17], 0
.LBB14_2:                               ; =>This Inner Loop Header: Depth=1
	flat_load_dwordx2 v[18:19], v[12:13]
	s_add_u32 s16, s16, 8
	s_addc_u32 s17, s17, 0
	v_add_co_u32 v12, vcc_lo, v12, 64
	v_cmp_lt_i64_e64 s0, s[16:17], s[12:13]
	v_add_co_ci_u32_e64 v13, null, 0, v13, vcc_lo
	s_and_b32 vcc_lo, exec_lo, s0
	s_waitcnt vmcnt(0) lgkmcnt(0)
	ds_write_b64 v14, v[18:19]
	flat_load_dwordx2 v[18:19], v[10:11]
	v_add_co_u32 v10, s0, v10, s10
	v_add_co_ci_u32_e64 v11, null, s11, v11, s0
	s_waitcnt vmcnt(0) lgkmcnt(0)
	ds_write_b64 v15, v[18:19]
	s_waitcnt lgkmcnt(0)
	s_barrier
	buffer_gl0_inv
	ds_read_b128 v[18:21], v17
	ds_read2_b64 v[22:25], v16 offset1:16
	ds_read_b128 v[26:29], v17 offset:1024
	ds_read_b128 v[30:33], v17 offset:16
	;; [unrolled: 1-line block ×3, first 2 shown]
	s_waitcnt lgkmcnt(3)
	v_fma_f64 v[8:9], v[22:23], v[18:19], v[8:9]
	v_fma_f64 v[6:7], v[24:25], v[18:19], v[6:7]
	s_waitcnt lgkmcnt(2)
	v_fma_f64 v[18:19], v[22:23], v[26:27], v[4:5]
	v_fma_f64 v[22:23], v[24:25], v[26:27], v[2:3]
	ds_read2_b64 v[2:5], v16 offset0:32 offset1:48
	s_waitcnt lgkmcnt(0)
	v_fma_f64 v[8:9], v[2:3], v[20:21], v[8:9]
	v_fma_f64 v[6:7], v[4:5], v[20:21], v[6:7]
	;; [unrolled: 1-line block ×4, first 2 shown]
	ds_read2_b64 v[2:5], v16 offset0:64 offset1:80
	s_waitcnt lgkmcnt(0)
	v_fma_f64 v[22:23], v[2:3], v[30:31], v[8:9]
	v_fma_f64 v[24:25], v[4:5], v[30:31], v[6:7]
	;; [unrolled: 1-line block ×4, first 2 shown]
	ds_read2_b64 v[2:5], v16 offset0:96 offset1:112
	ds_read_b128 v[6:9], v17 offset:32
	ds_read2_b64 v[18:21], v16 offset0:128 offset1:144
	s_waitcnt lgkmcnt(2)
	v_fma_f64 v[30:31], v[2:3], v[32:33], v[22:23]
	v_fma_f64 v[32:33], v[4:5], v[32:33], v[24:25]
	;; [unrolled: 1-line block ×4, first 2 shown]
	ds_read_b128 v[2:5], v17 offset:1056
	ds_read_b128 v[22:25], v17 offset:48
	ds_read_b128 v[26:29], v17 offset:1072
	s_waitcnt lgkmcnt(3)
	v_fma_f64 v[30:31], v[18:19], v[6:7], v[30:31]
	v_fma_f64 v[6:7], v[20:21], v[6:7], v[32:33]
	s_waitcnt lgkmcnt(2)
	v_fma_f64 v[32:33], v[18:19], v[2:3], v[34:35]
	v_fma_f64 v[2:3], v[20:21], v[2:3], v[36:37]
	ds_read2_b64 v[18:21], v16 offset0:160 offset1:176
	s_waitcnt lgkmcnt(0)
	v_fma_f64 v[30:31], v[18:19], v[8:9], v[30:31]
	v_fma_f64 v[6:7], v[20:21], v[8:9], v[6:7]
	;; [unrolled: 1-line block ×4, first 2 shown]
	ds_read2_b64 v[2:5], v16 offset0:192 offset1:208
	s_waitcnt lgkmcnt(0)
	v_fma_f64 v[30:31], v[2:3], v[22:23], v[30:31]
	v_fma_f64 v[6:7], v[4:5], v[22:23], v[6:7]
	;; [unrolled: 1-line block ×4, first 2 shown]
	ds_read2_b64 v[18:21], v16 offset0:224 offset1:240
	s_waitcnt lgkmcnt(0)
	s_barrier
	buffer_gl0_inv
	v_fma_f64 v[8:9], v[18:19], v[24:25], v[30:31]
	v_fma_f64 v[6:7], v[20:21], v[24:25], v[6:7]
	;; [unrolled: 1-line block ×4, first 2 shown]
	s_cbranch_vccnz .LBB14_2
	s_branch .LBB14_4
.LBB14_3:
	v_mov_b32_e32 v8, 0
	v_mov_b32_e32 v6, 0
	;; [unrolled: 1-line block ×8, first 2 shown]
.LBB14_4:
	v_cmp_neq_f64_e64 s10, s[36:37], 0
	v_add_co_u32 v10, s8, s8, v1
	v_add_co_ci_u32_e64 v13, null, s9, 0, s8
	v_add_co_u32 v0, s6, s6, v0
	v_add_co_ci_u32_e64 v1, null, s7, 0, s6
	v_mul_lo_u32 v11, v13, s46
	v_mul_lo_u32 v12, v10, s47
	s_lshl_b64 s[0:1], s[48:49], 3
	v_lshlrev_b64 v[0:1], 3, v[0:1]
	s_waitcnt lgkmcnt(0)
	s_add_u32 s0, s4, s0
	s_addc_u32 s1, s5, s1
	s_and_b32 vcc_lo, exec_lo, s10
	s_cbranch_vccnz .LBB14_8
; %bb.5:
	v_mad_u64_u32 v[14:15], null, v10, s46, 0
	v_mul_f64 v[16:17], s[14:15], v[8:9]
	v_mul_f64 v[18:19], s[14:15], v[6:7]
	v_mul_f64 v[20:21], s[14:15], v[4:5]
	v_mul_f64 v[22:23], s[14:15], v[2:3]
	s_lshl_b64 s[4:5], s[46:47], 7
	v_add3_u32 v15, v15, v12, v11
	v_lshlrev_b64 v[14:15], 3, v[14:15]
	v_add_co_u32 v14, vcc_lo, s0, v14
	v_add_co_ci_u32_e64 v15, null, s1, v15, vcc_lo
	v_add_co_u32 v24, vcc_lo, v14, s4
	v_add_co_ci_u32_e64 v25, null, s5, v15, vcc_lo
	;; [unrolled: 2-line block ×4, first 2 shown]
	flat_store_dwordx2 v[14:15], v[16:17]
	flat_store_dwordx2 v[14:15], v[18:19] offset:128
	flat_store_dwordx2 v[24:25], v[20:21]
	flat_store_dwordx2 v[24:25], v[22:23] offset:128
	s_cbranch_execnz .LBB14_7
.LBB14_6:
	v_mul_lo_u32 v15, v13, s40
	v_mul_lo_u32 v16, v10, s41
	v_mad_u64_u32 v[13:14], null, v10, s40, 0
	s_lshl_b64 s[4:5], s[42:43], 3
	v_mad_u64_u32 v[17:18], null, v10, s46, 0
	s_add_u32 s2, s2, s4
	s_addc_u32 s3, s3, s5
	v_add3_u32 v14, v14, v16, v15
	v_add3_u32 v18, v18, v12, v11
	v_lshlrev_b64 v[13:14], 3, v[13:14]
	v_lshlrev_b64 v[10:11], 3, v[17:18]
	v_add_co_u32 v19, vcc_lo, s2, v13
	v_add_co_ci_u32_e64 v20, null, s3, v14, vcc_lo
	v_add_co_u32 v13, vcc_lo, v19, v0
	v_add_co_ci_u32_e64 v14, null, v20, v1, vcc_lo
	v_add_co_u32 v12, vcc_lo, s0, v10
	flat_load_dwordx2 v[15:16], v[13:14]
	s_waitcnt vmcnt(0) lgkmcnt(0)
	v_mul_f64 v[15:16], s[36:37], v[15:16]
	v_fma_f64 v[8:9], s[14:15], v[8:9], v[15:16]
	v_add_co_ci_u32_e64 v15, null, s1, v11, vcc_lo
	v_add_co_u32 v10, vcc_lo, v12, v0
	s_lshl_b64 s[0:1], s[40:41], 7
	v_add_co_ci_u32_e64 v11, null, v15, v1, vcc_lo
	flat_store_dwordx2 v[10:11], v[8:9]
	flat_load_dwordx2 v[8:9], v[13:14] offset:128
	s_waitcnt vmcnt(0) lgkmcnt(0)
	v_mul_f64 v[8:9], s[36:37], v[8:9]
	v_fma_f64 v[6:7], s[14:15], v[6:7], v[8:9]
	v_add_co_u32 v8, vcc_lo, v19, s0
	v_add_co_ci_u32_e64 v9, null, s1, v20, vcc_lo
	s_lshl_b64 s[0:1], s[46:47], 7
	v_add_co_u32 v8, vcc_lo, v8, v0
	v_add_co_ci_u32_e64 v9, null, v9, v1, vcc_lo
	flat_store_dwordx2 v[10:11], v[6:7] offset:128
	flat_load_dwordx2 v[6:7], v[8:9]
	s_waitcnt vmcnt(0) lgkmcnt(0)
	v_mul_f64 v[6:7], s[36:37], v[6:7]
	v_fma_f64 v[4:5], s[14:15], v[4:5], v[6:7]
	v_add_co_u32 v6, vcc_lo, v12, s0
	v_add_co_ci_u32_e64 v7, null, s1, v15, vcc_lo
	v_add_co_u32 v0, vcc_lo, v6, v0
	v_add_co_ci_u32_e64 v1, null, v7, v1, vcc_lo
	flat_store_dwordx2 v[0:1], v[4:5]
	flat_load_dwordx2 v[4:5], v[8:9] offset:128
	s_waitcnt vmcnt(0) lgkmcnt(0)
	v_mul_f64 v[4:5], s[36:37], v[4:5]
	v_fma_f64 v[2:3], s[14:15], v[2:3], v[4:5]
	flat_store_dwordx2 v[0:1], v[2:3] offset:128
.LBB14_7:
	s_endpgm
.LBB14_8:
	s_branch .LBB14_6
	.section	.rodata,"a",@progbits
	.p2align	6, 0x0
	.amdhsa_kernel _ZN12_GLOBAL__N_127rocblas_gemm_batched_kernelIdLi16ELi16ELi32ELi32ELi8ELi32ELi8ELi8ELi32ELc67ELc67EKPKdS3_KPdEEvlllT_PT11_llS8_llS6_PT12_llPT13_lli
		.amdhsa_group_segment_fixed_size 4096
		.amdhsa_private_segment_fixed_size 0
		.amdhsa_kernarg_size 140
		.amdhsa_user_sgpr_count 6
		.amdhsa_user_sgpr_private_segment_buffer 1
		.amdhsa_user_sgpr_dispatch_ptr 0
		.amdhsa_user_sgpr_queue_ptr 0
		.amdhsa_user_sgpr_kernarg_segment_ptr 1
		.amdhsa_user_sgpr_dispatch_id 0
		.amdhsa_user_sgpr_flat_scratch_init 0
		.amdhsa_user_sgpr_private_segment_size 0
		.amdhsa_wavefront_size32 1
		.amdhsa_uses_dynamic_stack 0
		.amdhsa_system_sgpr_private_segment_wavefront_offset 0
		.amdhsa_system_sgpr_workgroup_id_x 1
		.amdhsa_system_sgpr_workgroup_id_y 1
		.amdhsa_system_sgpr_workgroup_id_z 1
		.amdhsa_system_sgpr_workgroup_info 0
		.amdhsa_system_vgpr_workitem_id 1
		.amdhsa_next_free_vgpr 38
		.amdhsa_next_free_sgpr 52
		.amdhsa_reserve_vcc 1
		.amdhsa_reserve_flat_scratch 0
		.amdhsa_float_round_mode_32 0
		.amdhsa_float_round_mode_16_64 0
		.amdhsa_float_denorm_mode_32 3
		.amdhsa_float_denorm_mode_16_64 3
		.amdhsa_dx10_clamp 1
		.amdhsa_ieee_mode 1
		.amdhsa_fp16_overflow 0
		.amdhsa_workgroup_processor_mode 1
		.amdhsa_memory_ordered 1
		.amdhsa_forward_progress 1
		.amdhsa_shared_vgpr_count 0
		.amdhsa_exception_fp_ieee_invalid_op 0
		.amdhsa_exception_fp_denorm_src 0
		.amdhsa_exception_fp_ieee_div_zero 0
		.amdhsa_exception_fp_ieee_overflow 0
		.amdhsa_exception_fp_ieee_underflow 0
		.amdhsa_exception_fp_ieee_inexact 0
		.amdhsa_exception_int_div_zero 0
	.end_amdhsa_kernel
	.section	.text._ZN12_GLOBAL__N_127rocblas_gemm_batched_kernelIdLi16ELi16ELi32ELi32ELi8ELi32ELi8ELi8ELi32ELc67ELc67EKPKdS3_KPdEEvlllT_PT11_llS8_llS6_PT12_llPT13_lli,"axG",@progbits,_ZN12_GLOBAL__N_127rocblas_gemm_batched_kernelIdLi16ELi16ELi32ELi32ELi8ELi32ELi8ELi8ELi32ELc67ELc67EKPKdS3_KPdEEvlllT_PT11_llS8_llS6_PT12_llPT13_lli,comdat
.Lfunc_end14:
	.size	_ZN12_GLOBAL__N_127rocblas_gemm_batched_kernelIdLi16ELi16ELi32ELi32ELi8ELi32ELi8ELi8ELi32ELc67ELc67EKPKdS3_KPdEEvlllT_PT11_llS8_llS6_PT12_llPT13_lli, .Lfunc_end14-_ZN12_GLOBAL__N_127rocblas_gemm_batched_kernelIdLi16ELi16ELi32ELi32ELi8ELi32ELi8ELi8ELi32ELc67ELc67EKPKdS3_KPdEEvlllT_PT11_llS8_llS6_PT12_llPT13_lli
                                        ; -- End function
	.set _ZN12_GLOBAL__N_127rocblas_gemm_batched_kernelIdLi16ELi16ELi32ELi32ELi8ELi32ELi8ELi8ELi32ELc67ELc67EKPKdS3_KPdEEvlllT_PT11_llS8_llS6_PT12_llPT13_lli.num_vgpr, 38
	.set _ZN12_GLOBAL__N_127rocblas_gemm_batched_kernelIdLi16ELi16ELi32ELi32ELi8ELi32ELi8ELi8ELi32ELc67ELc67EKPKdS3_KPdEEvlllT_PT11_llS8_llS6_PT12_llPT13_lli.num_agpr, 0
	.set _ZN12_GLOBAL__N_127rocblas_gemm_batched_kernelIdLi16ELi16ELi32ELi32ELi8ELi32ELi8ELi8ELi32ELc67ELc67EKPKdS3_KPdEEvlllT_PT11_llS8_llS6_PT12_llPT13_lli.numbered_sgpr, 52
	.set _ZN12_GLOBAL__N_127rocblas_gemm_batched_kernelIdLi16ELi16ELi32ELi32ELi8ELi32ELi8ELi8ELi32ELc67ELc67EKPKdS3_KPdEEvlllT_PT11_llS8_llS6_PT12_llPT13_lli.num_named_barrier, 0
	.set _ZN12_GLOBAL__N_127rocblas_gemm_batched_kernelIdLi16ELi16ELi32ELi32ELi8ELi32ELi8ELi8ELi32ELc67ELc67EKPKdS3_KPdEEvlllT_PT11_llS8_llS6_PT12_llPT13_lli.private_seg_size, 0
	.set _ZN12_GLOBAL__N_127rocblas_gemm_batched_kernelIdLi16ELi16ELi32ELi32ELi8ELi32ELi8ELi8ELi32ELc67ELc67EKPKdS3_KPdEEvlllT_PT11_llS8_llS6_PT12_llPT13_lli.uses_vcc, 1
	.set _ZN12_GLOBAL__N_127rocblas_gemm_batched_kernelIdLi16ELi16ELi32ELi32ELi8ELi32ELi8ELi8ELi32ELc67ELc67EKPKdS3_KPdEEvlllT_PT11_llS8_llS6_PT12_llPT13_lli.uses_flat_scratch, 0
	.set _ZN12_GLOBAL__N_127rocblas_gemm_batched_kernelIdLi16ELi16ELi32ELi32ELi8ELi32ELi8ELi8ELi32ELc67ELc67EKPKdS3_KPdEEvlllT_PT11_llS8_llS6_PT12_llPT13_lli.has_dyn_sized_stack, 0
	.set _ZN12_GLOBAL__N_127rocblas_gemm_batched_kernelIdLi16ELi16ELi32ELi32ELi8ELi32ELi8ELi8ELi32ELc67ELc67EKPKdS3_KPdEEvlllT_PT11_llS8_llS6_PT12_llPT13_lli.has_recursion, 0
	.set _ZN12_GLOBAL__N_127rocblas_gemm_batched_kernelIdLi16ELi16ELi32ELi32ELi8ELi32ELi8ELi8ELi32ELc67ELc67EKPKdS3_KPdEEvlllT_PT11_llS8_llS6_PT12_llPT13_lli.has_indirect_call, 0
	.section	.AMDGPU.csdata,"",@progbits
; Kernel info:
; codeLenInByte = 1636
; TotalNumSgprs: 54
; NumVgprs: 38
; ScratchSize: 0
; MemoryBound: 0
; FloatMode: 240
; IeeeMode: 1
; LDSByteSize: 4096 bytes/workgroup (compile time only)
; SGPRBlocks: 0
; VGPRBlocks: 4
; NumSGPRsForWavesPerEU: 54
; NumVGPRsForWavesPerEU: 38
; Occupancy: 16
; WaveLimiterHint : 1
; COMPUTE_PGM_RSRC2:SCRATCH_EN: 0
; COMPUTE_PGM_RSRC2:USER_SGPR: 6
; COMPUTE_PGM_RSRC2:TRAP_HANDLER: 0
; COMPUTE_PGM_RSRC2:TGID_X_EN: 1
; COMPUTE_PGM_RSRC2:TGID_Y_EN: 1
; COMPUTE_PGM_RSRC2:TGID_Z_EN: 1
; COMPUTE_PGM_RSRC2:TIDIG_COMP_CNT: 1
	.section	.text._ZN12_GLOBAL__N_127rocblas_gemm_batched_kernelIdLi16ELi16ELi32ELi32ELi8ELi32ELi8ELi8ELi32ELc67ELc78EKPKdS3_KPdEEvlllT_PT11_llS8_llS6_PT12_llPT13_lli,"axG",@progbits,_ZN12_GLOBAL__N_127rocblas_gemm_batched_kernelIdLi16ELi16ELi32ELi32ELi8ELi32ELi8ELi8ELi32ELc67ELc78EKPKdS3_KPdEEvlllT_PT11_llS8_llS6_PT12_llPT13_lli,comdat
	.globl	_ZN12_GLOBAL__N_127rocblas_gemm_batched_kernelIdLi16ELi16ELi32ELi32ELi8ELi32ELi8ELi8ELi32ELc67ELc78EKPKdS3_KPdEEvlllT_PT11_llS8_llS6_PT12_llPT13_lli ; -- Begin function _ZN12_GLOBAL__N_127rocblas_gemm_batched_kernelIdLi16ELi16ELi32ELi32ELi8ELi32ELi8ELi8ELi32ELc67ELc78EKPKdS3_KPdEEvlllT_PT11_llS8_llS6_PT12_llPT13_lli
	.p2align	8
	.type	_ZN12_GLOBAL__N_127rocblas_gemm_batched_kernelIdLi16ELi16ELi32ELi32ELi8ELi32ELi8ELi8ELi32ELc67ELc78EKPKdS3_KPdEEvlllT_PT11_llS8_llS6_PT12_llPT13_lli,@function
_ZN12_GLOBAL__N_127rocblas_gemm_batched_kernelIdLi16ELi16ELi32ELi32ELi8ELi32ELi8ELi8ELi32ELc67ELc78EKPKdS3_KPdEEvlllT_PT11_llS8_llS6_PT12_llPT13_lli: ; @_ZN12_GLOBAL__N_127rocblas_gemm_batched_kernelIdLi16ELi16ELi32ELi32ELi8ELi32ELi8ELi8ELi32ELc67ELc78EKPKdS3_KPdEEvlllT_PT11_llS8_llS6_PT12_llPT13_lli
; %bb.0:
	s_clause 0x2
	s_load_dwordx8 s[36:43], s[4:5], 0x50
	s_load_dwordx8 s[44:51], s[4:5], 0x70
	s_load_dwordx16 s[12:27], s[4:5], 0x10
	s_mov_b32 s9, 0
	s_mov_b32 s10, s7
	s_lshl_b64 s[0:1], s[8:9], 3
	s_waitcnt lgkmcnt(0)
	s_add_u32 s2, s38, s0
	s_addc_u32 s3, s39, s1
	s_add_u32 s4, s44, s0
	s_addc_u32 s5, s45, s1
	s_load_dwordx2 s[2:3], s[2:3], 0x0
	s_load_dwordx2 s[4:5], s[4:5], 0x0
	v_cmp_lt_i64_e64 s8, s[12:13], 1
	s_ashr_i32 s7, s6, 31
	s_ashr_i32 s11, s10, 31
	s_lshl_b64 s[6:7], s[6:7], 5
	s_and_b32 vcc_lo, exec_lo, s8
	s_lshl_b64 s[8:9], s[10:11], 5
	s_cbranch_vccnz .LBB15_3
; %bb.1:
	v_lshl_add_u32 v2, v1, 4, v0
	s_add_u32 s10, s16, s0
	v_and_b32_e32 v4, 7, v0
	s_addc_u32 s11, s17, s1
	s_add_u32 s0, s22, s0
	v_lshrrev_b32_e32 v5, 3, v2
	v_and_b32_e32 v7, 31, v2
	v_lshrrev_b32_e32 v8, 5, v2
	v_lshlrev_b32_e32 v10, 3, v4
	s_addc_u32 s1, s23, s1
	v_add_co_u32 v3, s16, v5, s8
	v_add_co_ci_u32_e64 v6, null, 0, s9, s16
	v_add_co_u32 v4, s16, s6, v7
	v_mul_lo_u32 v9, s25, v3
	v_mul_lo_u32 v6, s24, v6
	v_mad_u64_u32 v[2:3], null, s24, v3, 0
	v_add_co_ci_u32_e64 v11, null, s7, 0, s16
	v_lshl_or_b32 v12, v5, 6, v10
	s_load_dwordx2 s[0:1], s[0:1], 0x0
	v_lshlrev_b32_e32 v7, 3, v7
	s_load_dwordx2 s[10:11], s[10:11], 0x0
	v_add3_u32 v3, v3, v6, v9
	v_mul_lo_u32 v6, s19, v4
	v_mul_lo_u32 v9, s18, v11
	v_mad_u64_u32 v[4:5], null, s18, v4, 0
	v_lshlrev_b64 v[2:3], 3, v[2:3]
	s_lshl_b64 s[16:17], s[26:27], 3
	v_lshl_or_b32 v14, v8, 8, v7
	v_add_nc_u32_e32 v15, 0x800, v12
	v_lshlrev_b32_e32 v16, 3, v0
	v_lshl_add_u32 v17, v1, 6, 0x800
	v_add3_u32 v5, v5, v9, v6
	v_add_co_u32 v6, vcc_lo, v2, s16
	v_add_co_ci_u32_e64 v7, null, s17, v3, vcc_lo
	v_lshlrev_b64 v[2:3], 3, v[4:5]
	v_add_co_u32 v4, vcc_lo, v6, v10
	s_lshl_b64 s[16:17], s[20:21], 3
	v_add_co_ci_u32_e64 v5, null, 0, v7, vcc_lo
	v_add_co_u32 v2, vcc_lo, v2, s16
	v_lshlrev_b32_e32 v6, 3, v8
	v_add_co_ci_u32_e64 v3, null, s17, v3, vcc_lo
	s_waitcnt lgkmcnt(0)
	v_add_co_u32 v10, vcc_lo, s0, v4
	v_add_co_ci_u32_e64 v11, null, s1, v5, vcc_lo
	v_add_co_u32 v12, vcc_lo, v2, v6
	v_add_co_ci_u32_e64 v13, null, 0, v3, vcc_lo
	v_mov_b32_e32 v2, 0
	v_add_co_u32 v12, vcc_lo, s10, v12
	v_mov_b32_e32 v4, 0
	v_mov_b32_e32 v6, 0
	;; [unrolled: 1-line block ×7, first 2 shown]
	v_add_co_ci_u32_e64 v13, null, s11, v13, vcc_lo
	s_mov_b64 s[10:11], 0
.LBB15_2:                               ; =>This Inner Loop Header: Depth=1
	flat_load_dwordx2 v[18:19], v[12:13]
	s_add_u32 s10, s10, 8
	s_addc_u32 s11, s11, 0
	v_add_co_u32 v12, vcc_lo, v12, 64
	v_cmp_lt_i64_e64 s0, s[10:11], s[12:13]
	v_add_co_ci_u32_e64 v13, null, 0, v13, vcc_lo
	s_and_b32 vcc_lo, exec_lo, s0
	s_waitcnt vmcnt(0) lgkmcnt(0)
	ds_write_b64 v14, v[18:19]
	flat_load_dwordx2 v[18:19], v[10:11]
	v_add_co_u32 v10, s0, v10, 64
	v_add_co_ci_u32_e64 v11, null, 0, v11, s0
	s_waitcnt vmcnt(0) lgkmcnt(0)
	ds_write_b64 v15, v[18:19]
	s_waitcnt lgkmcnt(0)
	s_barrier
	buffer_gl0_inv
	ds_read_b128 v[18:21], v17
	ds_read2_b64 v[22:25], v16 offset1:16
	ds_read_b128 v[26:29], v17 offset:1024
	ds_read_b128 v[30:33], v17 offset:16
	;; [unrolled: 1-line block ×3, first 2 shown]
	s_waitcnt lgkmcnt(3)
	v_fma_f64 v[8:9], v[22:23], v[18:19], v[8:9]
	v_fma_f64 v[6:7], v[24:25], v[18:19], v[6:7]
	s_waitcnt lgkmcnt(2)
	v_fma_f64 v[18:19], v[22:23], v[26:27], v[4:5]
	v_fma_f64 v[22:23], v[24:25], v[26:27], v[2:3]
	ds_read2_b64 v[2:5], v16 offset0:32 offset1:48
	s_waitcnt lgkmcnt(0)
	v_fma_f64 v[8:9], v[2:3], v[20:21], v[8:9]
	v_fma_f64 v[6:7], v[4:5], v[20:21], v[6:7]
	;; [unrolled: 1-line block ×4, first 2 shown]
	ds_read2_b64 v[2:5], v16 offset0:64 offset1:80
	s_waitcnt lgkmcnt(0)
	v_fma_f64 v[22:23], v[2:3], v[30:31], v[8:9]
	v_fma_f64 v[24:25], v[4:5], v[30:31], v[6:7]
	;; [unrolled: 1-line block ×4, first 2 shown]
	ds_read2_b64 v[2:5], v16 offset0:96 offset1:112
	ds_read_b128 v[6:9], v17 offset:32
	ds_read2_b64 v[18:21], v16 offset0:128 offset1:144
	s_waitcnt lgkmcnt(2)
	v_fma_f64 v[30:31], v[2:3], v[32:33], v[22:23]
	v_fma_f64 v[32:33], v[4:5], v[32:33], v[24:25]
	;; [unrolled: 1-line block ×4, first 2 shown]
	ds_read_b128 v[2:5], v17 offset:1056
	ds_read_b128 v[22:25], v17 offset:48
	ds_read_b128 v[26:29], v17 offset:1072
	s_waitcnt lgkmcnt(3)
	v_fma_f64 v[30:31], v[18:19], v[6:7], v[30:31]
	v_fma_f64 v[6:7], v[20:21], v[6:7], v[32:33]
	s_waitcnt lgkmcnt(2)
	v_fma_f64 v[32:33], v[18:19], v[2:3], v[34:35]
	v_fma_f64 v[2:3], v[20:21], v[2:3], v[36:37]
	ds_read2_b64 v[18:21], v16 offset0:160 offset1:176
	s_waitcnt lgkmcnt(0)
	v_fma_f64 v[30:31], v[18:19], v[8:9], v[30:31]
	v_fma_f64 v[6:7], v[20:21], v[8:9], v[6:7]
	;; [unrolled: 1-line block ×4, first 2 shown]
	ds_read2_b64 v[2:5], v16 offset0:192 offset1:208
	s_waitcnt lgkmcnt(0)
	v_fma_f64 v[30:31], v[2:3], v[22:23], v[30:31]
	v_fma_f64 v[6:7], v[4:5], v[22:23], v[6:7]
	;; [unrolled: 1-line block ×4, first 2 shown]
	ds_read2_b64 v[18:21], v16 offset0:224 offset1:240
	s_waitcnt lgkmcnt(0)
	s_barrier
	buffer_gl0_inv
	v_fma_f64 v[8:9], v[18:19], v[24:25], v[30:31]
	v_fma_f64 v[6:7], v[20:21], v[24:25], v[6:7]
	;; [unrolled: 1-line block ×4, first 2 shown]
	s_cbranch_vccnz .LBB15_2
	s_branch .LBB15_4
.LBB15_3:
	v_mov_b32_e32 v8, 0
	v_mov_b32_e32 v6, 0
	;; [unrolled: 1-line block ×8, first 2 shown]
.LBB15_4:
	v_cmp_neq_f64_e64 s10, s[36:37], 0
	v_add_co_u32 v10, s8, s8, v1
	v_add_co_ci_u32_e64 v13, null, s9, 0, s8
	v_add_co_u32 v0, s6, s6, v0
	v_add_co_ci_u32_e64 v1, null, s7, 0, s6
	v_mul_lo_u32 v11, v13, s46
	v_mul_lo_u32 v12, v10, s47
	s_lshl_b64 s[0:1], s[48:49], 3
	v_lshlrev_b64 v[0:1], 3, v[0:1]
	s_waitcnt lgkmcnt(0)
	s_add_u32 s0, s4, s0
	s_addc_u32 s1, s5, s1
	s_and_b32 vcc_lo, exec_lo, s10
	s_cbranch_vccnz .LBB15_8
; %bb.5:
	v_mad_u64_u32 v[14:15], null, v10, s46, 0
	v_mul_f64 v[16:17], s[14:15], v[8:9]
	v_mul_f64 v[18:19], s[14:15], v[6:7]
	;; [unrolled: 1-line block ×4, first 2 shown]
	s_lshl_b64 s[4:5], s[46:47], 7
	v_add3_u32 v15, v15, v12, v11
	v_lshlrev_b64 v[14:15], 3, v[14:15]
	v_add_co_u32 v14, vcc_lo, s0, v14
	v_add_co_ci_u32_e64 v15, null, s1, v15, vcc_lo
	v_add_co_u32 v24, vcc_lo, v14, s4
	v_add_co_ci_u32_e64 v25, null, s5, v15, vcc_lo
	;; [unrolled: 2-line block ×4, first 2 shown]
	flat_store_dwordx2 v[14:15], v[16:17]
	flat_store_dwordx2 v[14:15], v[18:19] offset:128
	flat_store_dwordx2 v[24:25], v[20:21]
	flat_store_dwordx2 v[24:25], v[22:23] offset:128
	s_cbranch_execnz .LBB15_7
.LBB15_6:
	v_mul_lo_u32 v15, v13, s40
	v_mul_lo_u32 v16, v10, s41
	v_mad_u64_u32 v[13:14], null, v10, s40, 0
	s_lshl_b64 s[4:5], s[42:43], 3
	v_mad_u64_u32 v[17:18], null, v10, s46, 0
	s_add_u32 s2, s2, s4
	s_addc_u32 s3, s3, s5
	v_add3_u32 v14, v14, v16, v15
	v_add3_u32 v18, v18, v12, v11
	v_lshlrev_b64 v[13:14], 3, v[13:14]
	v_lshlrev_b64 v[10:11], 3, v[17:18]
	v_add_co_u32 v19, vcc_lo, s2, v13
	v_add_co_ci_u32_e64 v20, null, s3, v14, vcc_lo
	v_add_co_u32 v13, vcc_lo, v19, v0
	v_add_co_ci_u32_e64 v14, null, v20, v1, vcc_lo
	v_add_co_u32 v12, vcc_lo, s0, v10
	flat_load_dwordx2 v[15:16], v[13:14]
	s_waitcnt vmcnt(0) lgkmcnt(0)
	v_mul_f64 v[15:16], s[36:37], v[15:16]
	v_fma_f64 v[8:9], s[14:15], v[8:9], v[15:16]
	v_add_co_ci_u32_e64 v15, null, s1, v11, vcc_lo
	v_add_co_u32 v10, vcc_lo, v12, v0
	s_lshl_b64 s[0:1], s[40:41], 7
	v_add_co_ci_u32_e64 v11, null, v15, v1, vcc_lo
	flat_store_dwordx2 v[10:11], v[8:9]
	flat_load_dwordx2 v[8:9], v[13:14] offset:128
	s_waitcnt vmcnt(0) lgkmcnt(0)
	v_mul_f64 v[8:9], s[36:37], v[8:9]
	v_fma_f64 v[6:7], s[14:15], v[6:7], v[8:9]
	v_add_co_u32 v8, vcc_lo, v19, s0
	v_add_co_ci_u32_e64 v9, null, s1, v20, vcc_lo
	s_lshl_b64 s[0:1], s[46:47], 7
	v_add_co_u32 v8, vcc_lo, v8, v0
	v_add_co_ci_u32_e64 v9, null, v9, v1, vcc_lo
	flat_store_dwordx2 v[10:11], v[6:7] offset:128
	flat_load_dwordx2 v[6:7], v[8:9]
	s_waitcnt vmcnt(0) lgkmcnt(0)
	v_mul_f64 v[6:7], s[36:37], v[6:7]
	v_fma_f64 v[4:5], s[14:15], v[4:5], v[6:7]
	v_add_co_u32 v6, vcc_lo, v12, s0
	v_add_co_ci_u32_e64 v7, null, s1, v15, vcc_lo
	v_add_co_u32 v0, vcc_lo, v6, v0
	v_add_co_ci_u32_e64 v1, null, v7, v1, vcc_lo
	flat_store_dwordx2 v[0:1], v[4:5]
	flat_load_dwordx2 v[4:5], v[8:9] offset:128
	s_waitcnt vmcnt(0) lgkmcnt(0)
	v_mul_f64 v[4:5], s[36:37], v[4:5]
	v_fma_f64 v[2:3], s[14:15], v[2:3], v[4:5]
	flat_store_dwordx2 v[0:1], v[2:3] offset:128
.LBB15_7:
	s_endpgm
.LBB15_8:
	s_branch .LBB15_6
	.section	.rodata,"a",@progbits
	.p2align	6, 0x0
	.amdhsa_kernel _ZN12_GLOBAL__N_127rocblas_gemm_batched_kernelIdLi16ELi16ELi32ELi32ELi8ELi32ELi8ELi8ELi32ELc67ELc78EKPKdS3_KPdEEvlllT_PT11_llS8_llS6_PT12_llPT13_lli
		.amdhsa_group_segment_fixed_size 4096
		.amdhsa_private_segment_fixed_size 0
		.amdhsa_kernarg_size 140
		.amdhsa_user_sgpr_count 6
		.amdhsa_user_sgpr_private_segment_buffer 1
		.amdhsa_user_sgpr_dispatch_ptr 0
		.amdhsa_user_sgpr_queue_ptr 0
		.amdhsa_user_sgpr_kernarg_segment_ptr 1
		.amdhsa_user_sgpr_dispatch_id 0
		.amdhsa_user_sgpr_flat_scratch_init 0
		.amdhsa_user_sgpr_private_segment_size 0
		.amdhsa_wavefront_size32 1
		.amdhsa_uses_dynamic_stack 0
		.amdhsa_system_sgpr_private_segment_wavefront_offset 0
		.amdhsa_system_sgpr_workgroup_id_x 1
		.amdhsa_system_sgpr_workgroup_id_y 1
		.amdhsa_system_sgpr_workgroup_id_z 1
		.amdhsa_system_sgpr_workgroup_info 0
		.amdhsa_system_vgpr_workitem_id 1
		.amdhsa_next_free_vgpr 38
		.amdhsa_next_free_sgpr 52
		.amdhsa_reserve_vcc 1
		.amdhsa_reserve_flat_scratch 0
		.amdhsa_float_round_mode_32 0
		.amdhsa_float_round_mode_16_64 0
		.amdhsa_float_denorm_mode_32 3
		.amdhsa_float_denorm_mode_16_64 3
		.amdhsa_dx10_clamp 1
		.amdhsa_ieee_mode 1
		.amdhsa_fp16_overflow 0
		.amdhsa_workgroup_processor_mode 1
		.amdhsa_memory_ordered 1
		.amdhsa_forward_progress 1
		.amdhsa_shared_vgpr_count 0
		.amdhsa_exception_fp_ieee_invalid_op 0
		.amdhsa_exception_fp_denorm_src 0
		.amdhsa_exception_fp_ieee_div_zero 0
		.amdhsa_exception_fp_ieee_overflow 0
		.amdhsa_exception_fp_ieee_underflow 0
		.amdhsa_exception_fp_ieee_inexact 0
		.amdhsa_exception_int_div_zero 0
	.end_amdhsa_kernel
	.section	.text._ZN12_GLOBAL__N_127rocblas_gemm_batched_kernelIdLi16ELi16ELi32ELi32ELi8ELi32ELi8ELi8ELi32ELc67ELc78EKPKdS3_KPdEEvlllT_PT11_llS8_llS6_PT12_llPT13_lli,"axG",@progbits,_ZN12_GLOBAL__N_127rocblas_gemm_batched_kernelIdLi16ELi16ELi32ELi32ELi8ELi32ELi8ELi8ELi32ELc67ELc78EKPKdS3_KPdEEvlllT_PT11_llS8_llS6_PT12_llPT13_lli,comdat
.Lfunc_end15:
	.size	_ZN12_GLOBAL__N_127rocblas_gemm_batched_kernelIdLi16ELi16ELi32ELi32ELi8ELi32ELi8ELi8ELi32ELc67ELc78EKPKdS3_KPdEEvlllT_PT11_llS8_llS6_PT12_llPT13_lli, .Lfunc_end15-_ZN12_GLOBAL__N_127rocblas_gemm_batched_kernelIdLi16ELi16ELi32ELi32ELi8ELi32ELi8ELi8ELi32ELc67ELc78EKPKdS3_KPdEEvlllT_PT11_llS8_llS6_PT12_llPT13_lli
                                        ; -- End function
	.set _ZN12_GLOBAL__N_127rocblas_gemm_batched_kernelIdLi16ELi16ELi32ELi32ELi8ELi32ELi8ELi8ELi32ELc67ELc78EKPKdS3_KPdEEvlllT_PT11_llS8_llS6_PT12_llPT13_lli.num_vgpr, 38
	.set _ZN12_GLOBAL__N_127rocblas_gemm_batched_kernelIdLi16ELi16ELi32ELi32ELi8ELi32ELi8ELi8ELi32ELc67ELc78EKPKdS3_KPdEEvlllT_PT11_llS8_llS6_PT12_llPT13_lli.num_agpr, 0
	.set _ZN12_GLOBAL__N_127rocblas_gemm_batched_kernelIdLi16ELi16ELi32ELi32ELi8ELi32ELi8ELi8ELi32ELc67ELc78EKPKdS3_KPdEEvlllT_PT11_llS8_llS6_PT12_llPT13_lli.numbered_sgpr, 52
	.set _ZN12_GLOBAL__N_127rocblas_gemm_batched_kernelIdLi16ELi16ELi32ELi32ELi8ELi32ELi8ELi8ELi32ELc67ELc78EKPKdS3_KPdEEvlllT_PT11_llS8_llS6_PT12_llPT13_lli.num_named_barrier, 0
	.set _ZN12_GLOBAL__N_127rocblas_gemm_batched_kernelIdLi16ELi16ELi32ELi32ELi8ELi32ELi8ELi8ELi32ELc67ELc78EKPKdS3_KPdEEvlllT_PT11_llS8_llS6_PT12_llPT13_lli.private_seg_size, 0
	.set _ZN12_GLOBAL__N_127rocblas_gemm_batched_kernelIdLi16ELi16ELi32ELi32ELi8ELi32ELi8ELi8ELi32ELc67ELc78EKPKdS3_KPdEEvlllT_PT11_llS8_llS6_PT12_llPT13_lli.uses_vcc, 1
	.set _ZN12_GLOBAL__N_127rocblas_gemm_batched_kernelIdLi16ELi16ELi32ELi32ELi8ELi32ELi8ELi8ELi32ELc67ELc78EKPKdS3_KPdEEvlllT_PT11_llS8_llS6_PT12_llPT13_lli.uses_flat_scratch, 0
	.set _ZN12_GLOBAL__N_127rocblas_gemm_batched_kernelIdLi16ELi16ELi32ELi32ELi8ELi32ELi8ELi8ELi32ELc67ELc78EKPKdS3_KPdEEvlllT_PT11_llS8_llS6_PT12_llPT13_lli.has_dyn_sized_stack, 0
	.set _ZN12_GLOBAL__N_127rocblas_gemm_batched_kernelIdLi16ELi16ELi32ELi32ELi8ELi32ELi8ELi8ELi32ELc67ELc78EKPKdS3_KPdEEvlllT_PT11_llS8_llS6_PT12_llPT13_lli.has_recursion, 0
	.set _ZN12_GLOBAL__N_127rocblas_gemm_batched_kernelIdLi16ELi16ELi32ELi32ELi8ELi32ELi8ELi8ELi32ELc67ELc78EKPKdS3_KPdEEvlllT_PT11_llS8_llS6_PT12_llPT13_lli.has_indirect_call, 0
	.section	.AMDGPU.csdata,"",@progbits
; Kernel info:
; codeLenInByte = 1668
; TotalNumSgprs: 54
; NumVgprs: 38
; ScratchSize: 0
; MemoryBound: 0
; FloatMode: 240
; IeeeMode: 1
; LDSByteSize: 4096 bytes/workgroup (compile time only)
; SGPRBlocks: 0
; VGPRBlocks: 4
; NumSGPRsForWavesPerEU: 54
; NumVGPRsForWavesPerEU: 38
; Occupancy: 16
; WaveLimiterHint : 1
; COMPUTE_PGM_RSRC2:SCRATCH_EN: 0
; COMPUTE_PGM_RSRC2:USER_SGPR: 6
; COMPUTE_PGM_RSRC2:TRAP_HANDLER: 0
; COMPUTE_PGM_RSRC2:TGID_X_EN: 1
; COMPUTE_PGM_RSRC2:TGID_Y_EN: 1
; COMPUTE_PGM_RSRC2:TGID_Z_EN: 1
; COMPUTE_PGM_RSRC2:TIDIG_COMP_CNT: 1
	.section	.text._ZN12_GLOBAL__N_127rocblas_gemm_batched_kernelIdLi16ELi16ELi32ELi32ELi8ELi32ELi8ELi8ELi32ELc67ELc84EKPKdS3_KPdEEvlllT_PT11_llS8_llS6_PT12_llPT13_lli,"axG",@progbits,_ZN12_GLOBAL__N_127rocblas_gemm_batched_kernelIdLi16ELi16ELi32ELi32ELi8ELi32ELi8ELi8ELi32ELc67ELc84EKPKdS3_KPdEEvlllT_PT11_llS8_llS6_PT12_llPT13_lli,comdat
	.globl	_ZN12_GLOBAL__N_127rocblas_gemm_batched_kernelIdLi16ELi16ELi32ELi32ELi8ELi32ELi8ELi8ELi32ELc67ELc84EKPKdS3_KPdEEvlllT_PT11_llS8_llS6_PT12_llPT13_lli ; -- Begin function _ZN12_GLOBAL__N_127rocblas_gemm_batched_kernelIdLi16ELi16ELi32ELi32ELi8ELi32ELi8ELi8ELi32ELc67ELc84EKPKdS3_KPdEEvlllT_PT11_llS8_llS6_PT12_llPT13_lli
	.p2align	8
	.type	_ZN12_GLOBAL__N_127rocblas_gemm_batched_kernelIdLi16ELi16ELi32ELi32ELi8ELi32ELi8ELi8ELi32ELc67ELc84EKPKdS3_KPdEEvlllT_PT11_llS8_llS6_PT12_llPT13_lli,@function
_ZN12_GLOBAL__N_127rocblas_gemm_batched_kernelIdLi16ELi16ELi32ELi32ELi8ELi32ELi8ELi8ELi32ELc67ELc84EKPKdS3_KPdEEvlllT_PT11_llS8_llS6_PT12_llPT13_lli: ; @_ZN12_GLOBAL__N_127rocblas_gemm_batched_kernelIdLi16ELi16ELi32ELi32ELi8ELi32ELi8ELi8ELi32ELc67ELc84EKPKdS3_KPdEEvlllT_PT11_llS8_llS6_PT12_llPT13_lli
; %bb.0:
	s_clause 0x2
	s_load_dwordx8 s[36:43], s[4:5], 0x50
	s_load_dwordx8 s[44:51], s[4:5], 0x70
	s_load_dwordx16 s[12:27], s[4:5], 0x10
	s_mov_b32 s9, 0
	s_mov_b32 s10, s7
	s_lshl_b64 s[0:1], s[8:9], 3
	v_mov_b32_e32 v3, 0
	s_waitcnt lgkmcnt(0)
	s_add_u32 s2, s38, s0
	s_addc_u32 s3, s39, s1
	s_add_u32 s4, s44, s0
	s_addc_u32 s5, s45, s1
	s_load_dwordx2 s[2:3], s[2:3], 0x0
	s_load_dwordx2 s[4:5], s[4:5], 0x0
	v_cmp_lt_i64_e64 s8, s[12:13], 1
	s_ashr_i32 s7, s6, 31
	s_ashr_i32 s11, s10, 31
	s_lshl_b64 s[6:7], s[6:7], 5
	s_and_b32 vcc_lo, exec_lo, s8
	s_lshl_b64 s[8:9], s[10:11], 5
	s_cbranch_vccnz .LBB16_3
; %bb.1:
	v_lshl_add_u32 v5, v1, 4, v0
	s_add_u32 s10, s16, s0
	v_and_b32_e32 v7, 7, v0
	s_addc_u32 s11, s17, s1
	s_add_u32 s0, s22, s0
	v_and_b32_e32 v8, 31, v5
	v_lshrrev_b32_e32 v2, 3, v5
	s_addc_u32 s1, s23, s1
	v_lshrrev_b32_e32 v10, 5, v5
	s_load_dwordx2 s[0:1], s[0:1], 0x0
	v_add_co_u32 v6, s16, s6, v8
	v_mad_u64_u32 v[3:4], null, s24, v7, v[2:3]
	v_add_co_ci_u32_e64 v9, null, s7, 0, s16
	v_mul_lo_u32 v12, s19, v6
	v_mad_u64_u32 v[5:6], null, s18, v6, 0
	v_lshlrev_b32_e32 v11, 3, v7
	v_mul_lo_u32 v9, s18, v9
	v_lshlrev_b32_e32 v13, 3, v8
	s_load_dwordx2 s[10:11], s[10:11], 0x0
	s_lshl_b64 s[16:17], s[26:27], 3
	v_lshl_or_b32 v2, v2, 6, v11
	v_mad_u64_u32 v[7:8], null, s25, v7, v[4:5]
	v_lshl_or_b32 v14, v10, 8, v13
	v_add3_u32 v6, v6, v9, v12
	v_add_nc_u32_e32 v15, 0x800, v2
	v_add_co_u32 v2, vcc_lo, v3, s8
	s_waitcnt lgkmcnt(0)
	s_add_u32 s16, s0, s16
	v_add_co_ci_u32_e64 v3, null, s9, v7, vcc_lo
	v_lshlrev_b64 v[4:5], 3, v[5:6]
	s_addc_u32 s17, s1, s17
	s_lshl_b64 s[0:1], s[20:21], 3
	v_lshlrev_b64 v[2:3], 3, v[2:3]
	v_lshlrev_b32_e32 v6, 3, v10
	v_mov_b32_e32 v8, 0
	v_add_co_u32 v4, vcc_lo, v4, s0
	v_add_co_ci_u32_e64 v5, null, s1, v5, vcc_lo
	v_add_co_u32 v10, vcc_lo, s16, v2
	v_add_co_ci_u32_e64 v11, null, s17, v3, vcc_lo
	;; [unrolled: 2-line block ×3, first 2 shown]
	v_mov_b32_e32 v2, 0
	v_add_co_u32 v12, vcc_lo, s10, v12
	v_mov_b32_e32 v4, 0
	v_mov_b32_e32 v6, 0
	v_lshlrev_b32_e32 v16, 3, v0
	v_lshl_add_u32 v17, v1, 6, 0x800
	v_mov_b32_e32 v3, 0
	v_mov_b32_e32 v5, 0
	;; [unrolled: 1-line block ×4, first 2 shown]
	v_add_co_ci_u32_e64 v13, null, s11, v13, vcc_lo
	s_lshl_b64 s[10:11], s[24:25], 6
	s_mov_b64 s[16:17], 0
.LBB16_2:                               ; =>This Inner Loop Header: Depth=1
	flat_load_dwordx2 v[18:19], v[12:13]
	s_add_u32 s16, s16, 8
	s_addc_u32 s17, s17, 0
	v_add_co_u32 v12, vcc_lo, v12, 64
	v_cmp_lt_i64_e64 s0, s[16:17], s[12:13]
	v_add_co_ci_u32_e64 v13, null, 0, v13, vcc_lo
	s_and_b32 vcc_lo, exec_lo, s0
	s_waitcnt vmcnt(0) lgkmcnt(0)
	ds_write_b64 v14, v[18:19]
	flat_load_dwordx2 v[18:19], v[10:11]
	v_add_co_u32 v10, s0, v10, s10
	v_add_co_ci_u32_e64 v11, null, s11, v11, s0
	s_waitcnt vmcnt(0) lgkmcnt(0)
	ds_write_b64 v15, v[18:19]
	s_waitcnt lgkmcnt(0)
	s_barrier
	buffer_gl0_inv
	ds_read_b128 v[18:21], v17
	ds_read2_b64 v[22:25], v16 offset1:16
	ds_read_b128 v[26:29], v17 offset:1024
	ds_read_b128 v[30:33], v17 offset:16
	;; [unrolled: 1-line block ×3, first 2 shown]
	s_waitcnt lgkmcnt(3)
	v_fma_f64 v[8:9], v[22:23], v[18:19], v[8:9]
	v_fma_f64 v[6:7], v[24:25], v[18:19], v[6:7]
	s_waitcnt lgkmcnt(2)
	v_fma_f64 v[18:19], v[22:23], v[26:27], v[4:5]
	v_fma_f64 v[22:23], v[24:25], v[26:27], v[2:3]
	ds_read2_b64 v[2:5], v16 offset0:32 offset1:48
	s_waitcnt lgkmcnt(0)
	v_fma_f64 v[8:9], v[2:3], v[20:21], v[8:9]
	v_fma_f64 v[6:7], v[4:5], v[20:21], v[6:7]
	;; [unrolled: 1-line block ×4, first 2 shown]
	ds_read2_b64 v[2:5], v16 offset0:64 offset1:80
	s_waitcnt lgkmcnt(0)
	v_fma_f64 v[22:23], v[2:3], v[30:31], v[8:9]
	v_fma_f64 v[24:25], v[4:5], v[30:31], v[6:7]
	;; [unrolled: 1-line block ×4, first 2 shown]
	ds_read2_b64 v[2:5], v16 offset0:96 offset1:112
	ds_read_b128 v[6:9], v17 offset:32
	ds_read2_b64 v[18:21], v16 offset0:128 offset1:144
	s_waitcnt lgkmcnt(2)
	v_fma_f64 v[30:31], v[2:3], v[32:33], v[22:23]
	v_fma_f64 v[32:33], v[4:5], v[32:33], v[24:25]
	;; [unrolled: 1-line block ×4, first 2 shown]
	ds_read_b128 v[2:5], v17 offset:1056
	ds_read_b128 v[22:25], v17 offset:48
	;; [unrolled: 1-line block ×3, first 2 shown]
	s_waitcnt lgkmcnt(3)
	v_fma_f64 v[30:31], v[18:19], v[6:7], v[30:31]
	v_fma_f64 v[6:7], v[20:21], v[6:7], v[32:33]
	s_waitcnt lgkmcnt(2)
	v_fma_f64 v[32:33], v[18:19], v[2:3], v[34:35]
	v_fma_f64 v[2:3], v[20:21], v[2:3], v[36:37]
	ds_read2_b64 v[18:21], v16 offset0:160 offset1:176
	s_waitcnt lgkmcnt(0)
	v_fma_f64 v[30:31], v[18:19], v[8:9], v[30:31]
	v_fma_f64 v[6:7], v[20:21], v[8:9], v[6:7]
	;; [unrolled: 1-line block ×4, first 2 shown]
	ds_read2_b64 v[2:5], v16 offset0:192 offset1:208
	s_waitcnt lgkmcnt(0)
	v_fma_f64 v[30:31], v[2:3], v[22:23], v[30:31]
	v_fma_f64 v[6:7], v[4:5], v[22:23], v[6:7]
	;; [unrolled: 1-line block ×4, first 2 shown]
	ds_read2_b64 v[18:21], v16 offset0:224 offset1:240
	s_waitcnt lgkmcnt(0)
	s_barrier
	buffer_gl0_inv
	v_fma_f64 v[8:9], v[18:19], v[24:25], v[30:31]
	v_fma_f64 v[6:7], v[20:21], v[24:25], v[6:7]
	v_fma_f64 v[4:5], v[18:19], v[28:29], v[2:3]
	v_fma_f64 v[2:3], v[20:21], v[28:29], v[22:23]
	s_cbranch_vccnz .LBB16_2
	s_branch .LBB16_4
.LBB16_3:
	v_mov_b32_e32 v8, 0
	v_mov_b32_e32 v6, 0
	;; [unrolled: 1-line block ×8, first 2 shown]
.LBB16_4:
	v_cmp_neq_f64_e64 s10, s[36:37], 0
	v_add_co_u32 v10, s8, s8, v1
	v_add_co_ci_u32_e64 v13, null, s9, 0, s8
	v_add_co_u32 v0, s6, s6, v0
	v_add_co_ci_u32_e64 v1, null, s7, 0, s6
	v_mul_lo_u32 v11, v13, s46
	v_mul_lo_u32 v12, v10, s47
	s_lshl_b64 s[0:1], s[48:49], 3
	v_lshlrev_b64 v[0:1], 3, v[0:1]
	s_waitcnt lgkmcnt(0)
	s_add_u32 s0, s4, s0
	s_addc_u32 s1, s5, s1
	s_and_b32 vcc_lo, exec_lo, s10
	s_cbranch_vccnz .LBB16_8
; %bb.5:
	v_mad_u64_u32 v[14:15], null, v10, s46, 0
	v_mul_f64 v[16:17], s[14:15], v[8:9]
	v_mul_f64 v[18:19], s[14:15], v[6:7]
	;; [unrolled: 1-line block ×4, first 2 shown]
	s_lshl_b64 s[4:5], s[46:47], 7
	v_add3_u32 v15, v15, v12, v11
	v_lshlrev_b64 v[14:15], 3, v[14:15]
	v_add_co_u32 v14, vcc_lo, s0, v14
	v_add_co_ci_u32_e64 v15, null, s1, v15, vcc_lo
	v_add_co_u32 v24, vcc_lo, v14, s4
	v_add_co_ci_u32_e64 v25, null, s5, v15, vcc_lo
	;; [unrolled: 2-line block ×4, first 2 shown]
	flat_store_dwordx2 v[14:15], v[16:17]
	flat_store_dwordx2 v[14:15], v[18:19] offset:128
	flat_store_dwordx2 v[24:25], v[20:21]
	flat_store_dwordx2 v[24:25], v[22:23] offset:128
	s_cbranch_execnz .LBB16_7
.LBB16_6:
	v_mul_lo_u32 v15, v13, s40
	v_mul_lo_u32 v16, v10, s41
	v_mad_u64_u32 v[13:14], null, v10, s40, 0
	s_lshl_b64 s[4:5], s[42:43], 3
	v_mad_u64_u32 v[17:18], null, v10, s46, 0
	s_add_u32 s2, s2, s4
	s_addc_u32 s3, s3, s5
	v_add3_u32 v14, v14, v16, v15
	v_add3_u32 v18, v18, v12, v11
	v_lshlrev_b64 v[13:14], 3, v[13:14]
	v_lshlrev_b64 v[10:11], 3, v[17:18]
	v_add_co_u32 v19, vcc_lo, s2, v13
	v_add_co_ci_u32_e64 v20, null, s3, v14, vcc_lo
	v_add_co_u32 v13, vcc_lo, v19, v0
	v_add_co_ci_u32_e64 v14, null, v20, v1, vcc_lo
	v_add_co_u32 v12, vcc_lo, s0, v10
	flat_load_dwordx2 v[15:16], v[13:14]
	s_waitcnt vmcnt(0) lgkmcnt(0)
	v_mul_f64 v[15:16], s[36:37], v[15:16]
	v_fma_f64 v[8:9], s[14:15], v[8:9], v[15:16]
	v_add_co_ci_u32_e64 v15, null, s1, v11, vcc_lo
	v_add_co_u32 v10, vcc_lo, v12, v0
	s_lshl_b64 s[0:1], s[40:41], 7
	v_add_co_ci_u32_e64 v11, null, v15, v1, vcc_lo
	flat_store_dwordx2 v[10:11], v[8:9]
	flat_load_dwordx2 v[8:9], v[13:14] offset:128
	s_waitcnt vmcnt(0) lgkmcnt(0)
	v_mul_f64 v[8:9], s[36:37], v[8:9]
	v_fma_f64 v[6:7], s[14:15], v[6:7], v[8:9]
	v_add_co_u32 v8, vcc_lo, v19, s0
	v_add_co_ci_u32_e64 v9, null, s1, v20, vcc_lo
	s_lshl_b64 s[0:1], s[46:47], 7
	v_add_co_u32 v8, vcc_lo, v8, v0
	v_add_co_ci_u32_e64 v9, null, v9, v1, vcc_lo
	flat_store_dwordx2 v[10:11], v[6:7] offset:128
	flat_load_dwordx2 v[6:7], v[8:9]
	s_waitcnt vmcnt(0) lgkmcnt(0)
	v_mul_f64 v[6:7], s[36:37], v[6:7]
	v_fma_f64 v[4:5], s[14:15], v[4:5], v[6:7]
	v_add_co_u32 v6, vcc_lo, v12, s0
	v_add_co_ci_u32_e64 v7, null, s1, v15, vcc_lo
	v_add_co_u32 v0, vcc_lo, v6, v0
	v_add_co_ci_u32_e64 v1, null, v7, v1, vcc_lo
	flat_store_dwordx2 v[0:1], v[4:5]
	flat_load_dwordx2 v[4:5], v[8:9] offset:128
	s_waitcnt vmcnt(0) lgkmcnt(0)
	v_mul_f64 v[4:5], s[36:37], v[4:5]
	v_fma_f64 v[2:3], s[14:15], v[2:3], v[4:5]
	flat_store_dwordx2 v[0:1], v[2:3] offset:128
.LBB16_7:
	s_endpgm
.LBB16_8:
	s_branch .LBB16_6
	.section	.rodata,"a",@progbits
	.p2align	6, 0x0
	.amdhsa_kernel _ZN12_GLOBAL__N_127rocblas_gemm_batched_kernelIdLi16ELi16ELi32ELi32ELi8ELi32ELi8ELi8ELi32ELc67ELc84EKPKdS3_KPdEEvlllT_PT11_llS8_llS6_PT12_llPT13_lli
		.amdhsa_group_segment_fixed_size 4096
		.amdhsa_private_segment_fixed_size 0
		.amdhsa_kernarg_size 140
		.amdhsa_user_sgpr_count 6
		.amdhsa_user_sgpr_private_segment_buffer 1
		.amdhsa_user_sgpr_dispatch_ptr 0
		.amdhsa_user_sgpr_queue_ptr 0
		.amdhsa_user_sgpr_kernarg_segment_ptr 1
		.amdhsa_user_sgpr_dispatch_id 0
		.amdhsa_user_sgpr_flat_scratch_init 0
		.amdhsa_user_sgpr_private_segment_size 0
		.amdhsa_wavefront_size32 1
		.amdhsa_uses_dynamic_stack 0
		.amdhsa_system_sgpr_private_segment_wavefront_offset 0
		.amdhsa_system_sgpr_workgroup_id_x 1
		.amdhsa_system_sgpr_workgroup_id_y 1
		.amdhsa_system_sgpr_workgroup_id_z 1
		.amdhsa_system_sgpr_workgroup_info 0
		.amdhsa_system_vgpr_workitem_id 1
		.amdhsa_next_free_vgpr 38
		.amdhsa_next_free_sgpr 52
		.amdhsa_reserve_vcc 1
		.amdhsa_reserve_flat_scratch 0
		.amdhsa_float_round_mode_32 0
		.amdhsa_float_round_mode_16_64 0
		.amdhsa_float_denorm_mode_32 3
		.amdhsa_float_denorm_mode_16_64 3
		.amdhsa_dx10_clamp 1
		.amdhsa_ieee_mode 1
		.amdhsa_fp16_overflow 0
		.amdhsa_workgroup_processor_mode 1
		.amdhsa_memory_ordered 1
		.amdhsa_forward_progress 1
		.amdhsa_shared_vgpr_count 0
		.amdhsa_exception_fp_ieee_invalid_op 0
		.amdhsa_exception_fp_denorm_src 0
		.amdhsa_exception_fp_ieee_div_zero 0
		.amdhsa_exception_fp_ieee_overflow 0
		.amdhsa_exception_fp_ieee_underflow 0
		.amdhsa_exception_fp_ieee_inexact 0
		.amdhsa_exception_int_div_zero 0
	.end_amdhsa_kernel
	.section	.text._ZN12_GLOBAL__N_127rocblas_gemm_batched_kernelIdLi16ELi16ELi32ELi32ELi8ELi32ELi8ELi8ELi32ELc67ELc84EKPKdS3_KPdEEvlllT_PT11_llS8_llS6_PT12_llPT13_lli,"axG",@progbits,_ZN12_GLOBAL__N_127rocblas_gemm_batched_kernelIdLi16ELi16ELi32ELi32ELi8ELi32ELi8ELi8ELi32ELc67ELc84EKPKdS3_KPdEEvlllT_PT11_llS8_llS6_PT12_llPT13_lli,comdat
.Lfunc_end16:
	.size	_ZN12_GLOBAL__N_127rocblas_gemm_batched_kernelIdLi16ELi16ELi32ELi32ELi8ELi32ELi8ELi8ELi32ELc67ELc84EKPKdS3_KPdEEvlllT_PT11_llS8_llS6_PT12_llPT13_lli, .Lfunc_end16-_ZN12_GLOBAL__N_127rocblas_gemm_batched_kernelIdLi16ELi16ELi32ELi32ELi8ELi32ELi8ELi8ELi32ELc67ELc84EKPKdS3_KPdEEvlllT_PT11_llS8_llS6_PT12_llPT13_lli
                                        ; -- End function
	.set _ZN12_GLOBAL__N_127rocblas_gemm_batched_kernelIdLi16ELi16ELi32ELi32ELi8ELi32ELi8ELi8ELi32ELc67ELc84EKPKdS3_KPdEEvlllT_PT11_llS8_llS6_PT12_llPT13_lli.num_vgpr, 38
	.set _ZN12_GLOBAL__N_127rocblas_gemm_batched_kernelIdLi16ELi16ELi32ELi32ELi8ELi32ELi8ELi8ELi32ELc67ELc84EKPKdS3_KPdEEvlllT_PT11_llS8_llS6_PT12_llPT13_lli.num_agpr, 0
	.set _ZN12_GLOBAL__N_127rocblas_gemm_batched_kernelIdLi16ELi16ELi32ELi32ELi8ELi32ELi8ELi8ELi32ELc67ELc84EKPKdS3_KPdEEvlllT_PT11_llS8_llS6_PT12_llPT13_lli.numbered_sgpr, 52
	.set _ZN12_GLOBAL__N_127rocblas_gemm_batched_kernelIdLi16ELi16ELi32ELi32ELi8ELi32ELi8ELi8ELi32ELc67ELc84EKPKdS3_KPdEEvlllT_PT11_llS8_llS6_PT12_llPT13_lli.num_named_barrier, 0
	.set _ZN12_GLOBAL__N_127rocblas_gemm_batched_kernelIdLi16ELi16ELi32ELi32ELi8ELi32ELi8ELi8ELi32ELc67ELc84EKPKdS3_KPdEEvlllT_PT11_llS8_llS6_PT12_llPT13_lli.private_seg_size, 0
	.set _ZN12_GLOBAL__N_127rocblas_gemm_batched_kernelIdLi16ELi16ELi32ELi32ELi8ELi32ELi8ELi8ELi32ELc67ELc84EKPKdS3_KPdEEvlllT_PT11_llS8_llS6_PT12_llPT13_lli.uses_vcc, 1
	.set _ZN12_GLOBAL__N_127rocblas_gemm_batched_kernelIdLi16ELi16ELi32ELi32ELi8ELi32ELi8ELi8ELi32ELc67ELc84EKPKdS3_KPdEEvlllT_PT11_llS8_llS6_PT12_llPT13_lli.uses_flat_scratch, 0
	.set _ZN12_GLOBAL__N_127rocblas_gemm_batched_kernelIdLi16ELi16ELi32ELi32ELi8ELi32ELi8ELi8ELi32ELc67ELc84EKPKdS3_KPdEEvlllT_PT11_llS8_llS6_PT12_llPT13_lli.has_dyn_sized_stack, 0
	.set _ZN12_GLOBAL__N_127rocblas_gemm_batched_kernelIdLi16ELi16ELi32ELi32ELi8ELi32ELi8ELi8ELi32ELc67ELc84EKPKdS3_KPdEEvlllT_PT11_llS8_llS6_PT12_llPT13_lli.has_recursion, 0
	.set _ZN12_GLOBAL__N_127rocblas_gemm_batched_kernelIdLi16ELi16ELi32ELi32ELi8ELi32ELi8ELi8ELi32ELc67ELc84EKPKdS3_KPdEEvlllT_PT11_llS8_llS6_PT12_llPT13_lli.has_indirect_call, 0
	.section	.AMDGPU.csdata,"",@progbits
; Kernel info:
; codeLenInByte = 1636
; TotalNumSgprs: 54
; NumVgprs: 38
; ScratchSize: 0
; MemoryBound: 0
; FloatMode: 240
; IeeeMode: 1
; LDSByteSize: 4096 bytes/workgroup (compile time only)
; SGPRBlocks: 0
; VGPRBlocks: 4
; NumSGPRsForWavesPerEU: 54
; NumVGPRsForWavesPerEU: 38
; Occupancy: 16
; WaveLimiterHint : 1
; COMPUTE_PGM_RSRC2:SCRATCH_EN: 0
; COMPUTE_PGM_RSRC2:USER_SGPR: 6
; COMPUTE_PGM_RSRC2:TRAP_HANDLER: 0
; COMPUTE_PGM_RSRC2:TGID_X_EN: 1
; COMPUTE_PGM_RSRC2:TGID_Y_EN: 1
; COMPUTE_PGM_RSRC2:TGID_Z_EN: 1
; COMPUTE_PGM_RSRC2:TIDIG_COMP_CNT: 1
	.section	.text._ZN12_GLOBAL__N_127rocblas_gemm_batched_kernelIdLi16ELi16ELi32ELi32ELi8ELi32ELi8ELi8ELi32ELc78ELc67EKPKdS3_KPdEEvlllT_PT11_llS8_llS6_PT12_llPT13_lli,"axG",@progbits,_ZN12_GLOBAL__N_127rocblas_gemm_batched_kernelIdLi16ELi16ELi32ELi32ELi8ELi32ELi8ELi8ELi32ELc78ELc67EKPKdS3_KPdEEvlllT_PT11_llS8_llS6_PT12_llPT13_lli,comdat
	.globl	_ZN12_GLOBAL__N_127rocblas_gemm_batched_kernelIdLi16ELi16ELi32ELi32ELi8ELi32ELi8ELi8ELi32ELc78ELc67EKPKdS3_KPdEEvlllT_PT11_llS8_llS6_PT12_llPT13_lli ; -- Begin function _ZN12_GLOBAL__N_127rocblas_gemm_batched_kernelIdLi16ELi16ELi32ELi32ELi8ELi32ELi8ELi8ELi32ELc78ELc67EKPKdS3_KPdEEvlllT_PT11_llS8_llS6_PT12_llPT13_lli
	.p2align	8
	.type	_ZN12_GLOBAL__N_127rocblas_gemm_batched_kernelIdLi16ELi16ELi32ELi32ELi8ELi32ELi8ELi8ELi32ELc78ELc67EKPKdS3_KPdEEvlllT_PT11_llS8_llS6_PT12_llPT13_lli,@function
_ZN12_GLOBAL__N_127rocblas_gemm_batched_kernelIdLi16ELi16ELi32ELi32ELi8ELi32ELi8ELi8ELi32ELc78ELc67EKPKdS3_KPdEEvlllT_PT11_llS8_llS6_PT12_llPT13_lli: ; @_ZN12_GLOBAL__N_127rocblas_gemm_batched_kernelIdLi16ELi16ELi32ELi32ELi8ELi32ELi8ELi8ELi32ELc78ELc67EKPKdS3_KPdEEvlllT_PT11_llS8_llS6_PT12_llPT13_lli
; %bb.0:
	s_clause 0x2
	s_load_dwordx8 s[36:43], s[4:5], 0x50
	s_load_dwordx8 s[44:51], s[4:5], 0x70
	s_load_dwordx16 s[12:27], s[4:5], 0x10
	s_mov_b32 s9, 0
	s_mov_b32 s10, s7
	s_lshl_b64 s[0:1], s[8:9], 3
	v_mov_b32_e32 v3, 0
	s_waitcnt lgkmcnt(0)
	s_add_u32 s2, s38, s0
	s_addc_u32 s3, s39, s1
	s_add_u32 s4, s44, s0
	s_addc_u32 s5, s45, s1
	s_load_dwordx2 s[2:3], s[2:3], 0x0
	s_load_dwordx2 s[4:5], s[4:5], 0x0
	v_cmp_lt_i64_e64 s8, s[12:13], 1
	s_ashr_i32 s7, s6, 31
	s_ashr_i32 s11, s10, 31
	s_lshl_b64 s[6:7], s[6:7], 5
	s_and_b32 vcc_lo, exec_lo, s8
	s_lshl_b64 s[8:9], s[10:11], 5
	s_cbranch_vccnz .LBB17_3
; %bb.1:
	v_lshl_add_u32 v5, v1, 4, v0
	v_and_b32_e32 v7, 7, v0
	s_add_u32 s10, s16, s0
	s_addc_u32 s11, s17, s1
	s_add_u32 s0, s22, s0
	v_lshrrev_b32_e32 v2, 3, v5
	v_lshrrev_b32_e32 v9, 5, v5
	v_and_b32_e32 v10, 31, v5
	s_addc_u32 s1, s23, s1
	v_lshlrev_b32_e32 v11, 3, v7
	v_mad_u64_u32 v[3:4], null, s24, v7, v[2:3]
	v_mad_u64_u32 v[5:6], null, s18, v9, s[6:7]
	s_load_dwordx2 s[0:1], s[0:1], 0x0
	s_load_dwordx2 s[16:17], s[10:11], 0x0
	v_lshlrev_b32_e32 v12, 3, v10
	s_lshl_b64 s[10:11], s[26:27], 3
	v_add_co_u32 v3, vcc_lo, v3, s8
	v_mad_u64_u32 v[7:8], null, s25, v7, v[4:5]
	v_lshl_or_b32 v8, v2, 6, v11
	v_mov_b32_e32 v2, v6
	v_lshl_or_b32 v16, v9, 8, v12
	v_lshlrev_b32_e32 v14, 3, v0
	v_lshl_add_u32 v15, v1, 6, 0x800
	v_add_nc_u32_e32 v17, 0x800, v8
	v_add_co_ci_u32_e64 v4, null, s9, v7, vcc_lo
	v_mad_u64_u32 v[6:7], null, s19, v9, v[2:3]
	v_mov_b32_e32 v8, 0
	v_lshlrev_b64 v[2:3], 3, v[3:4]
	v_add_co_u32 v4, vcc_lo, v5, v10
	s_waitcnt lgkmcnt(0)
	s_add_u32 s0, s0, s10
	s_addc_u32 s1, s1, s11
	v_add_co_ci_u32_e64 v5, null, 0, v6, vcc_lo
	v_add_co_u32 v10, vcc_lo, s0, v2
	v_add_co_ci_u32_e64 v11, null, s1, v3, vcc_lo
	v_lshlrev_b64 v[12:13], 3, v[4:5]
	s_lshl_b64 s[0:1], s[20:21], 3
	s_lshl_b64 s[10:11], s[24:25], 6
	s_add_u32 s0, s16, s0
	s_addc_u32 s1, s17, s1
	v_mov_b32_e32 v2, 0
	v_add_co_u32 v12, vcc_lo, s0, v12
	v_mov_b32_e32 v4, 0
	v_mov_b32_e32 v6, 0
	;; [unrolled: 1-line block ×6, first 2 shown]
	v_add_co_ci_u32_e64 v13, null, s1, v13, vcc_lo
	s_lshl_b64 s[16:17], s[18:19], 6
	s_mov_b64 s[18:19], 0
.LBB17_2:                               ; =>This Inner Loop Header: Depth=1
	flat_load_dwordx2 v[18:19], v[12:13]
	s_add_u32 s18, s18, 8
	s_addc_u32 s19, s19, 0
	v_add_co_u32 v12, vcc_lo, v12, s16
	v_cmp_lt_i64_e64 s0, s[18:19], s[12:13]
	v_add_co_ci_u32_e64 v13, null, s17, v13, vcc_lo
	s_and_b32 vcc_lo, exec_lo, s0
	s_waitcnt vmcnt(0) lgkmcnt(0)
	ds_write_b64 v16, v[18:19]
	flat_load_dwordx2 v[18:19], v[10:11]
	v_add_co_u32 v10, s0, v10, s10
	v_add_co_ci_u32_e64 v11, null, s11, v11, s0
	s_waitcnt vmcnt(0) lgkmcnt(0)
	ds_write_b64 v17, v[18:19]
	s_waitcnt lgkmcnt(0)
	s_barrier
	buffer_gl0_inv
	ds_read_b128 v[18:21], v15
	ds_read2_b64 v[22:25], v14 offset1:16
	ds_read_b128 v[26:29], v15 offset:1024
	ds_read_b128 v[30:33], v15 offset:16
	;; [unrolled: 1-line block ×3, first 2 shown]
	s_waitcnt lgkmcnt(3)
	v_fma_f64 v[8:9], v[22:23], v[18:19], v[8:9]
	v_fma_f64 v[6:7], v[24:25], v[18:19], v[6:7]
	s_waitcnt lgkmcnt(2)
	v_fma_f64 v[18:19], v[22:23], v[26:27], v[4:5]
	v_fma_f64 v[22:23], v[24:25], v[26:27], v[2:3]
	ds_read2_b64 v[2:5], v14 offset0:32 offset1:48
	s_waitcnt lgkmcnt(0)
	v_fma_f64 v[8:9], v[2:3], v[20:21], v[8:9]
	v_fma_f64 v[6:7], v[4:5], v[20:21], v[6:7]
	;; [unrolled: 1-line block ×4, first 2 shown]
	ds_read2_b64 v[2:5], v14 offset0:64 offset1:80
	s_waitcnt lgkmcnt(0)
	v_fma_f64 v[22:23], v[2:3], v[30:31], v[8:9]
	v_fma_f64 v[24:25], v[4:5], v[30:31], v[6:7]
	;; [unrolled: 1-line block ×4, first 2 shown]
	ds_read2_b64 v[2:5], v14 offset0:96 offset1:112
	ds_read_b128 v[6:9], v15 offset:32
	ds_read2_b64 v[18:21], v14 offset0:128 offset1:144
	s_waitcnt lgkmcnt(2)
	v_fma_f64 v[30:31], v[2:3], v[32:33], v[22:23]
	v_fma_f64 v[32:33], v[4:5], v[32:33], v[24:25]
	;; [unrolled: 1-line block ×4, first 2 shown]
	ds_read_b128 v[2:5], v15 offset:1056
	ds_read_b128 v[22:25], v15 offset:48
	;; [unrolled: 1-line block ×3, first 2 shown]
	s_waitcnt lgkmcnt(3)
	v_fma_f64 v[30:31], v[18:19], v[6:7], v[30:31]
	v_fma_f64 v[6:7], v[20:21], v[6:7], v[32:33]
	s_waitcnt lgkmcnt(2)
	v_fma_f64 v[32:33], v[18:19], v[2:3], v[34:35]
	v_fma_f64 v[2:3], v[20:21], v[2:3], v[36:37]
	ds_read2_b64 v[18:21], v14 offset0:160 offset1:176
	s_waitcnt lgkmcnt(0)
	v_fma_f64 v[30:31], v[18:19], v[8:9], v[30:31]
	v_fma_f64 v[6:7], v[20:21], v[8:9], v[6:7]
	;; [unrolled: 1-line block ×4, first 2 shown]
	ds_read2_b64 v[2:5], v14 offset0:192 offset1:208
	s_waitcnt lgkmcnt(0)
	v_fma_f64 v[30:31], v[2:3], v[22:23], v[30:31]
	v_fma_f64 v[6:7], v[4:5], v[22:23], v[6:7]
	;; [unrolled: 1-line block ×4, first 2 shown]
	ds_read2_b64 v[18:21], v14 offset0:224 offset1:240
	s_waitcnt lgkmcnt(0)
	s_barrier
	buffer_gl0_inv
	v_fma_f64 v[8:9], v[18:19], v[24:25], v[30:31]
	v_fma_f64 v[6:7], v[20:21], v[24:25], v[6:7]
	;; [unrolled: 1-line block ×4, first 2 shown]
	s_cbranch_vccnz .LBB17_2
	s_branch .LBB17_4
.LBB17_3:
	v_mov_b32_e32 v8, 0
	v_mov_b32_e32 v6, 0
	;; [unrolled: 1-line block ×8, first 2 shown]
.LBB17_4:
	v_cmp_neq_f64_e64 s10, s[36:37], 0
	v_add_co_u32 v10, s8, s8, v1
	v_add_co_ci_u32_e64 v13, null, s9, 0, s8
	v_add_co_u32 v0, s6, s6, v0
	v_add_co_ci_u32_e64 v1, null, s7, 0, s6
	v_mul_lo_u32 v11, v13, s46
	v_mul_lo_u32 v12, v10, s47
	s_lshl_b64 s[0:1], s[48:49], 3
	v_lshlrev_b64 v[0:1], 3, v[0:1]
	s_waitcnt lgkmcnt(0)
	s_add_u32 s0, s4, s0
	s_addc_u32 s1, s5, s1
	s_and_b32 vcc_lo, exec_lo, s10
	s_cbranch_vccnz .LBB17_8
; %bb.5:
	v_mad_u64_u32 v[14:15], null, v10, s46, 0
	v_mul_f64 v[16:17], s[14:15], v[8:9]
	v_mul_f64 v[18:19], s[14:15], v[6:7]
	;; [unrolled: 1-line block ×4, first 2 shown]
	s_lshl_b64 s[4:5], s[46:47], 7
	v_add3_u32 v15, v15, v12, v11
	v_lshlrev_b64 v[14:15], 3, v[14:15]
	v_add_co_u32 v14, vcc_lo, s0, v14
	v_add_co_ci_u32_e64 v15, null, s1, v15, vcc_lo
	v_add_co_u32 v24, vcc_lo, v14, s4
	v_add_co_ci_u32_e64 v25, null, s5, v15, vcc_lo
	v_add_co_u32 v14, vcc_lo, v14, v0
	v_add_co_ci_u32_e64 v15, null, v15, v1, vcc_lo
	v_add_co_u32 v24, vcc_lo, v24, v0
	v_add_co_ci_u32_e64 v25, null, v25, v1, vcc_lo
	flat_store_dwordx2 v[14:15], v[16:17]
	flat_store_dwordx2 v[14:15], v[18:19] offset:128
	flat_store_dwordx2 v[24:25], v[20:21]
	flat_store_dwordx2 v[24:25], v[22:23] offset:128
	s_cbranch_execnz .LBB17_7
.LBB17_6:
	v_mul_lo_u32 v15, v13, s40
	v_mul_lo_u32 v16, v10, s41
	v_mad_u64_u32 v[13:14], null, v10, s40, 0
	s_lshl_b64 s[4:5], s[42:43], 3
	v_mad_u64_u32 v[17:18], null, v10, s46, 0
	s_add_u32 s2, s2, s4
	s_addc_u32 s3, s3, s5
	v_add3_u32 v14, v14, v16, v15
	v_add3_u32 v18, v18, v12, v11
	v_lshlrev_b64 v[13:14], 3, v[13:14]
	v_lshlrev_b64 v[10:11], 3, v[17:18]
	v_add_co_u32 v19, vcc_lo, s2, v13
	v_add_co_ci_u32_e64 v20, null, s3, v14, vcc_lo
	v_add_co_u32 v13, vcc_lo, v19, v0
	v_add_co_ci_u32_e64 v14, null, v20, v1, vcc_lo
	v_add_co_u32 v12, vcc_lo, s0, v10
	flat_load_dwordx2 v[15:16], v[13:14]
	s_waitcnt vmcnt(0) lgkmcnt(0)
	v_mul_f64 v[15:16], s[36:37], v[15:16]
	v_fma_f64 v[8:9], s[14:15], v[8:9], v[15:16]
	v_add_co_ci_u32_e64 v15, null, s1, v11, vcc_lo
	v_add_co_u32 v10, vcc_lo, v12, v0
	s_lshl_b64 s[0:1], s[40:41], 7
	v_add_co_ci_u32_e64 v11, null, v15, v1, vcc_lo
	flat_store_dwordx2 v[10:11], v[8:9]
	flat_load_dwordx2 v[8:9], v[13:14] offset:128
	s_waitcnt vmcnt(0) lgkmcnt(0)
	v_mul_f64 v[8:9], s[36:37], v[8:9]
	v_fma_f64 v[6:7], s[14:15], v[6:7], v[8:9]
	v_add_co_u32 v8, vcc_lo, v19, s0
	v_add_co_ci_u32_e64 v9, null, s1, v20, vcc_lo
	s_lshl_b64 s[0:1], s[46:47], 7
	v_add_co_u32 v8, vcc_lo, v8, v0
	v_add_co_ci_u32_e64 v9, null, v9, v1, vcc_lo
	flat_store_dwordx2 v[10:11], v[6:7] offset:128
	flat_load_dwordx2 v[6:7], v[8:9]
	s_waitcnt vmcnt(0) lgkmcnt(0)
	v_mul_f64 v[6:7], s[36:37], v[6:7]
	v_fma_f64 v[4:5], s[14:15], v[4:5], v[6:7]
	v_add_co_u32 v6, vcc_lo, v12, s0
	v_add_co_ci_u32_e64 v7, null, s1, v15, vcc_lo
	v_add_co_u32 v0, vcc_lo, v6, v0
	v_add_co_ci_u32_e64 v1, null, v7, v1, vcc_lo
	flat_store_dwordx2 v[0:1], v[4:5]
	flat_load_dwordx2 v[4:5], v[8:9] offset:128
	s_waitcnt vmcnt(0) lgkmcnt(0)
	v_mul_f64 v[4:5], s[36:37], v[4:5]
	v_fma_f64 v[2:3], s[14:15], v[2:3], v[4:5]
	flat_store_dwordx2 v[0:1], v[2:3] offset:128
.LBB17_7:
	s_endpgm
.LBB17_8:
	s_branch .LBB17_6
	.section	.rodata,"a",@progbits
	.p2align	6, 0x0
	.amdhsa_kernel _ZN12_GLOBAL__N_127rocblas_gemm_batched_kernelIdLi16ELi16ELi32ELi32ELi8ELi32ELi8ELi8ELi32ELc78ELc67EKPKdS3_KPdEEvlllT_PT11_llS8_llS6_PT12_llPT13_lli
		.amdhsa_group_segment_fixed_size 4096
		.amdhsa_private_segment_fixed_size 0
		.amdhsa_kernarg_size 140
		.amdhsa_user_sgpr_count 6
		.amdhsa_user_sgpr_private_segment_buffer 1
		.amdhsa_user_sgpr_dispatch_ptr 0
		.amdhsa_user_sgpr_queue_ptr 0
		.amdhsa_user_sgpr_kernarg_segment_ptr 1
		.amdhsa_user_sgpr_dispatch_id 0
		.amdhsa_user_sgpr_flat_scratch_init 0
		.amdhsa_user_sgpr_private_segment_size 0
		.amdhsa_wavefront_size32 1
		.amdhsa_uses_dynamic_stack 0
		.amdhsa_system_sgpr_private_segment_wavefront_offset 0
		.amdhsa_system_sgpr_workgroup_id_x 1
		.amdhsa_system_sgpr_workgroup_id_y 1
		.amdhsa_system_sgpr_workgroup_id_z 1
		.amdhsa_system_sgpr_workgroup_info 0
		.amdhsa_system_vgpr_workitem_id 1
		.amdhsa_next_free_vgpr 38
		.amdhsa_next_free_sgpr 52
		.amdhsa_reserve_vcc 1
		.amdhsa_reserve_flat_scratch 0
		.amdhsa_float_round_mode_32 0
		.amdhsa_float_round_mode_16_64 0
		.amdhsa_float_denorm_mode_32 3
		.amdhsa_float_denorm_mode_16_64 3
		.amdhsa_dx10_clamp 1
		.amdhsa_ieee_mode 1
		.amdhsa_fp16_overflow 0
		.amdhsa_workgroup_processor_mode 1
		.amdhsa_memory_ordered 1
		.amdhsa_forward_progress 1
		.amdhsa_shared_vgpr_count 0
		.amdhsa_exception_fp_ieee_invalid_op 0
		.amdhsa_exception_fp_denorm_src 0
		.amdhsa_exception_fp_ieee_div_zero 0
		.amdhsa_exception_fp_ieee_overflow 0
		.amdhsa_exception_fp_ieee_underflow 0
		.amdhsa_exception_fp_ieee_inexact 0
		.amdhsa_exception_int_div_zero 0
	.end_amdhsa_kernel
	.section	.text._ZN12_GLOBAL__N_127rocblas_gemm_batched_kernelIdLi16ELi16ELi32ELi32ELi8ELi32ELi8ELi8ELi32ELc78ELc67EKPKdS3_KPdEEvlllT_PT11_llS8_llS6_PT12_llPT13_lli,"axG",@progbits,_ZN12_GLOBAL__N_127rocblas_gemm_batched_kernelIdLi16ELi16ELi32ELi32ELi8ELi32ELi8ELi8ELi32ELc78ELc67EKPKdS3_KPdEEvlllT_PT11_llS8_llS6_PT12_llPT13_lli,comdat
.Lfunc_end17:
	.size	_ZN12_GLOBAL__N_127rocblas_gemm_batched_kernelIdLi16ELi16ELi32ELi32ELi8ELi32ELi8ELi8ELi32ELc78ELc67EKPKdS3_KPdEEvlllT_PT11_llS8_llS6_PT12_llPT13_lli, .Lfunc_end17-_ZN12_GLOBAL__N_127rocblas_gemm_batched_kernelIdLi16ELi16ELi32ELi32ELi8ELi32ELi8ELi8ELi32ELc78ELc67EKPKdS3_KPdEEvlllT_PT11_llS8_llS6_PT12_llPT13_lli
                                        ; -- End function
	.set _ZN12_GLOBAL__N_127rocblas_gemm_batched_kernelIdLi16ELi16ELi32ELi32ELi8ELi32ELi8ELi8ELi32ELc78ELc67EKPKdS3_KPdEEvlllT_PT11_llS8_llS6_PT12_llPT13_lli.num_vgpr, 38
	.set _ZN12_GLOBAL__N_127rocblas_gemm_batched_kernelIdLi16ELi16ELi32ELi32ELi8ELi32ELi8ELi8ELi32ELc78ELc67EKPKdS3_KPdEEvlllT_PT11_llS8_llS6_PT12_llPT13_lli.num_agpr, 0
	.set _ZN12_GLOBAL__N_127rocblas_gemm_batched_kernelIdLi16ELi16ELi32ELi32ELi8ELi32ELi8ELi8ELi32ELc78ELc67EKPKdS3_KPdEEvlllT_PT11_llS8_llS6_PT12_llPT13_lli.numbered_sgpr, 52
	.set _ZN12_GLOBAL__N_127rocblas_gemm_batched_kernelIdLi16ELi16ELi32ELi32ELi8ELi32ELi8ELi8ELi32ELc78ELc67EKPKdS3_KPdEEvlllT_PT11_llS8_llS6_PT12_llPT13_lli.num_named_barrier, 0
	.set _ZN12_GLOBAL__N_127rocblas_gemm_batched_kernelIdLi16ELi16ELi32ELi32ELi8ELi32ELi8ELi8ELi32ELc78ELc67EKPKdS3_KPdEEvlllT_PT11_llS8_llS6_PT12_llPT13_lli.private_seg_size, 0
	.set _ZN12_GLOBAL__N_127rocblas_gemm_batched_kernelIdLi16ELi16ELi32ELi32ELi8ELi32ELi8ELi8ELi32ELc78ELc67EKPKdS3_KPdEEvlllT_PT11_llS8_llS6_PT12_llPT13_lli.uses_vcc, 1
	.set _ZN12_GLOBAL__N_127rocblas_gemm_batched_kernelIdLi16ELi16ELi32ELi32ELi8ELi32ELi8ELi8ELi32ELc78ELc67EKPKdS3_KPdEEvlllT_PT11_llS8_llS6_PT12_llPT13_lli.uses_flat_scratch, 0
	.set _ZN12_GLOBAL__N_127rocblas_gemm_batched_kernelIdLi16ELi16ELi32ELi32ELi8ELi32ELi8ELi8ELi32ELc78ELc67EKPKdS3_KPdEEvlllT_PT11_llS8_llS6_PT12_llPT13_lli.has_dyn_sized_stack, 0
	.set _ZN12_GLOBAL__N_127rocblas_gemm_batched_kernelIdLi16ELi16ELi32ELi32ELi8ELi32ELi8ELi8ELi32ELc78ELc67EKPKdS3_KPdEEvlllT_PT11_llS8_llS6_PT12_llPT13_lli.has_recursion, 0
	.set _ZN12_GLOBAL__N_127rocblas_gemm_batched_kernelIdLi16ELi16ELi32ELi32ELi8ELi32ELi8ELi8ELi32ELc78ELc67EKPKdS3_KPdEEvlllT_PT11_llS8_llS6_PT12_llPT13_lli.has_indirect_call, 0
	.section	.AMDGPU.csdata,"",@progbits
; Kernel info:
; codeLenInByte = 1600
; TotalNumSgprs: 54
; NumVgprs: 38
; ScratchSize: 0
; MemoryBound: 0
; FloatMode: 240
; IeeeMode: 1
; LDSByteSize: 4096 bytes/workgroup (compile time only)
; SGPRBlocks: 0
; VGPRBlocks: 4
; NumSGPRsForWavesPerEU: 54
; NumVGPRsForWavesPerEU: 38
; Occupancy: 16
; WaveLimiterHint : 1
; COMPUTE_PGM_RSRC2:SCRATCH_EN: 0
; COMPUTE_PGM_RSRC2:USER_SGPR: 6
; COMPUTE_PGM_RSRC2:TRAP_HANDLER: 0
; COMPUTE_PGM_RSRC2:TGID_X_EN: 1
; COMPUTE_PGM_RSRC2:TGID_Y_EN: 1
; COMPUTE_PGM_RSRC2:TGID_Z_EN: 1
; COMPUTE_PGM_RSRC2:TIDIG_COMP_CNT: 1
	.section	.text._ZN12_GLOBAL__N_127rocblas_gemm_batched_kernelIdLi16ELi16ELi32ELi32ELi8ELi32ELi8ELi8ELi32ELc84ELc67EKPKdS3_KPdEEvlllT_PT11_llS8_llS6_PT12_llPT13_lli,"axG",@progbits,_ZN12_GLOBAL__N_127rocblas_gemm_batched_kernelIdLi16ELi16ELi32ELi32ELi8ELi32ELi8ELi8ELi32ELc84ELc67EKPKdS3_KPdEEvlllT_PT11_llS8_llS6_PT12_llPT13_lli,comdat
	.globl	_ZN12_GLOBAL__N_127rocblas_gemm_batched_kernelIdLi16ELi16ELi32ELi32ELi8ELi32ELi8ELi8ELi32ELc84ELc67EKPKdS3_KPdEEvlllT_PT11_llS8_llS6_PT12_llPT13_lli ; -- Begin function _ZN12_GLOBAL__N_127rocblas_gemm_batched_kernelIdLi16ELi16ELi32ELi32ELi8ELi32ELi8ELi8ELi32ELc84ELc67EKPKdS3_KPdEEvlllT_PT11_llS8_llS6_PT12_llPT13_lli
	.p2align	8
	.type	_ZN12_GLOBAL__N_127rocblas_gemm_batched_kernelIdLi16ELi16ELi32ELi32ELi8ELi32ELi8ELi8ELi32ELc84ELc67EKPKdS3_KPdEEvlllT_PT11_llS8_llS6_PT12_llPT13_lli,@function
_ZN12_GLOBAL__N_127rocblas_gemm_batched_kernelIdLi16ELi16ELi32ELi32ELi8ELi32ELi8ELi8ELi32ELc84ELc67EKPKdS3_KPdEEvlllT_PT11_llS8_llS6_PT12_llPT13_lli: ; @_ZN12_GLOBAL__N_127rocblas_gemm_batched_kernelIdLi16ELi16ELi32ELi32ELi8ELi32ELi8ELi8ELi32ELc84ELc67EKPKdS3_KPdEEvlllT_PT11_llS8_llS6_PT12_llPT13_lli
; %bb.0:
	s_clause 0x2
	s_load_dwordx8 s[36:43], s[4:5], 0x50
	s_load_dwordx8 s[44:51], s[4:5], 0x70
	s_load_dwordx16 s[12:27], s[4:5], 0x10
	s_mov_b32 s9, 0
	s_mov_b32 s10, s7
	s_lshl_b64 s[0:1], s[8:9], 3
	v_mov_b32_e32 v3, 0
	s_waitcnt lgkmcnt(0)
	s_add_u32 s2, s38, s0
	s_addc_u32 s3, s39, s1
	s_add_u32 s4, s44, s0
	s_addc_u32 s5, s45, s1
	s_load_dwordx2 s[2:3], s[2:3], 0x0
	s_load_dwordx2 s[4:5], s[4:5], 0x0
	v_cmp_lt_i64_e64 s8, s[12:13], 1
	s_ashr_i32 s7, s6, 31
	s_ashr_i32 s11, s10, 31
	s_lshl_b64 s[6:7], s[6:7], 5
	s_and_b32 vcc_lo, exec_lo, s8
	s_lshl_b64 s[8:9], s[10:11], 5
	s_cbranch_vccnz .LBB18_3
; %bb.1:
	v_lshl_add_u32 v5, v1, 4, v0
	s_add_u32 s10, s16, s0
	v_and_b32_e32 v7, 7, v0
	s_addc_u32 s11, s17, s1
	s_add_u32 s0, s22, s0
	v_and_b32_e32 v8, 31, v5
	v_lshrrev_b32_e32 v2, 3, v5
	s_addc_u32 s1, s23, s1
	v_lshrrev_b32_e32 v10, 5, v5
	s_load_dwordx2 s[0:1], s[0:1], 0x0
	v_add_co_u32 v6, s16, s6, v8
	v_mad_u64_u32 v[3:4], null, s24, v7, v[2:3]
	v_add_co_ci_u32_e64 v9, null, s7, 0, s16
	v_mul_lo_u32 v12, s19, v6
	v_mad_u64_u32 v[5:6], null, s18, v6, 0
	v_lshlrev_b32_e32 v11, 3, v7
	v_mul_lo_u32 v9, s18, v9
	v_lshlrev_b32_e32 v13, 3, v8
	s_load_dwordx2 s[10:11], s[10:11], 0x0
	s_lshl_b64 s[16:17], s[26:27], 3
	v_lshl_or_b32 v2, v2, 6, v11
	v_mad_u64_u32 v[7:8], null, s25, v7, v[4:5]
	v_lshl_or_b32 v14, v10, 8, v13
	v_add3_u32 v6, v6, v9, v12
	v_add_nc_u32_e32 v15, 0x800, v2
	v_add_co_u32 v2, vcc_lo, v3, s8
	s_waitcnt lgkmcnt(0)
	s_add_u32 s16, s0, s16
	v_add_co_ci_u32_e64 v3, null, s9, v7, vcc_lo
	v_lshlrev_b64 v[4:5], 3, v[5:6]
	s_addc_u32 s17, s1, s17
	s_lshl_b64 s[0:1], s[20:21], 3
	v_lshlrev_b64 v[2:3], 3, v[2:3]
	v_lshlrev_b32_e32 v6, 3, v10
	v_mov_b32_e32 v8, 0
	v_add_co_u32 v4, vcc_lo, v4, s0
	v_add_co_ci_u32_e64 v5, null, s1, v5, vcc_lo
	v_add_co_u32 v10, vcc_lo, s16, v2
	v_add_co_ci_u32_e64 v11, null, s17, v3, vcc_lo
	;; [unrolled: 2-line block ×3, first 2 shown]
	v_mov_b32_e32 v2, 0
	v_add_co_u32 v12, vcc_lo, s10, v12
	v_mov_b32_e32 v4, 0
	v_mov_b32_e32 v6, 0
	v_lshlrev_b32_e32 v16, 3, v0
	v_lshl_add_u32 v17, v1, 6, 0x800
	v_mov_b32_e32 v3, 0
	v_mov_b32_e32 v5, 0
	;; [unrolled: 1-line block ×4, first 2 shown]
	v_add_co_ci_u32_e64 v13, null, s11, v13, vcc_lo
	s_lshl_b64 s[10:11], s[24:25], 6
	s_mov_b64 s[16:17], 0
.LBB18_2:                               ; =>This Inner Loop Header: Depth=1
	flat_load_dwordx2 v[18:19], v[12:13]
	s_add_u32 s16, s16, 8
	s_addc_u32 s17, s17, 0
	v_add_co_u32 v12, vcc_lo, v12, 64
	v_cmp_lt_i64_e64 s0, s[16:17], s[12:13]
	v_add_co_ci_u32_e64 v13, null, 0, v13, vcc_lo
	s_and_b32 vcc_lo, exec_lo, s0
	s_waitcnt vmcnt(0) lgkmcnt(0)
	ds_write_b64 v14, v[18:19]
	flat_load_dwordx2 v[18:19], v[10:11]
	v_add_co_u32 v10, s0, v10, s10
	v_add_co_ci_u32_e64 v11, null, s11, v11, s0
	s_waitcnt vmcnt(0) lgkmcnt(0)
	ds_write_b64 v15, v[18:19]
	s_waitcnt lgkmcnt(0)
	s_barrier
	buffer_gl0_inv
	ds_read_b128 v[18:21], v17
	ds_read2_b64 v[22:25], v16 offset1:16
	ds_read_b128 v[26:29], v17 offset:1024
	ds_read_b128 v[30:33], v17 offset:16
	;; [unrolled: 1-line block ×3, first 2 shown]
	s_waitcnt lgkmcnt(3)
	v_fma_f64 v[8:9], v[22:23], v[18:19], v[8:9]
	v_fma_f64 v[6:7], v[24:25], v[18:19], v[6:7]
	s_waitcnt lgkmcnt(2)
	v_fma_f64 v[18:19], v[22:23], v[26:27], v[4:5]
	v_fma_f64 v[22:23], v[24:25], v[26:27], v[2:3]
	ds_read2_b64 v[2:5], v16 offset0:32 offset1:48
	s_waitcnt lgkmcnt(0)
	v_fma_f64 v[8:9], v[2:3], v[20:21], v[8:9]
	v_fma_f64 v[6:7], v[4:5], v[20:21], v[6:7]
	;; [unrolled: 1-line block ×4, first 2 shown]
	ds_read2_b64 v[2:5], v16 offset0:64 offset1:80
	s_waitcnt lgkmcnt(0)
	v_fma_f64 v[22:23], v[2:3], v[30:31], v[8:9]
	v_fma_f64 v[24:25], v[4:5], v[30:31], v[6:7]
	;; [unrolled: 1-line block ×4, first 2 shown]
	ds_read2_b64 v[2:5], v16 offset0:96 offset1:112
	ds_read_b128 v[6:9], v17 offset:32
	ds_read2_b64 v[18:21], v16 offset0:128 offset1:144
	s_waitcnt lgkmcnt(2)
	v_fma_f64 v[30:31], v[2:3], v[32:33], v[22:23]
	v_fma_f64 v[32:33], v[4:5], v[32:33], v[24:25]
	;; [unrolled: 1-line block ×4, first 2 shown]
	ds_read_b128 v[2:5], v17 offset:1056
	ds_read_b128 v[22:25], v17 offset:48
	;; [unrolled: 1-line block ×3, first 2 shown]
	s_waitcnt lgkmcnt(3)
	v_fma_f64 v[30:31], v[18:19], v[6:7], v[30:31]
	v_fma_f64 v[6:7], v[20:21], v[6:7], v[32:33]
	s_waitcnt lgkmcnt(2)
	v_fma_f64 v[32:33], v[18:19], v[2:3], v[34:35]
	v_fma_f64 v[2:3], v[20:21], v[2:3], v[36:37]
	ds_read2_b64 v[18:21], v16 offset0:160 offset1:176
	s_waitcnt lgkmcnt(0)
	v_fma_f64 v[30:31], v[18:19], v[8:9], v[30:31]
	v_fma_f64 v[6:7], v[20:21], v[8:9], v[6:7]
	;; [unrolled: 1-line block ×4, first 2 shown]
	ds_read2_b64 v[2:5], v16 offset0:192 offset1:208
	s_waitcnt lgkmcnt(0)
	v_fma_f64 v[30:31], v[2:3], v[22:23], v[30:31]
	v_fma_f64 v[6:7], v[4:5], v[22:23], v[6:7]
	;; [unrolled: 1-line block ×4, first 2 shown]
	ds_read2_b64 v[18:21], v16 offset0:224 offset1:240
	s_waitcnt lgkmcnt(0)
	s_barrier
	buffer_gl0_inv
	v_fma_f64 v[8:9], v[18:19], v[24:25], v[30:31]
	v_fma_f64 v[6:7], v[20:21], v[24:25], v[6:7]
	;; [unrolled: 1-line block ×4, first 2 shown]
	s_cbranch_vccnz .LBB18_2
	s_branch .LBB18_4
.LBB18_3:
	v_mov_b32_e32 v8, 0
	v_mov_b32_e32 v6, 0
	;; [unrolled: 1-line block ×8, first 2 shown]
.LBB18_4:
	v_cmp_neq_f64_e64 s10, s[36:37], 0
	v_add_co_u32 v10, s8, s8, v1
	v_add_co_ci_u32_e64 v13, null, s9, 0, s8
	v_add_co_u32 v0, s6, s6, v0
	v_add_co_ci_u32_e64 v1, null, s7, 0, s6
	v_mul_lo_u32 v11, v13, s46
	v_mul_lo_u32 v12, v10, s47
	s_lshl_b64 s[0:1], s[48:49], 3
	v_lshlrev_b64 v[0:1], 3, v[0:1]
	s_waitcnt lgkmcnt(0)
	s_add_u32 s0, s4, s0
	s_addc_u32 s1, s5, s1
	s_and_b32 vcc_lo, exec_lo, s10
	s_cbranch_vccnz .LBB18_8
; %bb.5:
	v_mad_u64_u32 v[14:15], null, v10, s46, 0
	v_mul_f64 v[16:17], s[14:15], v[8:9]
	v_mul_f64 v[18:19], s[14:15], v[6:7]
	v_mul_f64 v[20:21], s[14:15], v[4:5]
	v_mul_f64 v[22:23], s[14:15], v[2:3]
	s_lshl_b64 s[4:5], s[46:47], 7
	v_add3_u32 v15, v15, v12, v11
	v_lshlrev_b64 v[14:15], 3, v[14:15]
	v_add_co_u32 v14, vcc_lo, s0, v14
	v_add_co_ci_u32_e64 v15, null, s1, v15, vcc_lo
	v_add_co_u32 v24, vcc_lo, v14, s4
	v_add_co_ci_u32_e64 v25, null, s5, v15, vcc_lo
	;; [unrolled: 2-line block ×4, first 2 shown]
	flat_store_dwordx2 v[14:15], v[16:17]
	flat_store_dwordx2 v[14:15], v[18:19] offset:128
	flat_store_dwordx2 v[24:25], v[20:21]
	flat_store_dwordx2 v[24:25], v[22:23] offset:128
	s_cbranch_execnz .LBB18_7
.LBB18_6:
	v_mul_lo_u32 v15, v13, s40
	v_mul_lo_u32 v16, v10, s41
	v_mad_u64_u32 v[13:14], null, v10, s40, 0
	s_lshl_b64 s[4:5], s[42:43], 3
	v_mad_u64_u32 v[17:18], null, v10, s46, 0
	s_add_u32 s2, s2, s4
	s_addc_u32 s3, s3, s5
	v_add3_u32 v14, v14, v16, v15
	v_add3_u32 v18, v18, v12, v11
	v_lshlrev_b64 v[13:14], 3, v[13:14]
	v_lshlrev_b64 v[10:11], 3, v[17:18]
	v_add_co_u32 v19, vcc_lo, s2, v13
	v_add_co_ci_u32_e64 v20, null, s3, v14, vcc_lo
	v_add_co_u32 v13, vcc_lo, v19, v0
	v_add_co_ci_u32_e64 v14, null, v20, v1, vcc_lo
	v_add_co_u32 v12, vcc_lo, s0, v10
	flat_load_dwordx2 v[15:16], v[13:14]
	s_waitcnt vmcnt(0) lgkmcnt(0)
	v_mul_f64 v[15:16], s[36:37], v[15:16]
	v_fma_f64 v[8:9], s[14:15], v[8:9], v[15:16]
	v_add_co_ci_u32_e64 v15, null, s1, v11, vcc_lo
	v_add_co_u32 v10, vcc_lo, v12, v0
	s_lshl_b64 s[0:1], s[40:41], 7
	v_add_co_ci_u32_e64 v11, null, v15, v1, vcc_lo
	flat_store_dwordx2 v[10:11], v[8:9]
	flat_load_dwordx2 v[8:9], v[13:14] offset:128
	s_waitcnt vmcnt(0) lgkmcnt(0)
	v_mul_f64 v[8:9], s[36:37], v[8:9]
	v_fma_f64 v[6:7], s[14:15], v[6:7], v[8:9]
	v_add_co_u32 v8, vcc_lo, v19, s0
	v_add_co_ci_u32_e64 v9, null, s1, v20, vcc_lo
	s_lshl_b64 s[0:1], s[46:47], 7
	v_add_co_u32 v8, vcc_lo, v8, v0
	v_add_co_ci_u32_e64 v9, null, v9, v1, vcc_lo
	flat_store_dwordx2 v[10:11], v[6:7] offset:128
	flat_load_dwordx2 v[6:7], v[8:9]
	s_waitcnt vmcnt(0) lgkmcnt(0)
	v_mul_f64 v[6:7], s[36:37], v[6:7]
	v_fma_f64 v[4:5], s[14:15], v[4:5], v[6:7]
	v_add_co_u32 v6, vcc_lo, v12, s0
	v_add_co_ci_u32_e64 v7, null, s1, v15, vcc_lo
	v_add_co_u32 v0, vcc_lo, v6, v0
	v_add_co_ci_u32_e64 v1, null, v7, v1, vcc_lo
	flat_store_dwordx2 v[0:1], v[4:5]
	flat_load_dwordx2 v[4:5], v[8:9] offset:128
	s_waitcnt vmcnt(0) lgkmcnt(0)
	v_mul_f64 v[4:5], s[36:37], v[4:5]
	v_fma_f64 v[2:3], s[14:15], v[2:3], v[4:5]
	flat_store_dwordx2 v[0:1], v[2:3] offset:128
.LBB18_7:
	s_endpgm
.LBB18_8:
	s_branch .LBB18_6
	.section	.rodata,"a",@progbits
	.p2align	6, 0x0
	.amdhsa_kernel _ZN12_GLOBAL__N_127rocblas_gemm_batched_kernelIdLi16ELi16ELi32ELi32ELi8ELi32ELi8ELi8ELi32ELc84ELc67EKPKdS3_KPdEEvlllT_PT11_llS8_llS6_PT12_llPT13_lli
		.amdhsa_group_segment_fixed_size 4096
		.amdhsa_private_segment_fixed_size 0
		.amdhsa_kernarg_size 140
		.amdhsa_user_sgpr_count 6
		.amdhsa_user_sgpr_private_segment_buffer 1
		.amdhsa_user_sgpr_dispatch_ptr 0
		.amdhsa_user_sgpr_queue_ptr 0
		.amdhsa_user_sgpr_kernarg_segment_ptr 1
		.amdhsa_user_sgpr_dispatch_id 0
		.amdhsa_user_sgpr_flat_scratch_init 0
		.amdhsa_user_sgpr_private_segment_size 0
		.amdhsa_wavefront_size32 1
		.amdhsa_uses_dynamic_stack 0
		.amdhsa_system_sgpr_private_segment_wavefront_offset 0
		.amdhsa_system_sgpr_workgroup_id_x 1
		.amdhsa_system_sgpr_workgroup_id_y 1
		.amdhsa_system_sgpr_workgroup_id_z 1
		.amdhsa_system_sgpr_workgroup_info 0
		.amdhsa_system_vgpr_workitem_id 1
		.amdhsa_next_free_vgpr 38
		.amdhsa_next_free_sgpr 52
		.amdhsa_reserve_vcc 1
		.amdhsa_reserve_flat_scratch 0
		.amdhsa_float_round_mode_32 0
		.amdhsa_float_round_mode_16_64 0
		.amdhsa_float_denorm_mode_32 3
		.amdhsa_float_denorm_mode_16_64 3
		.amdhsa_dx10_clamp 1
		.amdhsa_ieee_mode 1
		.amdhsa_fp16_overflow 0
		.amdhsa_workgroup_processor_mode 1
		.amdhsa_memory_ordered 1
		.amdhsa_forward_progress 1
		.amdhsa_shared_vgpr_count 0
		.amdhsa_exception_fp_ieee_invalid_op 0
		.amdhsa_exception_fp_denorm_src 0
		.amdhsa_exception_fp_ieee_div_zero 0
		.amdhsa_exception_fp_ieee_overflow 0
		.amdhsa_exception_fp_ieee_underflow 0
		.amdhsa_exception_fp_ieee_inexact 0
		.amdhsa_exception_int_div_zero 0
	.end_amdhsa_kernel
	.section	.text._ZN12_GLOBAL__N_127rocblas_gemm_batched_kernelIdLi16ELi16ELi32ELi32ELi8ELi32ELi8ELi8ELi32ELc84ELc67EKPKdS3_KPdEEvlllT_PT11_llS8_llS6_PT12_llPT13_lli,"axG",@progbits,_ZN12_GLOBAL__N_127rocblas_gemm_batched_kernelIdLi16ELi16ELi32ELi32ELi8ELi32ELi8ELi8ELi32ELc84ELc67EKPKdS3_KPdEEvlllT_PT11_llS8_llS6_PT12_llPT13_lli,comdat
.Lfunc_end18:
	.size	_ZN12_GLOBAL__N_127rocblas_gemm_batched_kernelIdLi16ELi16ELi32ELi32ELi8ELi32ELi8ELi8ELi32ELc84ELc67EKPKdS3_KPdEEvlllT_PT11_llS8_llS6_PT12_llPT13_lli, .Lfunc_end18-_ZN12_GLOBAL__N_127rocblas_gemm_batched_kernelIdLi16ELi16ELi32ELi32ELi8ELi32ELi8ELi8ELi32ELc84ELc67EKPKdS3_KPdEEvlllT_PT11_llS8_llS6_PT12_llPT13_lli
                                        ; -- End function
	.set _ZN12_GLOBAL__N_127rocblas_gemm_batched_kernelIdLi16ELi16ELi32ELi32ELi8ELi32ELi8ELi8ELi32ELc84ELc67EKPKdS3_KPdEEvlllT_PT11_llS8_llS6_PT12_llPT13_lli.num_vgpr, 38
	.set _ZN12_GLOBAL__N_127rocblas_gemm_batched_kernelIdLi16ELi16ELi32ELi32ELi8ELi32ELi8ELi8ELi32ELc84ELc67EKPKdS3_KPdEEvlllT_PT11_llS8_llS6_PT12_llPT13_lli.num_agpr, 0
	.set _ZN12_GLOBAL__N_127rocblas_gemm_batched_kernelIdLi16ELi16ELi32ELi32ELi8ELi32ELi8ELi8ELi32ELc84ELc67EKPKdS3_KPdEEvlllT_PT11_llS8_llS6_PT12_llPT13_lli.numbered_sgpr, 52
	.set _ZN12_GLOBAL__N_127rocblas_gemm_batched_kernelIdLi16ELi16ELi32ELi32ELi8ELi32ELi8ELi8ELi32ELc84ELc67EKPKdS3_KPdEEvlllT_PT11_llS8_llS6_PT12_llPT13_lli.num_named_barrier, 0
	.set _ZN12_GLOBAL__N_127rocblas_gemm_batched_kernelIdLi16ELi16ELi32ELi32ELi8ELi32ELi8ELi8ELi32ELc84ELc67EKPKdS3_KPdEEvlllT_PT11_llS8_llS6_PT12_llPT13_lli.private_seg_size, 0
	.set _ZN12_GLOBAL__N_127rocblas_gemm_batched_kernelIdLi16ELi16ELi32ELi32ELi8ELi32ELi8ELi8ELi32ELc84ELc67EKPKdS3_KPdEEvlllT_PT11_llS8_llS6_PT12_llPT13_lli.uses_vcc, 1
	.set _ZN12_GLOBAL__N_127rocblas_gemm_batched_kernelIdLi16ELi16ELi32ELi32ELi8ELi32ELi8ELi8ELi32ELc84ELc67EKPKdS3_KPdEEvlllT_PT11_llS8_llS6_PT12_llPT13_lli.uses_flat_scratch, 0
	.set _ZN12_GLOBAL__N_127rocblas_gemm_batched_kernelIdLi16ELi16ELi32ELi32ELi8ELi32ELi8ELi8ELi32ELc84ELc67EKPKdS3_KPdEEvlllT_PT11_llS8_llS6_PT12_llPT13_lli.has_dyn_sized_stack, 0
	.set _ZN12_GLOBAL__N_127rocblas_gemm_batched_kernelIdLi16ELi16ELi32ELi32ELi8ELi32ELi8ELi8ELi32ELc84ELc67EKPKdS3_KPdEEvlllT_PT11_llS8_llS6_PT12_llPT13_lli.has_recursion, 0
	.set _ZN12_GLOBAL__N_127rocblas_gemm_batched_kernelIdLi16ELi16ELi32ELi32ELi8ELi32ELi8ELi8ELi32ELc84ELc67EKPKdS3_KPdEEvlllT_PT11_llS8_llS6_PT12_llPT13_lli.has_indirect_call, 0
	.section	.AMDGPU.csdata,"",@progbits
; Kernel info:
; codeLenInByte = 1636
; TotalNumSgprs: 54
; NumVgprs: 38
; ScratchSize: 0
; MemoryBound: 0
; FloatMode: 240
; IeeeMode: 1
; LDSByteSize: 4096 bytes/workgroup (compile time only)
; SGPRBlocks: 0
; VGPRBlocks: 4
; NumSGPRsForWavesPerEU: 54
; NumVGPRsForWavesPerEU: 38
; Occupancy: 16
; WaveLimiterHint : 1
; COMPUTE_PGM_RSRC2:SCRATCH_EN: 0
; COMPUTE_PGM_RSRC2:USER_SGPR: 6
; COMPUTE_PGM_RSRC2:TRAP_HANDLER: 0
; COMPUTE_PGM_RSRC2:TGID_X_EN: 1
; COMPUTE_PGM_RSRC2:TGID_Y_EN: 1
; COMPUTE_PGM_RSRC2:TGID_Z_EN: 1
; COMPUTE_PGM_RSRC2:TIDIG_COMP_CNT: 1
	.section	.text._ZN12_GLOBAL__N_135rocblas_gemm_batched_general_kernelIdLi16ELi16ELi32ELi32ELi8ELi32ELi8ELi8ELi32ELc78ELc78EKPKdS3_KPdEEvlllT_PT11_llS8_llS6_PT12_llPT13_lli,"axG",@progbits,_ZN12_GLOBAL__N_135rocblas_gemm_batched_general_kernelIdLi16ELi16ELi32ELi32ELi8ELi32ELi8ELi8ELi32ELc78ELc78EKPKdS3_KPdEEvlllT_PT11_llS8_llS6_PT12_llPT13_lli,comdat
	.globl	_ZN12_GLOBAL__N_135rocblas_gemm_batched_general_kernelIdLi16ELi16ELi32ELi32ELi8ELi32ELi8ELi8ELi32ELc78ELc78EKPKdS3_KPdEEvlllT_PT11_llS8_llS6_PT12_llPT13_lli ; -- Begin function _ZN12_GLOBAL__N_135rocblas_gemm_batched_general_kernelIdLi16ELi16ELi32ELi32ELi8ELi32ELi8ELi8ELi32ELc78ELc78EKPKdS3_KPdEEvlllT_PT11_llS8_llS6_PT12_llPT13_lli
	.p2align	8
	.type	_ZN12_GLOBAL__N_135rocblas_gemm_batched_general_kernelIdLi16ELi16ELi32ELi32ELi8ELi32ELi8ELi8ELi32ELc78ELc78EKPKdS3_KPdEEvlllT_PT11_llS8_llS6_PT12_llPT13_lli,@function
_ZN12_GLOBAL__N_135rocblas_gemm_batched_general_kernelIdLi16ELi16ELi32ELi32ELi8ELi32ELi8ELi8ELi32ELc78ELc78EKPKdS3_KPdEEvlllT_PT11_llS8_llS6_PT12_llPT13_lli: ; @_ZN12_GLOBAL__N_135rocblas_gemm_batched_general_kernelIdLi16ELi16ELi32ELi32ELi8ELi32ELi8ELi8ELi32ELc78ELc78EKPKdS3_KPdEEvlllT_PT11_llS8_llS6_PT12_llPT13_lli
; %bb.0:
	s_clause 0x1
	s_load_dwordx16 s[36:51], s[4:5], 0x40
	s_load_dwordx16 s[12:27], s[4:5], 0x0
	s_mov_b32 s9, 0
	s_mov_b32 s28, s7
	s_lshl_b64 s[0:1], s[8:9], 3
	s_waitcnt lgkmcnt(0)
	s_add_u32 s2, s42, s0
	s_addc_u32 s3, s43, s1
	s_add_u32 s10, s48, s0
	s_addc_u32 s11, s49, s1
	s_load_dwordx2 s[8:9], s[2:3], 0x0
	s_load_dwordx2 s[2:3], s[10:11], 0x0
	v_cmp_lt_i64_e64 s30, s[16:17], 1
	s_ashr_i32 s7, s6, 31
	s_ashr_i32 s29, s28, 31
	s_lshl_b64 s[10:11], s[6:7], 5
	s_lshl_b64 s[28:29], s[28:29], 5
	s_and_b32 vcc_lo, exec_lo, s30
	s_cbranch_vccnz .LBB19_7
; %bb.1:
	v_lshl_add_u32 v2, v1, 4, v0
	s_add_u32 s26, s26, s0
	s_addc_u32 s27, s27, s1
	s_add_u32 s0, s20, s0
	v_mov_b32_e32 v3, s11
	v_lshrrev_b32_e32 v10, 3, v2
	v_lshrrev_b32_e32 v19, 5, v2
	v_and_b32_e32 v11, 31, v2
	v_and_b32_e32 v18, 7, v0
	s_addc_u32 s1, s21, s1
	v_add_co_u32 v4, s20, v10, s28
	v_mad_u64_u32 v[6:7], null, s22, v19, 0
	v_add_co_ci_u32_e64 v5, null, 0, s29, s20
	v_or_b32_e32 v2, s10, v11
	v_mul_lo_u32 v12, s37, v4
	v_mad_u64_u32 v[8:9], null, s36, v4, 0
	v_mul_lo_u32 v13, s36, v5
	s_load_dwordx2 s[20:21], s[0:1], 0x0
	v_cmp_gt_i64_e64 s0, s[12:13], v[2:3]
	v_mov_b32_e32 v2, v7
	v_lshlrev_b32_e32 v14, 3, v18
	s_load_dwordx2 s[26:27], s[26:27], 0x0
	v_cmp_gt_i64_e64 s1, s[14:15], v[4:5]
	s_lshl_b64 s[30:31], s[38:39], 3
	v_mad_u64_u32 v[2:3], null, s23, v19, v[2:3]
	v_add3_u32 v9, v9, v13, v12
	v_lshl_or_b32 v7, v10, 6, v14
	s_lshl_b64 s[6:7], s[6:7], 8
	s_lshl_b64 s[24:25], s[24:25], 3
	v_lshlrev_b32_e32 v15, 3, v11
	v_lshlrev_b64 v[3:4], 3, v[8:9]
	v_add_nc_u32_e32 v21, 0x800, v7
	v_mov_b32_e32 v7, v2
	s_add_u32 s6, s24, s6
	s_addc_u32 s7, s25, s7
	v_mov_b32_e32 v8, 0
	v_add_co_u32 v5, vcc_lo, v3, s30
	v_lshlrev_b64 v[2:3], 3, v[6:7]
	v_add_co_ci_u32_e64 v4, null, s31, v4, vcc_lo
	v_add_co_u32 v5, vcc_lo, v5, v14
	v_mov_b32_e32 v6, 0
	v_add_co_ci_u32_e64 v4, null, 0, v4, vcc_lo
	v_add_co_u32 v2, vcc_lo, s6, v2
	v_add_co_ci_u32_e64 v3, null, s7, v3, vcc_lo
	s_waitcnt lgkmcnt(0)
	v_add_co_u32 v10, vcc_lo, s26, v5
	v_add_co_ci_u32_e64 v11, null, s27, v4, vcc_lo
	v_add_co_u32 v12, vcc_lo, v2, v15
	v_add_co_ci_u32_e64 v13, null, 0, v3, vcc_lo
	v_mov_b32_e32 v2, 0
	v_add_co_u32 v12, vcc_lo, s20, v12
	v_mov_b32_e32 v4, 0
	v_lshl_or_b32 v20, v19, 8, v15
	v_lshlrev_b32_e32 v22, 3, v0
	v_lshl_add_u32 v23, v1, 6, 0x800
	v_mov_b32_e32 v3, 0
	v_mov_b32_e32 v5, 0
	;; [unrolled: 1-line block ×4, first 2 shown]
	v_add_co_ci_u32_e64 v13, null, s21, v13, vcc_lo
	s_lshl_b64 s[6:7], s[22:23], 6
	s_mov_b64 s[20:21], 0
	s_branch .LBB19_3
.LBB19_2:                               ;   in Loop: Header=BB19_3 Depth=1
	s_or_b32 exec_lo, exec_lo, s22
	s_waitcnt vmcnt(0) lgkmcnt(0)
	ds_write_b64 v21, v[16:17]
	s_waitcnt lgkmcnt(0)
	s_barrier
	buffer_gl0_inv
	ds_read_b128 v[14:17], v23
	ds_read2_b64 v[24:27], v22 offset1:16
	ds_read_b128 v[28:31], v23 offset:1024
	ds_read_b128 v[32:35], v23 offset:16
	ds_read2_b64 v[36:39], v22 offset0:32 offset1:48
	ds_read_b128 v[40:43], v23 offset:1040
	s_add_u32 s20, s20, 8
	s_addc_u32 s21, s21, 0
	v_add_co_u32 v10, vcc_lo, v10, 64
	v_cmp_lt_i64_e64 s22, s[20:21], s[16:17]
	v_add_co_ci_u32_e64 v11, null, 0, v11, vcc_lo
	v_add_co_u32 v12, vcc_lo, v12, s6
	v_add_co_ci_u32_e64 v13, null, s7, v13, vcc_lo
	s_and_b32 vcc_lo, exec_lo, s22
	s_waitcnt lgkmcnt(4)
	v_fma_f64 v[8:9], v[24:25], v[14:15], v[8:9]
	v_fma_f64 v[6:7], v[26:27], v[14:15], v[6:7]
	s_waitcnt lgkmcnt(3)
	v_fma_f64 v[14:15], v[24:25], v[28:29], v[4:5]
	v_fma_f64 v[24:25], v[26:27], v[28:29], v[2:3]
	ds_read2_b64 v[2:5], v22 offset0:64 offset1:80
	s_waitcnt lgkmcnt(2)
	v_fma_f64 v[26:27], v[36:37], v[16:17], v[8:9]
	v_fma_f64 v[16:17], v[38:39], v[16:17], v[6:7]
	;; [unrolled: 1-line block ×4, first 2 shown]
	ds_read2_b64 v[6:9], v22 offset0:96 offset1:112
	s_waitcnt lgkmcnt(1)
	v_fma_f64 v[26:27], v[2:3], v[32:33], v[26:27]
	v_fma_f64 v[28:29], v[4:5], v[32:33], v[16:17]
	;; [unrolled: 1-line block ×4, first 2 shown]
	ds_read_b128 v[2:5], v23 offset:32
	ds_read2_b64 v[14:17], v22 offset0:128 offset1:144
	s_waitcnt lgkmcnt(2)
	v_fma_f64 v[36:37], v[6:7], v[34:35], v[26:27]
	v_fma_f64 v[38:39], v[8:9], v[34:35], v[28:29]
	;; [unrolled: 1-line block ×4, first 2 shown]
	ds_read_b128 v[6:9], v23 offset:1056
	ds_read_b128 v[24:27], v23 offset:48
	ds_read2_b64 v[28:31], v22 offset0:160 offset1:176
	ds_read_b128 v[32:35], v23 offset:1072
	s_waitcnt lgkmcnt(4)
	v_fma_f64 v[36:37], v[14:15], v[2:3], v[36:37]
	v_fma_f64 v[2:3], v[16:17], v[2:3], v[38:39]
	s_waitcnt lgkmcnt(3)
	v_fma_f64 v[38:39], v[14:15], v[6:7], v[40:41]
	v_fma_f64 v[6:7], v[16:17], v[6:7], v[42:43]
	ds_read2_b64 v[14:17], v22 offset0:192 offset1:208
	s_waitcnt lgkmcnt(2)
	v_fma_f64 v[36:37], v[28:29], v[4:5], v[36:37]
	v_fma_f64 v[2:3], v[30:31], v[4:5], v[2:3]
	;; [unrolled: 1-line block ×4, first 2 shown]
	ds_read2_b64 v[28:31], v22 offset0:224 offset1:240
	s_waitcnt lgkmcnt(0)
	s_barrier
	buffer_gl0_inv
	v_fma_f64 v[8:9], v[14:15], v[24:25], v[36:37]
	v_fma_f64 v[2:3], v[16:17], v[24:25], v[2:3]
	;; [unrolled: 1-line block ×8, first 2 shown]
	s_cbranch_vccz .LBB19_8
.LBB19_3:                               ; =>This Inner Loop Header: Depth=1
	v_add_co_u32 v14, s22, v19, s20
	v_add_co_ci_u32_e64 v15, null, 0, s21, s22
	v_cmp_gt_i64_e32 vcc_lo, s[16:17], v[14:15]
	v_mov_b32_e32 v14, 0
	v_mov_b32_e32 v15, 0
	s_and_b32 s23, s0, vcc_lo
	s_and_saveexec_b32 s22, s23
	s_cbranch_execz .LBB19_5
; %bb.4:                                ;   in Loop: Header=BB19_3 Depth=1
	flat_load_dwordx2 v[14:15], v[12:13]
.LBB19_5:                               ;   in Loop: Header=BB19_3 Depth=1
	s_or_b32 exec_lo, exec_lo, s22
	v_add_co_u32 v16, s22, v18, s20
	v_add_co_ci_u32_e64 v17, null, 0, s21, s22
	s_waitcnt vmcnt(0) lgkmcnt(0)
	ds_write_b64 v20, v[14:15]
	v_cmp_gt_i64_e32 vcc_lo, s[16:17], v[16:17]
	v_mov_b32_e32 v16, 0
	v_mov_b32_e32 v17, 0
	s_and_b32 s23, vcc_lo, s1
	s_and_saveexec_b32 s22, s23
	s_cbranch_execz .LBB19_2
; %bb.6:                                ;   in Loop: Header=BB19_3 Depth=1
	flat_load_dwordx2 v[16:17], v[10:11]
	s_branch .LBB19_2
.LBB19_7:
	v_mov_b32_e32 v8, 0
	v_mov_b32_e32 v6, 0
	;; [unrolled: 1-line block ×8, first 2 shown]
.LBB19_8:
	s_load_dwordx2 s[0:1], s[4:5], 0x80
	v_cmp_neq_f64_e64 s6, s[40:41], 0
	v_add_co_u32 v10, s4, s28, v1
	v_add_co_ci_u32_e64 v11, null, s29, 0, s4
	s_waitcnt lgkmcnt(0)
	s_lshl_b64 s[4:5], s[0:1], 3
	v_cmp_gt_i64_e64 s0, s[14:15], v[10:11]
	s_add_u32 s4, s2, s4
	s_addc_u32 s3, s3, s5
	s_and_b32 vcc_lo, exec_lo, s6
	s_cbranch_vccnz .LBB19_21
; %bb.9:
	s_and_saveexec_b32 s5, s0
	s_cbranch_execz .LBB19_19
; %bb.10:
	v_mul_lo_u32 v1, v11, s50
	v_mul_lo_u32 v14, v10, s51
	v_mad_u64_u32 v[12:13], null, v10, s50, 0
	v_add3_u32 v13, v13, v14, v1
	v_add_co_u32 v14, s1, s10, v0
	v_add_co_ci_u32_e64 v15, null, s11, 0, s1
	v_lshlrev_b64 v[16:17], 3, v[12:13]
	v_cmp_gt_i64_e32 vcc_lo, s[12:13], v[14:15]
	v_lshlrev_b64 v[12:13], 3, v[14:15]
	v_add_co_u32 v1, s1, s4, v16
	v_add_co_ci_u32_e64 v16, null, s3, v17, s1
	s_and_saveexec_b32 s2, vcc_lo
	s_cbranch_execz .LBB19_12
; %bb.11:
	v_mul_f64 v[17:18], s[18:19], v[8:9]
	v_add_co_u32 v19, s1, v1, v12
	v_add_co_ci_u32_e64 v20, null, v16, v13, s1
	flat_store_dwordx2 v[19:20], v[17:18]
.LBB19_12:
	s_or_b32 exec_lo, exec_lo, s2
	v_add_co_u32 v14, s1, v14, 16
	v_add_co_ci_u32_e64 v15, null, 0, v15, s1
	v_cmp_gt_i64_e64 s1, s[12:13], v[14:15]
	s_and_saveexec_b32 s6, s1
	s_cbranch_execz .LBB19_14
; %bb.13:
	v_mul_f64 v[14:15], s[18:19], v[6:7]
	v_add_co_u32 v17, s2, v1, v12
	v_add_co_ci_u32_e64 v18, null, v16, v13, s2
	flat_store_dwordx2 v[17:18], v[14:15] offset:128
.LBB19_14:
	s_or_b32 exec_lo, exec_lo, s6
	v_add_co_u32 v14, s2, v10, 16
	v_add_co_ci_u32_e64 v15, null, 0, v11, s2
	v_cmp_gt_i64_e64 s2, s[14:15], v[14:15]
	s_and_b32 exec_lo, exec_lo, s2
	s_cbranch_execz .LBB19_19
; %bb.15:
	s_lshl_b64 s[6:7], s[50:51], 7
	v_add_co_u32 v1, s2, v1, s6
	v_add_co_ci_u32_e64 v14, null, s7, v16, s2
	v_add_co_u32 v12, s2, v1, v12
	v_add_co_ci_u32_e64 v13, null, v14, v13, s2
	s_and_saveexec_b32 s2, vcc_lo
	s_cbranch_execz .LBB19_17
; %bb.16:
	v_mul_f64 v[14:15], s[18:19], v[4:5]
	flat_store_dwordx2 v[12:13], v[14:15]
.LBB19_17:
	s_or_b32 exec_lo, exec_lo, s2
	s_and_b32 exec_lo, exec_lo, s1
	s_cbranch_execz .LBB19_19
; %bb.18:
	v_mul_f64 v[14:15], s[18:19], v[2:3]
	flat_store_dwordx2 v[12:13], v[14:15] offset:128
.LBB19_19:
	s_or_b32 exec_lo, exec_lo, s5
	s_cbranch_execz .LBB19_22
.LBB19_20:
	s_endpgm
.LBB19_21:
.LBB19_22:
	s_and_saveexec_b32 s1, s0
	s_cbranch_execz .LBB19_20
; %bb.23:
	v_mul_lo_u32 v1, v11, s44
	v_mul_lo_u32 v12, v10, s45
	v_mad_u64_u32 v[14:15], null, v10, s44, 0
	v_mul_lo_u32 v18, v11, s50
	v_mul_lo_u32 v19, v10, s51
	v_mad_u64_u32 v[16:17], null, v10, s50, 0
	s_lshl_b64 s[0:1], s[46:47], 3
	v_add3_u32 v15, v15, v12, v1
	v_add_co_u32 v12, s2, s10, v0
	v_add_co_ci_u32_e64 v13, null, s11, 0, s2
	v_add3_u32 v17, v17, v19, v18
	v_lshlrev_b64 v[0:1], 3, v[14:15]
	s_add_u32 s0, s8, s0
	s_addc_u32 s1, s9, s1
	v_cmp_gt_i64_e32 vcc_lo, s[12:13], v[12:13]
	v_lshlrev_b64 v[16:17], 3, v[16:17]
	v_add_co_u32 v14, s0, s0, v0
	v_add_co_ci_u32_e64 v15, null, s1, v1, s0
	v_add_co_u32 v16, s0, s4, v16
	v_lshlrev_b64 v[0:1], 3, v[12:13]
	v_add_co_ci_u32_e64 v17, null, s3, v17, s0
	s_and_saveexec_b32 s1, vcc_lo
	s_cbranch_execz .LBB19_25
; %bb.24:
	v_add_co_u32 v18, s0, v14, v0
	v_add_co_ci_u32_e64 v19, null, v15, v1, s0
	flat_load_dwordx2 v[18:19], v[18:19]
	s_waitcnt vmcnt(0) lgkmcnt(0)
	v_mul_f64 v[18:19], s[40:41], v[18:19]
	v_fma_f64 v[8:9], s[18:19], v[8:9], v[18:19]
	v_add_co_u32 v18, s0, v16, v0
	v_add_co_ci_u32_e64 v19, null, v17, v1, s0
	flat_store_dwordx2 v[18:19], v[8:9]
.LBB19_25:
	s_or_b32 exec_lo, exec_lo, s1
	v_add_co_u32 v8, s0, v12, 16
	v_add_co_ci_u32_e64 v9, null, 0, v13, s0
	v_cmp_gt_i64_e64 s0, s[12:13], v[8:9]
	s_and_saveexec_b32 s2, s0
	s_cbranch_execz .LBB19_27
; %bb.26:
	v_add_co_u32 v8, s1, v14, v0
	v_add_co_ci_u32_e64 v9, null, v15, v1, s1
	flat_load_dwordx2 v[8:9], v[8:9] offset:128
	s_waitcnt vmcnt(0) lgkmcnt(0)
	v_mul_f64 v[8:9], s[40:41], v[8:9]
	v_fma_f64 v[6:7], s[18:19], v[6:7], v[8:9]
	v_add_co_u32 v8, s1, v16, v0
	v_add_co_ci_u32_e64 v9, null, v17, v1, s1
	flat_store_dwordx2 v[8:9], v[6:7] offset:128
.LBB19_27:
	s_or_b32 exec_lo, exec_lo, s2
	v_add_co_u32 v6, s1, v10, 16
	v_add_co_ci_u32_e64 v7, null, 0, v11, s1
	v_cmp_gt_i64_e64 s1, s[14:15], v[6:7]
	s_and_b32 exec_lo, exec_lo, s1
	s_cbranch_execz .LBB19_20
; %bb.28:
	s_lshl_b64 s[2:3], s[44:45], 7
	v_add_co_u32 v6, s1, v14, s2
	v_add_co_ci_u32_e64 v7, null, s3, v15, s1
	s_lshl_b64 s[2:3], s[50:51], 7
	v_add_co_u32 v8, s1, v16, s2
	v_add_co_ci_u32_e64 v9, null, s3, v17, s1
	v_add_co_u32 v6, s1, v6, v0
	v_add_co_ci_u32_e64 v7, null, v7, v1, s1
	;; [unrolled: 2-line block ×3, first 2 shown]
	s_and_saveexec_b32 s1, vcc_lo
	s_cbranch_execz .LBB19_30
; %bb.29:
	flat_load_dwordx2 v[8:9], v[6:7]
	s_waitcnt vmcnt(0) lgkmcnt(0)
	v_mul_f64 v[8:9], s[40:41], v[8:9]
	v_fma_f64 v[4:5], s[18:19], v[4:5], v[8:9]
	flat_store_dwordx2 v[0:1], v[4:5]
.LBB19_30:
	s_or_b32 exec_lo, exec_lo, s1
	s_and_b32 exec_lo, exec_lo, s0
	s_cbranch_execz .LBB19_20
; %bb.31:
	flat_load_dwordx2 v[4:5], v[6:7] offset:128
	s_waitcnt vmcnt(0) lgkmcnt(0)
	v_mul_f64 v[4:5], s[40:41], v[4:5]
	v_fma_f64 v[2:3], s[18:19], v[2:3], v[4:5]
	flat_store_dwordx2 v[0:1], v[2:3] offset:128
	s_endpgm
	.section	.rodata,"a",@progbits
	.p2align	6, 0x0
	.amdhsa_kernel _ZN12_GLOBAL__N_135rocblas_gemm_batched_general_kernelIdLi16ELi16ELi32ELi32ELi8ELi32ELi8ELi8ELi32ELc78ELc78EKPKdS3_KPdEEvlllT_PT11_llS8_llS6_PT12_llPT13_lli
		.amdhsa_group_segment_fixed_size 4096
		.amdhsa_private_segment_fixed_size 0
		.amdhsa_kernarg_size 140
		.amdhsa_user_sgpr_count 6
		.amdhsa_user_sgpr_private_segment_buffer 1
		.amdhsa_user_sgpr_dispatch_ptr 0
		.amdhsa_user_sgpr_queue_ptr 0
		.amdhsa_user_sgpr_kernarg_segment_ptr 1
		.amdhsa_user_sgpr_dispatch_id 0
		.amdhsa_user_sgpr_flat_scratch_init 0
		.amdhsa_user_sgpr_private_segment_size 0
		.amdhsa_wavefront_size32 1
		.amdhsa_uses_dynamic_stack 0
		.amdhsa_system_sgpr_private_segment_wavefront_offset 0
		.amdhsa_system_sgpr_workgroup_id_x 1
		.amdhsa_system_sgpr_workgroup_id_y 1
		.amdhsa_system_sgpr_workgroup_id_z 1
		.amdhsa_system_sgpr_workgroup_info 0
		.amdhsa_system_vgpr_workitem_id 1
		.amdhsa_next_free_vgpr 44
		.amdhsa_next_free_sgpr 52
		.amdhsa_reserve_vcc 1
		.amdhsa_reserve_flat_scratch 0
		.amdhsa_float_round_mode_32 0
		.amdhsa_float_round_mode_16_64 0
		.amdhsa_float_denorm_mode_32 3
		.amdhsa_float_denorm_mode_16_64 3
		.amdhsa_dx10_clamp 1
		.amdhsa_ieee_mode 1
		.amdhsa_fp16_overflow 0
		.amdhsa_workgroup_processor_mode 1
		.amdhsa_memory_ordered 1
		.amdhsa_forward_progress 1
		.amdhsa_shared_vgpr_count 0
		.amdhsa_exception_fp_ieee_invalid_op 0
		.amdhsa_exception_fp_denorm_src 0
		.amdhsa_exception_fp_ieee_div_zero 0
		.amdhsa_exception_fp_ieee_overflow 0
		.amdhsa_exception_fp_ieee_underflow 0
		.amdhsa_exception_fp_ieee_inexact 0
		.amdhsa_exception_int_div_zero 0
	.end_amdhsa_kernel
	.section	.text._ZN12_GLOBAL__N_135rocblas_gemm_batched_general_kernelIdLi16ELi16ELi32ELi32ELi8ELi32ELi8ELi8ELi32ELc78ELc78EKPKdS3_KPdEEvlllT_PT11_llS8_llS6_PT12_llPT13_lli,"axG",@progbits,_ZN12_GLOBAL__N_135rocblas_gemm_batched_general_kernelIdLi16ELi16ELi32ELi32ELi8ELi32ELi8ELi8ELi32ELc78ELc78EKPKdS3_KPdEEvlllT_PT11_llS8_llS6_PT12_llPT13_lli,comdat
.Lfunc_end19:
	.size	_ZN12_GLOBAL__N_135rocblas_gemm_batched_general_kernelIdLi16ELi16ELi32ELi32ELi8ELi32ELi8ELi8ELi32ELc78ELc78EKPKdS3_KPdEEvlllT_PT11_llS8_llS6_PT12_llPT13_lli, .Lfunc_end19-_ZN12_GLOBAL__N_135rocblas_gemm_batched_general_kernelIdLi16ELi16ELi32ELi32ELi8ELi32ELi8ELi8ELi32ELc78ELc78EKPKdS3_KPdEEvlllT_PT11_llS8_llS6_PT12_llPT13_lli
                                        ; -- End function
	.set _ZN12_GLOBAL__N_135rocblas_gemm_batched_general_kernelIdLi16ELi16ELi32ELi32ELi8ELi32ELi8ELi8ELi32ELc78ELc78EKPKdS3_KPdEEvlllT_PT11_llS8_llS6_PT12_llPT13_lli.num_vgpr, 44
	.set _ZN12_GLOBAL__N_135rocblas_gemm_batched_general_kernelIdLi16ELi16ELi32ELi32ELi8ELi32ELi8ELi8ELi32ELc78ELc78EKPKdS3_KPdEEvlllT_PT11_llS8_llS6_PT12_llPT13_lli.num_agpr, 0
	.set _ZN12_GLOBAL__N_135rocblas_gemm_batched_general_kernelIdLi16ELi16ELi32ELi32ELi8ELi32ELi8ELi8ELi32ELc78ELc78EKPKdS3_KPdEEvlllT_PT11_llS8_llS6_PT12_llPT13_lli.numbered_sgpr, 52
	.set _ZN12_GLOBAL__N_135rocblas_gemm_batched_general_kernelIdLi16ELi16ELi32ELi32ELi8ELi32ELi8ELi8ELi32ELc78ELc78EKPKdS3_KPdEEvlllT_PT11_llS8_llS6_PT12_llPT13_lli.num_named_barrier, 0
	.set _ZN12_GLOBAL__N_135rocblas_gemm_batched_general_kernelIdLi16ELi16ELi32ELi32ELi8ELi32ELi8ELi8ELi32ELc78ELc78EKPKdS3_KPdEEvlllT_PT11_llS8_llS6_PT12_llPT13_lli.private_seg_size, 0
	.set _ZN12_GLOBAL__N_135rocblas_gemm_batched_general_kernelIdLi16ELi16ELi32ELi32ELi8ELi32ELi8ELi8ELi32ELc78ELc78EKPKdS3_KPdEEvlllT_PT11_llS8_llS6_PT12_llPT13_lli.uses_vcc, 1
	.set _ZN12_GLOBAL__N_135rocblas_gemm_batched_general_kernelIdLi16ELi16ELi32ELi32ELi8ELi32ELi8ELi8ELi32ELc78ELc78EKPKdS3_KPdEEvlllT_PT11_llS8_llS6_PT12_llPT13_lli.uses_flat_scratch, 0
	.set _ZN12_GLOBAL__N_135rocblas_gemm_batched_general_kernelIdLi16ELi16ELi32ELi32ELi8ELi32ELi8ELi8ELi32ELc78ELc78EKPKdS3_KPdEEvlllT_PT11_llS8_llS6_PT12_llPT13_lli.has_dyn_sized_stack, 0
	.set _ZN12_GLOBAL__N_135rocblas_gemm_batched_general_kernelIdLi16ELi16ELi32ELi32ELi8ELi32ELi8ELi8ELi32ELc78ELc78EKPKdS3_KPdEEvlllT_PT11_llS8_llS6_PT12_llPT13_lli.has_recursion, 0
	.set _ZN12_GLOBAL__N_135rocblas_gemm_batched_general_kernelIdLi16ELi16ELi32ELi32ELi8ELi32ELi8ELi8ELi32ELc78ELc78EKPKdS3_KPdEEvlllT_PT11_llS8_llS6_PT12_llPT13_lli.has_indirect_call, 0
	.section	.AMDGPU.csdata,"",@progbits
; Kernel info:
; codeLenInByte = 2092
; TotalNumSgprs: 54
; NumVgprs: 44
; ScratchSize: 0
; MemoryBound: 0
; FloatMode: 240
; IeeeMode: 1
; LDSByteSize: 4096 bytes/workgroup (compile time only)
; SGPRBlocks: 0
; VGPRBlocks: 5
; NumSGPRsForWavesPerEU: 54
; NumVGPRsForWavesPerEU: 44
; Occupancy: 16
; WaveLimiterHint : 1
; COMPUTE_PGM_RSRC2:SCRATCH_EN: 0
; COMPUTE_PGM_RSRC2:USER_SGPR: 6
; COMPUTE_PGM_RSRC2:TRAP_HANDLER: 0
; COMPUTE_PGM_RSRC2:TGID_X_EN: 1
; COMPUTE_PGM_RSRC2:TGID_Y_EN: 1
; COMPUTE_PGM_RSRC2:TGID_Z_EN: 1
; COMPUTE_PGM_RSRC2:TIDIG_COMP_CNT: 1
	.section	.text._ZN12_GLOBAL__N_135rocblas_gemm_batched_general_kernelIdLi16ELi16ELi32ELi32ELi8ELi32ELi8ELi8ELi32ELc84ELc78EKPKdS3_KPdEEvlllT_PT11_llS8_llS6_PT12_llPT13_lli,"axG",@progbits,_ZN12_GLOBAL__N_135rocblas_gemm_batched_general_kernelIdLi16ELi16ELi32ELi32ELi8ELi32ELi8ELi8ELi32ELc84ELc78EKPKdS3_KPdEEvlllT_PT11_llS8_llS6_PT12_llPT13_lli,comdat
	.globl	_ZN12_GLOBAL__N_135rocblas_gemm_batched_general_kernelIdLi16ELi16ELi32ELi32ELi8ELi32ELi8ELi8ELi32ELc84ELc78EKPKdS3_KPdEEvlllT_PT11_llS8_llS6_PT12_llPT13_lli ; -- Begin function _ZN12_GLOBAL__N_135rocblas_gemm_batched_general_kernelIdLi16ELi16ELi32ELi32ELi8ELi32ELi8ELi8ELi32ELc84ELc78EKPKdS3_KPdEEvlllT_PT11_llS8_llS6_PT12_llPT13_lli
	.p2align	8
	.type	_ZN12_GLOBAL__N_135rocblas_gemm_batched_general_kernelIdLi16ELi16ELi32ELi32ELi8ELi32ELi8ELi8ELi32ELc84ELc78EKPKdS3_KPdEEvlllT_PT11_llS8_llS6_PT12_llPT13_lli,@function
_ZN12_GLOBAL__N_135rocblas_gemm_batched_general_kernelIdLi16ELi16ELi32ELi32ELi8ELi32ELi8ELi8ELi32ELc84ELc78EKPKdS3_KPdEEvlllT_PT11_llS8_llS6_PT12_llPT13_lli: ; @_ZN12_GLOBAL__N_135rocblas_gemm_batched_general_kernelIdLi16ELi16ELi32ELi32ELi8ELi32ELi8ELi8ELi32ELc84ELc78EKPKdS3_KPdEEvlllT_PT11_llS8_llS6_PT12_llPT13_lli
; %bb.0:
	s_clause 0x1
	s_load_dwordx16 s[36:51], s[4:5], 0x40
	s_load_dwordx16 s[12:27], s[4:5], 0x0
	s_mov_b32 s9, 0
	s_mov_b32 s10, s7
	s_lshl_b64 s[0:1], s[8:9], 3
	s_waitcnt lgkmcnt(0)
	s_add_u32 s2, s42, s0
	s_addc_u32 s3, s43, s1
	s_add_u32 s28, s48, s0
	s_addc_u32 s29, s49, s1
	s_load_dwordx2 s[8:9], s[2:3], 0x0
	s_load_dwordx2 s[2:3], s[28:29], 0x0
	v_cmp_lt_i64_e64 s28, s[16:17], 1
	s_ashr_i32 s7, s6, 31
	s_ashr_i32 s11, s10, 31
	s_lshl_b64 s[6:7], s[6:7], 5
	s_lshl_b64 s[10:11], s[10:11], 5
	s_and_b32 vcc_lo, exec_lo, s28
	s_cbranch_vccnz .LBB20_7
; %bb.1:
	v_lshl_add_u32 v2, v1, 4, v0
	s_add_u32 s26, s26, s0
	s_addc_u32 s27, s27, s1
	s_add_u32 s0, s20, s0
	v_mov_b32_e32 v3, s7
	v_lshrrev_b32_e32 v7, 3, v2
	v_and_b32_e32 v6, 31, v2
	v_lshrrev_b32_e32 v19, 5, v2
	v_and_b32_e32 v18, 7, v0
	s_addc_u32 s1, s21, s1
	v_add_co_u32 v4, s20, v7, s10
	v_or_b32_e32 v2, s6, v6
	v_add_co_ci_u32_e64 v5, null, 0, s11, s20
	s_load_dwordx2 s[20:21], s[26:27], 0x0
	s_load_dwordx2 s[26:27], s[0:1], 0x0
	v_mul_lo_u32 v8, s37, v4
	v_cmp_gt_i64_e64 s0, s[12:13], v[2:3]
	v_mul_lo_u32 v9, s36, v5
	v_mad_u64_u32 v[2:3], null, s36, v4, 0
	v_add_co_u32 v11, s1, s6, v6
	v_lshlrev_b32_e32 v10, 3, v18
	v_add_co_ci_u32_e64 v12, null, s7, 0, s1
	v_lshlrev_b32_e32 v13, 3, v6
	v_add3_u32 v3, v3, v9, v8
	v_lshl_or_b32 v14, v7, 6, v10
	v_mul_lo_u32 v8, s23, v11
	v_mul_lo_u32 v9, s22, v12
	v_mad_u64_u32 v[6:7], null, s22, v11, 0
	v_lshlrev_b64 v[2:3], 3, v[2:3]
	s_lshl_b64 s[22:23], s[38:39], 3
	v_cmp_gt_i64_e64 s1, s[14:15], v[4:5]
	v_lshl_or_b32 v20, v19, 8, v13
	v_add_nc_u32_e32 v21, 0x800, v14
	v_lshlrev_b32_e32 v22, 3, v0
	v_add3_u32 v7, v7, v9, v8
	v_add_co_u32 v4, vcc_lo, v2, s22
	v_add_co_ci_u32_e64 v5, null, s23, v3, vcc_lo
	v_lshlrev_b64 v[2:3], 3, v[6:7]
	v_add_co_u32 v4, vcc_lo, v4, v10
	s_lshl_b64 s[22:23], s[24:25], 3
	v_add_co_ci_u32_e64 v5, null, 0, v5, vcc_lo
	v_add_co_u32 v2, vcc_lo, v2, s22
	v_lshlrev_b32_e32 v6, 3, v19
	v_add_co_ci_u32_e64 v3, null, s23, v3, vcc_lo
	s_waitcnt lgkmcnt(0)
	v_add_co_u32 v10, vcc_lo, s20, v4
	v_add_co_ci_u32_e64 v11, null, s21, v5, vcc_lo
	v_add_co_u32 v12, vcc_lo, v2, v6
	v_add_co_ci_u32_e64 v13, null, 0, v3, vcc_lo
	v_mov_b32_e32 v2, 0
	v_add_co_u32 v12, vcc_lo, s26, v12
	v_mov_b32_e32 v4, 0
	v_mov_b32_e32 v6, 0
	;; [unrolled: 1-line block ×3, first 2 shown]
	v_lshl_add_u32 v23, v1, 6, 0x800
	v_mov_b32_e32 v3, 0
	v_mov_b32_e32 v5, 0
	;; [unrolled: 1-line block ×4, first 2 shown]
	v_add_co_ci_u32_e64 v13, null, s27, v13, vcc_lo
	s_mov_b64 s[20:21], 0
	s_branch .LBB20_3
.LBB20_2:                               ;   in Loop: Header=BB20_3 Depth=1
	s_or_b32 exec_lo, exec_lo, s22
	s_waitcnt vmcnt(0) lgkmcnt(0)
	ds_write_b64 v21, v[16:17]
	s_waitcnt lgkmcnt(0)
	s_barrier
	buffer_gl0_inv
	ds_read_b128 v[14:17], v23
	ds_read2_b64 v[24:27], v22 offset1:16
	ds_read_b128 v[28:31], v23 offset:1024
	ds_read_b128 v[32:35], v23 offset:16
	ds_read2_b64 v[36:39], v22 offset0:32 offset1:48
	ds_read_b128 v[40:43], v23 offset:1040
	s_add_u32 s20, s20, 8
	s_addc_u32 s21, s21, 0
	v_add_co_u32 v10, vcc_lo, v10, 64
	v_cmp_lt_i64_e64 s22, s[20:21], s[16:17]
	v_add_co_ci_u32_e64 v11, null, 0, v11, vcc_lo
	v_add_co_u32 v12, vcc_lo, v12, 64
	v_add_co_ci_u32_e64 v13, null, 0, v13, vcc_lo
	s_and_b32 vcc_lo, exec_lo, s22
	s_waitcnt lgkmcnt(4)
	v_fma_f64 v[8:9], v[24:25], v[14:15], v[8:9]
	v_fma_f64 v[6:7], v[26:27], v[14:15], v[6:7]
	s_waitcnt lgkmcnt(3)
	v_fma_f64 v[14:15], v[24:25], v[28:29], v[4:5]
	v_fma_f64 v[24:25], v[26:27], v[28:29], v[2:3]
	ds_read2_b64 v[2:5], v22 offset0:64 offset1:80
	s_waitcnt lgkmcnt(2)
	v_fma_f64 v[26:27], v[36:37], v[16:17], v[8:9]
	v_fma_f64 v[16:17], v[38:39], v[16:17], v[6:7]
	;; [unrolled: 1-line block ×4, first 2 shown]
	ds_read2_b64 v[6:9], v22 offset0:96 offset1:112
	s_waitcnt lgkmcnt(1)
	v_fma_f64 v[26:27], v[2:3], v[32:33], v[26:27]
	v_fma_f64 v[28:29], v[4:5], v[32:33], v[16:17]
	;; [unrolled: 1-line block ×4, first 2 shown]
	ds_read_b128 v[2:5], v23 offset:32
	ds_read2_b64 v[14:17], v22 offset0:128 offset1:144
	s_waitcnt lgkmcnt(2)
	v_fma_f64 v[36:37], v[6:7], v[34:35], v[26:27]
	v_fma_f64 v[38:39], v[8:9], v[34:35], v[28:29]
	v_fma_f64 v[40:41], v[6:7], v[42:43], v[30:31]
	v_fma_f64 v[42:43], v[8:9], v[42:43], v[24:25]
	ds_read_b128 v[6:9], v23 offset:1056
	ds_read_b128 v[24:27], v23 offset:48
	ds_read2_b64 v[28:31], v22 offset0:160 offset1:176
	ds_read_b128 v[32:35], v23 offset:1072
	s_waitcnt lgkmcnt(4)
	v_fma_f64 v[36:37], v[14:15], v[2:3], v[36:37]
	v_fma_f64 v[2:3], v[16:17], v[2:3], v[38:39]
	s_waitcnt lgkmcnt(3)
	v_fma_f64 v[38:39], v[14:15], v[6:7], v[40:41]
	v_fma_f64 v[6:7], v[16:17], v[6:7], v[42:43]
	ds_read2_b64 v[14:17], v22 offset0:192 offset1:208
	s_waitcnt lgkmcnt(2)
	v_fma_f64 v[36:37], v[28:29], v[4:5], v[36:37]
	v_fma_f64 v[2:3], v[30:31], v[4:5], v[2:3]
	v_fma_f64 v[4:5], v[28:29], v[8:9], v[38:39]
	v_fma_f64 v[6:7], v[30:31], v[8:9], v[6:7]
	ds_read2_b64 v[28:31], v22 offset0:224 offset1:240
	s_waitcnt lgkmcnt(0)
	s_barrier
	buffer_gl0_inv
	v_fma_f64 v[8:9], v[14:15], v[24:25], v[36:37]
	v_fma_f64 v[2:3], v[16:17], v[24:25], v[2:3]
	;; [unrolled: 1-line block ×8, first 2 shown]
	s_cbranch_vccz .LBB20_8
.LBB20_3:                               ; =>This Inner Loop Header: Depth=1
	v_add_co_u32 v14, s22, v19, s20
	v_add_co_ci_u32_e64 v15, null, 0, s21, s22
	v_cmp_gt_i64_e32 vcc_lo, s[16:17], v[14:15]
	v_mov_b32_e32 v14, 0
	v_mov_b32_e32 v15, 0
	s_and_b32 s23, s0, vcc_lo
	s_and_saveexec_b32 s22, s23
	s_cbranch_execz .LBB20_5
; %bb.4:                                ;   in Loop: Header=BB20_3 Depth=1
	flat_load_dwordx2 v[14:15], v[12:13]
.LBB20_5:                               ;   in Loop: Header=BB20_3 Depth=1
	s_or_b32 exec_lo, exec_lo, s22
	v_add_co_u32 v16, s22, v18, s20
	v_add_co_ci_u32_e64 v17, null, 0, s21, s22
	s_waitcnt vmcnt(0) lgkmcnt(0)
	ds_write_b64 v20, v[14:15]
	v_cmp_gt_i64_e32 vcc_lo, s[16:17], v[16:17]
	v_mov_b32_e32 v16, 0
	v_mov_b32_e32 v17, 0
	s_and_b32 s23, vcc_lo, s1
	s_and_saveexec_b32 s22, s23
	s_cbranch_execz .LBB20_2
; %bb.6:                                ;   in Loop: Header=BB20_3 Depth=1
	flat_load_dwordx2 v[16:17], v[10:11]
	s_branch .LBB20_2
.LBB20_7:
	v_mov_b32_e32 v8, 0
	v_mov_b32_e32 v6, 0
	;; [unrolled: 1-line block ×8, first 2 shown]
.LBB20_8:
	s_load_dwordx2 s[0:1], s[4:5], 0x80
	v_cmp_neq_f64_e64 s16, s[40:41], 0
	v_add_co_u32 v10, s4, s10, v1
	v_add_co_ci_u32_e64 v11, null, s11, 0, s4
	s_waitcnt lgkmcnt(0)
	s_lshl_b64 s[4:5], s[0:1], 3
	v_cmp_gt_i64_e64 s0, s[14:15], v[10:11]
	s_add_u32 s4, s2, s4
	s_addc_u32 s3, s3, s5
	s_and_b32 vcc_lo, exec_lo, s16
	s_cbranch_vccnz .LBB20_21
; %bb.9:
	s_and_saveexec_b32 s5, s0
	s_cbranch_execz .LBB20_19
; %bb.10:
	v_mul_lo_u32 v1, v11, s50
	v_mul_lo_u32 v14, v10, s51
	v_mad_u64_u32 v[12:13], null, v10, s50, 0
	v_add3_u32 v13, v13, v14, v1
	v_add_co_u32 v14, s1, s6, v0
	v_add_co_ci_u32_e64 v15, null, s7, 0, s1
	v_lshlrev_b64 v[16:17], 3, v[12:13]
	v_cmp_gt_i64_e32 vcc_lo, s[12:13], v[14:15]
	v_lshlrev_b64 v[12:13], 3, v[14:15]
	v_add_co_u32 v1, s1, s4, v16
	v_add_co_ci_u32_e64 v16, null, s3, v17, s1
	s_and_saveexec_b32 s2, vcc_lo
	s_cbranch_execz .LBB20_12
; %bb.11:
	v_mul_f64 v[17:18], s[18:19], v[8:9]
	v_add_co_u32 v19, s1, v1, v12
	v_add_co_ci_u32_e64 v20, null, v16, v13, s1
	flat_store_dwordx2 v[19:20], v[17:18]
.LBB20_12:
	s_or_b32 exec_lo, exec_lo, s2
	v_add_co_u32 v14, s1, v14, 16
	v_add_co_ci_u32_e64 v15, null, 0, v15, s1
	v_cmp_gt_i64_e64 s1, s[12:13], v[14:15]
	s_and_saveexec_b32 s10, s1
	s_cbranch_execz .LBB20_14
; %bb.13:
	v_mul_f64 v[14:15], s[18:19], v[6:7]
	v_add_co_u32 v17, s2, v1, v12
	v_add_co_ci_u32_e64 v18, null, v16, v13, s2
	flat_store_dwordx2 v[17:18], v[14:15] offset:128
.LBB20_14:
	s_or_b32 exec_lo, exec_lo, s10
	v_add_co_u32 v14, s2, v10, 16
	v_add_co_ci_u32_e64 v15, null, 0, v11, s2
	v_cmp_gt_i64_e64 s2, s[14:15], v[14:15]
	s_and_b32 exec_lo, exec_lo, s2
	s_cbranch_execz .LBB20_19
; %bb.15:
	s_lshl_b64 s[10:11], s[50:51], 7
	v_add_co_u32 v1, s2, v1, s10
	v_add_co_ci_u32_e64 v14, null, s11, v16, s2
	v_add_co_u32 v12, s2, v1, v12
	v_add_co_ci_u32_e64 v13, null, v14, v13, s2
	s_and_saveexec_b32 s2, vcc_lo
	s_cbranch_execz .LBB20_17
; %bb.16:
	v_mul_f64 v[14:15], s[18:19], v[4:5]
	flat_store_dwordx2 v[12:13], v[14:15]
.LBB20_17:
	s_or_b32 exec_lo, exec_lo, s2
	s_and_b32 exec_lo, exec_lo, s1
	s_cbranch_execz .LBB20_19
; %bb.18:
	v_mul_f64 v[14:15], s[18:19], v[2:3]
	flat_store_dwordx2 v[12:13], v[14:15] offset:128
.LBB20_19:
	s_or_b32 exec_lo, exec_lo, s5
	s_cbranch_execz .LBB20_22
.LBB20_20:
	s_endpgm
.LBB20_21:
.LBB20_22:
	s_and_saveexec_b32 s1, s0
	s_cbranch_execz .LBB20_20
; %bb.23:
	v_mul_lo_u32 v1, v11, s44
	v_mul_lo_u32 v12, v10, s45
	v_mad_u64_u32 v[14:15], null, v10, s44, 0
	v_mul_lo_u32 v18, v11, s50
	v_mul_lo_u32 v19, v10, s51
	v_mad_u64_u32 v[16:17], null, v10, s50, 0
	s_lshl_b64 s[0:1], s[46:47], 3
	v_add3_u32 v15, v15, v12, v1
	v_add_co_u32 v12, s2, s6, v0
	v_add_co_ci_u32_e64 v13, null, s7, 0, s2
	v_add3_u32 v17, v17, v19, v18
	v_lshlrev_b64 v[0:1], 3, v[14:15]
	s_add_u32 s0, s8, s0
	s_addc_u32 s1, s9, s1
	v_cmp_gt_i64_e32 vcc_lo, s[12:13], v[12:13]
	v_lshlrev_b64 v[16:17], 3, v[16:17]
	v_add_co_u32 v14, s0, s0, v0
	v_add_co_ci_u32_e64 v15, null, s1, v1, s0
	v_add_co_u32 v16, s0, s4, v16
	v_lshlrev_b64 v[0:1], 3, v[12:13]
	v_add_co_ci_u32_e64 v17, null, s3, v17, s0
	s_and_saveexec_b32 s1, vcc_lo
	s_cbranch_execz .LBB20_25
; %bb.24:
	v_add_co_u32 v18, s0, v14, v0
	v_add_co_ci_u32_e64 v19, null, v15, v1, s0
	flat_load_dwordx2 v[18:19], v[18:19]
	s_waitcnt vmcnt(0) lgkmcnt(0)
	v_mul_f64 v[18:19], s[40:41], v[18:19]
	v_fma_f64 v[8:9], s[18:19], v[8:9], v[18:19]
	v_add_co_u32 v18, s0, v16, v0
	v_add_co_ci_u32_e64 v19, null, v17, v1, s0
	flat_store_dwordx2 v[18:19], v[8:9]
.LBB20_25:
	s_or_b32 exec_lo, exec_lo, s1
	v_add_co_u32 v8, s0, v12, 16
	v_add_co_ci_u32_e64 v9, null, 0, v13, s0
	v_cmp_gt_i64_e64 s0, s[12:13], v[8:9]
	s_and_saveexec_b32 s2, s0
	s_cbranch_execz .LBB20_27
; %bb.26:
	v_add_co_u32 v8, s1, v14, v0
	v_add_co_ci_u32_e64 v9, null, v15, v1, s1
	flat_load_dwordx2 v[8:9], v[8:9] offset:128
	s_waitcnt vmcnt(0) lgkmcnt(0)
	v_mul_f64 v[8:9], s[40:41], v[8:9]
	v_fma_f64 v[6:7], s[18:19], v[6:7], v[8:9]
	v_add_co_u32 v8, s1, v16, v0
	v_add_co_ci_u32_e64 v9, null, v17, v1, s1
	flat_store_dwordx2 v[8:9], v[6:7] offset:128
.LBB20_27:
	s_or_b32 exec_lo, exec_lo, s2
	v_add_co_u32 v6, s1, v10, 16
	v_add_co_ci_u32_e64 v7, null, 0, v11, s1
	v_cmp_gt_i64_e64 s1, s[14:15], v[6:7]
	s_and_b32 exec_lo, exec_lo, s1
	s_cbranch_execz .LBB20_20
; %bb.28:
	s_lshl_b64 s[2:3], s[44:45], 7
	v_add_co_u32 v6, s1, v14, s2
	v_add_co_ci_u32_e64 v7, null, s3, v15, s1
	s_lshl_b64 s[2:3], s[50:51], 7
	v_add_co_u32 v8, s1, v16, s2
	v_add_co_ci_u32_e64 v9, null, s3, v17, s1
	v_add_co_u32 v6, s1, v6, v0
	v_add_co_ci_u32_e64 v7, null, v7, v1, s1
	;; [unrolled: 2-line block ×3, first 2 shown]
	s_and_saveexec_b32 s1, vcc_lo
	s_cbranch_execz .LBB20_30
; %bb.29:
	flat_load_dwordx2 v[8:9], v[6:7]
	s_waitcnt vmcnt(0) lgkmcnt(0)
	v_mul_f64 v[8:9], s[40:41], v[8:9]
	v_fma_f64 v[4:5], s[18:19], v[4:5], v[8:9]
	flat_store_dwordx2 v[0:1], v[4:5]
.LBB20_30:
	s_or_b32 exec_lo, exec_lo, s1
	s_and_b32 exec_lo, exec_lo, s0
	s_cbranch_execz .LBB20_20
; %bb.31:
	flat_load_dwordx2 v[4:5], v[6:7] offset:128
	s_waitcnt vmcnt(0) lgkmcnt(0)
	v_mul_f64 v[4:5], s[40:41], v[4:5]
	v_fma_f64 v[2:3], s[18:19], v[2:3], v[4:5]
	flat_store_dwordx2 v[0:1], v[2:3] offset:128
	s_endpgm
	.section	.rodata,"a",@progbits
	.p2align	6, 0x0
	.amdhsa_kernel _ZN12_GLOBAL__N_135rocblas_gemm_batched_general_kernelIdLi16ELi16ELi32ELi32ELi8ELi32ELi8ELi8ELi32ELc84ELc78EKPKdS3_KPdEEvlllT_PT11_llS8_llS6_PT12_llPT13_lli
		.amdhsa_group_segment_fixed_size 4096
		.amdhsa_private_segment_fixed_size 0
		.amdhsa_kernarg_size 140
		.amdhsa_user_sgpr_count 6
		.amdhsa_user_sgpr_private_segment_buffer 1
		.amdhsa_user_sgpr_dispatch_ptr 0
		.amdhsa_user_sgpr_queue_ptr 0
		.amdhsa_user_sgpr_kernarg_segment_ptr 1
		.amdhsa_user_sgpr_dispatch_id 0
		.amdhsa_user_sgpr_flat_scratch_init 0
		.amdhsa_user_sgpr_private_segment_size 0
		.amdhsa_wavefront_size32 1
		.amdhsa_uses_dynamic_stack 0
		.amdhsa_system_sgpr_private_segment_wavefront_offset 0
		.amdhsa_system_sgpr_workgroup_id_x 1
		.amdhsa_system_sgpr_workgroup_id_y 1
		.amdhsa_system_sgpr_workgroup_id_z 1
		.amdhsa_system_sgpr_workgroup_info 0
		.amdhsa_system_vgpr_workitem_id 1
		.amdhsa_next_free_vgpr 44
		.amdhsa_next_free_sgpr 52
		.amdhsa_reserve_vcc 1
		.amdhsa_reserve_flat_scratch 0
		.amdhsa_float_round_mode_32 0
		.amdhsa_float_round_mode_16_64 0
		.amdhsa_float_denorm_mode_32 3
		.amdhsa_float_denorm_mode_16_64 3
		.amdhsa_dx10_clamp 1
		.amdhsa_ieee_mode 1
		.amdhsa_fp16_overflow 0
		.amdhsa_workgroup_processor_mode 1
		.amdhsa_memory_ordered 1
		.amdhsa_forward_progress 1
		.amdhsa_shared_vgpr_count 0
		.amdhsa_exception_fp_ieee_invalid_op 0
		.amdhsa_exception_fp_denorm_src 0
		.amdhsa_exception_fp_ieee_div_zero 0
		.amdhsa_exception_fp_ieee_overflow 0
		.amdhsa_exception_fp_ieee_underflow 0
		.amdhsa_exception_fp_ieee_inexact 0
		.amdhsa_exception_int_div_zero 0
	.end_amdhsa_kernel
	.section	.text._ZN12_GLOBAL__N_135rocblas_gemm_batched_general_kernelIdLi16ELi16ELi32ELi32ELi8ELi32ELi8ELi8ELi32ELc84ELc78EKPKdS3_KPdEEvlllT_PT11_llS8_llS6_PT12_llPT13_lli,"axG",@progbits,_ZN12_GLOBAL__N_135rocblas_gemm_batched_general_kernelIdLi16ELi16ELi32ELi32ELi8ELi32ELi8ELi8ELi32ELc84ELc78EKPKdS3_KPdEEvlllT_PT11_llS8_llS6_PT12_llPT13_lli,comdat
.Lfunc_end20:
	.size	_ZN12_GLOBAL__N_135rocblas_gemm_batched_general_kernelIdLi16ELi16ELi32ELi32ELi8ELi32ELi8ELi8ELi32ELc84ELc78EKPKdS3_KPdEEvlllT_PT11_llS8_llS6_PT12_llPT13_lli, .Lfunc_end20-_ZN12_GLOBAL__N_135rocblas_gemm_batched_general_kernelIdLi16ELi16ELi32ELi32ELi8ELi32ELi8ELi8ELi32ELc84ELc78EKPKdS3_KPdEEvlllT_PT11_llS8_llS6_PT12_llPT13_lli
                                        ; -- End function
	.set _ZN12_GLOBAL__N_135rocblas_gemm_batched_general_kernelIdLi16ELi16ELi32ELi32ELi8ELi32ELi8ELi8ELi32ELc84ELc78EKPKdS3_KPdEEvlllT_PT11_llS8_llS6_PT12_llPT13_lli.num_vgpr, 44
	.set _ZN12_GLOBAL__N_135rocblas_gemm_batched_general_kernelIdLi16ELi16ELi32ELi32ELi8ELi32ELi8ELi8ELi32ELc84ELc78EKPKdS3_KPdEEvlllT_PT11_llS8_llS6_PT12_llPT13_lli.num_agpr, 0
	.set _ZN12_GLOBAL__N_135rocblas_gemm_batched_general_kernelIdLi16ELi16ELi32ELi32ELi8ELi32ELi8ELi8ELi32ELc84ELc78EKPKdS3_KPdEEvlllT_PT11_llS8_llS6_PT12_llPT13_lli.numbered_sgpr, 52
	.set _ZN12_GLOBAL__N_135rocblas_gemm_batched_general_kernelIdLi16ELi16ELi32ELi32ELi8ELi32ELi8ELi8ELi32ELc84ELc78EKPKdS3_KPdEEvlllT_PT11_llS8_llS6_PT12_llPT13_lli.num_named_barrier, 0
	.set _ZN12_GLOBAL__N_135rocblas_gemm_batched_general_kernelIdLi16ELi16ELi32ELi32ELi8ELi32ELi8ELi8ELi32ELc84ELc78EKPKdS3_KPdEEvlllT_PT11_llS8_llS6_PT12_llPT13_lli.private_seg_size, 0
	.set _ZN12_GLOBAL__N_135rocblas_gemm_batched_general_kernelIdLi16ELi16ELi32ELi32ELi8ELi32ELi8ELi8ELi32ELc84ELc78EKPKdS3_KPdEEvlllT_PT11_llS8_llS6_PT12_llPT13_lli.uses_vcc, 1
	.set _ZN12_GLOBAL__N_135rocblas_gemm_batched_general_kernelIdLi16ELi16ELi32ELi32ELi8ELi32ELi8ELi8ELi32ELc84ELc78EKPKdS3_KPdEEvlllT_PT11_llS8_llS6_PT12_llPT13_lli.uses_flat_scratch, 0
	.set _ZN12_GLOBAL__N_135rocblas_gemm_batched_general_kernelIdLi16ELi16ELi32ELi32ELi8ELi32ELi8ELi8ELi32ELc84ELc78EKPKdS3_KPdEEvlllT_PT11_llS8_llS6_PT12_llPT13_lli.has_dyn_sized_stack, 0
	.set _ZN12_GLOBAL__N_135rocblas_gemm_batched_general_kernelIdLi16ELi16ELi32ELi32ELi8ELi32ELi8ELi8ELi32ELc84ELc78EKPKdS3_KPdEEvlllT_PT11_llS8_llS6_PT12_llPT13_lli.has_recursion, 0
	.set _ZN12_GLOBAL__N_135rocblas_gemm_batched_general_kernelIdLi16ELi16ELi32ELi32ELi8ELi32ELi8ELi8ELi32ELc84ELc78EKPKdS3_KPdEEvlllT_PT11_llS8_llS6_PT12_llPT13_lli.has_indirect_call, 0
	.section	.AMDGPU.csdata,"",@progbits
; Kernel info:
; codeLenInByte = 2104
; TotalNumSgprs: 54
; NumVgprs: 44
; ScratchSize: 0
; MemoryBound: 0
; FloatMode: 240
; IeeeMode: 1
; LDSByteSize: 4096 bytes/workgroup (compile time only)
; SGPRBlocks: 0
; VGPRBlocks: 5
; NumSGPRsForWavesPerEU: 54
; NumVGPRsForWavesPerEU: 44
; Occupancy: 16
; WaveLimiterHint : 1
; COMPUTE_PGM_RSRC2:SCRATCH_EN: 0
; COMPUTE_PGM_RSRC2:USER_SGPR: 6
; COMPUTE_PGM_RSRC2:TRAP_HANDLER: 0
; COMPUTE_PGM_RSRC2:TGID_X_EN: 1
; COMPUTE_PGM_RSRC2:TGID_Y_EN: 1
; COMPUTE_PGM_RSRC2:TGID_Z_EN: 1
; COMPUTE_PGM_RSRC2:TIDIG_COMP_CNT: 1
	.section	.text._ZN12_GLOBAL__N_135rocblas_gemm_batched_general_kernelIdLi16ELi16ELi32ELi32ELi8ELi32ELi8ELi8ELi32ELc78ELc84EKPKdS3_KPdEEvlllT_PT11_llS8_llS6_PT12_llPT13_lli,"axG",@progbits,_ZN12_GLOBAL__N_135rocblas_gemm_batched_general_kernelIdLi16ELi16ELi32ELi32ELi8ELi32ELi8ELi8ELi32ELc78ELc84EKPKdS3_KPdEEvlllT_PT11_llS8_llS6_PT12_llPT13_lli,comdat
	.globl	_ZN12_GLOBAL__N_135rocblas_gemm_batched_general_kernelIdLi16ELi16ELi32ELi32ELi8ELi32ELi8ELi8ELi32ELc78ELc84EKPKdS3_KPdEEvlllT_PT11_llS8_llS6_PT12_llPT13_lli ; -- Begin function _ZN12_GLOBAL__N_135rocblas_gemm_batched_general_kernelIdLi16ELi16ELi32ELi32ELi8ELi32ELi8ELi8ELi32ELc78ELc84EKPKdS3_KPdEEvlllT_PT11_llS8_llS6_PT12_llPT13_lli
	.p2align	8
	.type	_ZN12_GLOBAL__N_135rocblas_gemm_batched_general_kernelIdLi16ELi16ELi32ELi32ELi8ELi32ELi8ELi8ELi32ELc78ELc84EKPKdS3_KPdEEvlllT_PT11_llS8_llS6_PT12_llPT13_lli,@function
_ZN12_GLOBAL__N_135rocblas_gemm_batched_general_kernelIdLi16ELi16ELi32ELi32ELi8ELi32ELi8ELi8ELi32ELc78ELc84EKPKdS3_KPdEEvlllT_PT11_llS8_llS6_PT12_llPT13_lli: ; @_ZN12_GLOBAL__N_135rocblas_gemm_batched_general_kernelIdLi16ELi16ELi32ELi32ELi8ELi32ELi8ELi8ELi32ELc78ELc84EKPKdS3_KPdEEvlllT_PT11_llS8_llS6_PT12_llPT13_lli
; %bb.0:
	s_clause 0x1
	s_load_dwordx16 s[36:51], s[4:5], 0x40
	s_load_dwordx16 s[12:27], s[4:5], 0x0
	s_mov_b32 s9, 0
	s_mov_b32 s30, s7
	s_lshl_b64 s[0:1], s[8:9], 3
	s_waitcnt lgkmcnt(0)
	s_add_u32 s2, s42, s0
	s_addc_u32 s3, s43, s1
	s_add_u32 s10, s48, s0
	s_addc_u32 s11, s49, s1
	s_load_dwordx2 s[8:9], s[2:3], 0x0
	s_load_dwordx2 s[2:3], s[10:11], 0x0
	v_cmp_lt_i64_e64 s28, s[16:17], 1
	s_ashr_i32 s7, s6, 31
	s_ashr_i32 s31, s30, 31
	s_lshl_b64 s[10:11], s[6:7], 5
	s_and_b32 vcc_lo, exec_lo, s28
	s_lshl_b64 s[28:29], s[30:31], 5
	s_cbranch_vccnz .LBB21_7
; %bb.1:
	v_lshl_add_u32 v11, v1, 4, v0
	v_and_b32_e32 v18, 7, v0
	s_add_u32 s26, s26, s0
	s_addc_u32 s27, s27, s1
	s_add_u32 s0, s20, s0
	v_lshrrev_b32_e32 v10, 3, v11
	v_mad_u64_u32 v[2:3], null, s36, v18, 0
	s_addc_u32 s1, s21, s1
	s_load_dwordx2 s[20:21], s[26:27], 0x0
	s_load_dwordx2 s[26:27], s[0:1], 0x0
	v_add_co_u32 v4, s0, v10, s28
	v_lshrrev_b32_e32 v19, 5, v11
	v_lshlrev_b32_e32 v13, 3, v18
	v_add_co_ci_u32_e64 v5, null, 0, s29, s0
	v_mad_u64_u32 v[8:9], null, s37, v18, v[3:4]
	v_lshl_or_b32 v13, v10, 6, v13
	v_mad_u64_u32 v[9:10], null, s22, v19, 0
	v_cmp_gt_i64_e64 s1, s[14:15], v[4:5]
	s_lshl_b64 s[30:31], s[30:31], 8
	s_lshl_b64 s[34:35], s[38:39], 3
	v_mov_b32_e32 v3, v8
	s_add_u32 s30, s34, s30
	s_addc_u32 s31, s35, s31
	v_mov_b32_e32 v4, v10
	v_and_b32_e32 v12, 31, v11
	v_lshlrev_b64 v[2:3], 3, v[2:3]
	s_lshl_b64 s[24:25], s[24:25], 3
	v_mov_b32_e32 v7, s11
	v_mad_u64_u32 v[4:5], null, s23, v19, v[4:5]
	v_and_b32_e32 v5, 0x1ff8, v11
	v_add_co_u32 v2, vcc_lo, s30, v2
	v_add_co_ci_u32_e64 v3, null, s31, v3, vcc_lo
	s_lshl_b64 s[30:31], s[6:7], 8
	v_mov_b32_e32 v10, v4
	v_add_co_u32 v4, vcc_lo, v2, v5
	v_add_co_ci_u32_e64 v5, null, 0, v3, vcc_lo
	v_lshlrev_b64 v[2:3], 3, v[9:10]
	s_lshl_b64 s[6:7], s[36:37], 6
	s_add_u32 s24, s24, s30
	v_or_b32_e32 v6, s10, v12
	v_lshlrev_b32_e32 v12, 3, v12
	s_addc_u32 s25, s25, s31
	v_add_co_u32 v2, vcc_lo, s24, v2
	v_add_co_ci_u32_e64 v3, null, s25, v3, vcc_lo
	s_waitcnt lgkmcnt(0)
	v_add_co_u32 v10, vcc_lo, s20, v4
	v_lshl_or_b32 v20, v19, 8, v12
	v_add_co_ci_u32_e64 v11, null, s21, v5, vcc_lo
	v_add_co_u32 v12, vcc_lo, v2, v12
	v_add_nc_u32_e32 v21, 0x800, v13
	v_add_co_ci_u32_e64 v13, null, 0, v3, vcc_lo
	v_add_co_u32 v12, vcc_lo, s26, v12
	v_cmp_gt_i64_e64 s0, s[12:13], v[6:7]
	v_mov_b32_e32 v2, 0
	v_mov_b32_e32 v4, 0
	;; [unrolled: 1-line block ×4, first 2 shown]
	v_lshlrev_b32_e32 v22, 3, v0
	v_lshl_add_u32 v23, v1, 6, 0x800
	v_mov_b32_e32 v3, 0
	v_mov_b32_e32 v5, 0
	;; [unrolled: 1-line block ×4, first 2 shown]
	v_add_co_ci_u32_e64 v13, null, s27, v13, vcc_lo
	s_lshl_b64 s[20:21], s[22:23], 6
	s_mov_b64 s[22:23], 0
	s_branch .LBB21_3
.LBB21_2:                               ;   in Loop: Header=BB21_3 Depth=1
	s_or_b32 exec_lo, exec_lo, s24
	s_waitcnt vmcnt(0) lgkmcnt(0)
	ds_write_b64 v21, v[16:17]
	s_waitcnt lgkmcnt(0)
	s_barrier
	buffer_gl0_inv
	ds_read_b128 v[14:17], v23
	ds_read2_b64 v[24:27], v22 offset1:16
	ds_read_b128 v[28:31], v23 offset:1024
	ds_read_b128 v[32:35], v23 offset:16
	ds_read2_b64 v[36:39], v22 offset0:32 offset1:48
	ds_read_b128 v[40:43], v23 offset:1040
	s_add_u32 s22, s22, 8
	s_addc_u32 s23, s23, 0
	v_add_co_u32 v10, vcc_lo, v10, s6
	v_cmp_lt_i64_e64 s24, s[22:23], s[16:17]
	v_add_co_ci_u32_e64 v11, null, s7, v11, vcc_lo
	v_add_co_u32 v12, vcc_lo, v12, s20
	v_add_co_ci_u32_e64 v13, null, s21, v13, vcc_lo
	s_and_b32 vcc_lo, exec_lo, s24
	s_waitcnt lgkmcnt(4)
	v_fma_f64 v[8:9], v[24:25], v[14:15], v[8:9]
	v_fma_f64 v[6:7], v[26:27], v[14:15], v[6:7]
	s_waitcnt lgkmcnt(3)
	v_fma_f64 v[14:15], v[24:25], v[28:29], v[4:5]
	v_fma_f64 v[24:25], v[26:27], v[28:29], v[2:3]
	ds_read2_b64 v[2:5], v22 offset0:64 offset1:80
	s_waitcnt lgkmcnt(2)
	v_fma_f64 v[26:27], v[36:37], v[16:17], v[8:9]
	v_fma_f64 v[16:17], v[38:39], v[16:17], v[6:7]
	;; [unrolled: 1-line block ×4, first 2 shown]
	ds_read2_b64 v[6:9], v22 offset0:96 offset1:112
	s_waitcnt lgkmcnt(1)
	v_fma_f64 v[26:27], v[2:3], v[32:33], v[26:27]
	v_fma_f64 v[28:29], v[4:5], v[32:33], v[16:17]
	;; [unrolled: 1-line block ×4, first 2 shown]
	ds_read_b128 v[2:5], v23 offset:32
	ds_read2_b64 v[14:17], v22 offset0:128 offset1:144
	s_waitcnt lgkmcnt(2)
	v_fma_f64 v[36:37], v[6:7], v[34:35], v[26:27]
	v_fma_f64 v[38:39], v[8:9], v[34:35], v[28:29]
	;; [unrolled: 1-line block ×4, first 2 shown]
	ds_read_b128 v[6:9], v23 offset:1056
	ds_read_b128 v[24:27], v23 offset:48
	ds_read2_b64 v[28:31], v22 offset0:160 offset1:176
	ds_read_b128 v[32:35], v23 offset:1072
	s_waitcnt lgkmcnt(4)
	v_fma_f64 v[36:37], v[14:15], v[2:3], v[36:37]
	v_fma_f64 v[2:3], v[16:17], v[2:3], v[38:39]
	s_waitcnt lgkmcnt(3)
	v_fma_f64 v[38:39], v[14:15], v[6:7], v[40:41]
	v_fma_f64 v[6:7], v[16:17], v[6:7], v[42:43]
	ds_read2_b64 v[14:17], v22 offset0:192 offset1:208
	s_waitcnt lgkmcnt(2)
	v_fma_f64 v[36:37], v[28:29], v[4:5], v[36:37]
	v_fma_f64 v[2:3], v[30:31], v[4:5], v[2:3]
	;; [unrolled: 1-line block ×4, first 2 shown]
	ds_read2_b64 v[28:31], v22 offset0:224 offset1:240
	s_waitcnt lgkmcnt(0)
	s_barrier
	buffer_gl0_inv
	v_fma_f64 v[8:9], v[14:15], v[24:25], v[36:37]
	v_fma_f64 v[2:3], v[16:17], v[24:25], v[2:3]
	;; [unrolled: 1-line block ×8, first 2 shown]
	s_cbranch_vccz .LBB21_8
.LBB21_3:                               ; =>This Inner Loop Header: Depth=1
	v_add_co_u32 v14, s24, v19, s22
	v_add_co_ci_u32_e64 v15, null, 0, s23, s24
	v_cmp_gt_i64_e32 vcc_lo, s[16:17], v[14:15]
	v_mov_b32_e32 v14, 0
	v_mov_b32_e32 v15, 0
	s_and_b32 s25, s0, vcc_lo
	s_and_saveexec_b32 s24, s25
	s_cbranch_execz .LBB21_5
; %bb.4:                                ;   in Loop: Header=BB21_3 Depth=1
	flat_load_dwordx2 v[14:15], v[12:13]
.LBB21_5:                               ;   in Loop: Header=BB21_3 Depth=1
	s_or_b32 exec_lo, exec_lo, s24
	v_add_co_u32 v16, s24, v18, s22
	v_add_co_ci_u32_e64 v17, null, 0, s23, s24
	s_waitcnt vmcnt(0) lgkmcnt(0)
	ds_write_b64 v20, v[14:15]
	v_cmp_gt_i64_e32 vcc_lo, s[16:17], v[16:17]
	v_mov_b32_e32 v16, 0
	v_mov_b32_e32 v17, 0
	s_and_b32 s25, vcc_lo, s1
	s_and_saveexec_b32 s24, s25
	s_cbranch_execz .LBB21_2
; %bb.6:                                ;   in Loop: Header=BB21_3 Depth=1
	flat_load_dwordx2 v[16:17], v[10:11]
	s_branch .LBB21_2
.LBB21_7:
	v_mov_b32_e32 v8, 0
	v_mov_b32_e32 v6, 0
	;; [unrolled: 1-line block ×8, first 2 shown]
.LBB21_8:
	s_load_dwordx2 s[0:1], s[4:5], 0x80
	v_cmp_neq_f64_e64 s6, s[40:41], 0
	v_add_co_u32 v10, s4, s28, v1
	v_add_co_ci_u32_e64 v11, null, s29, 0, s4
	s_waitcnt lgkmcnt(0)
	s_lshl_b64 s[4:5], s[0:1], 3
	v_cmp_gt_i64_e64 s0, s[14:15], v[10:11]
	s_add_u32 s4, s2, s4
	s_addc_u32 s3, s3, s5
	s_and_b32 vcc_lo, exec_lo, s6
	s_cbranch_vccnz .LBB21_21
; %bb.9:
	s_and_saveexec_b32 s5, s0
	s_cbranch_execz .LBB21_19
; %bb.10:
	v_mul_lo_u32 v1, v11, s50
	v_mul_lo_u32 v14, v10, s51
	v_mad_u64_u32 v[12:13], null, v10, s50, 0
	v_add3_u32 v13, v13, v14, v1
	v_add_co_u32 v14, s1, s10, v0
	v_add_co_ci_u32_e64 v15, null, s11, 0, s1
	v_lshlrev_b64 v[16:17], 3, v[12:13]
	v_cmp_gt_i64_e32 vcc_lo, s[12:13], v[14:15]
	v_lshlrev_b64 v[12:13], 3, v[14:15]
	v_add_co_u32 v1, s1, s4, v16
	v_add_co_ci_u32_e64 v16, null, s3, v17, s1
	s_and_saveexec_b32 s2, vcc_lo
	s_cbranch_execz .LBB21_12
; %bb.11:
	v_mul_f64 v[17:18], s[18:19], v[8:9]
	v_add_co_u32 v19, s1, v1, v12
	v_add_co_ci_u32_e64 v20, null, v16, v13, s1
	flat_store_dwordx2 v[19:20], v[17:18]
.LBB21_12:
	s_or_b32 exec_lo, exec_lo, s2
	v_add_co_u32 v14, s1, v14, 16
	v_add_co_ci_u32_e64 v15, null, 0, v15, s1
	v_cmp_gt_i64_e64 s1, s[12:13], v[14:15]
	s_and_saveexec_b32 s6, s1
	s_cbranch_execz .LBB21_14
; %bb.13:
	v_mul_f64 v[14:15], s[18:19], v[6:7]
	v_add_co_u32 v17, s2, v1, v12
	v_add_co_ci_u32_e64 v18, null, v16, v13, s2
	flat_store_dwordx2 v[17:18], v[14:15] offset:128
.LBB21_14:
	s_or_b32 exec_lo, exec_lo, s6
	v_add_co_u32 v14, s2, v10, 16
	v_add_co_ci_u32_e64 v15, null, 0, v11, s2
	v_cmp_gt_i64_e64 s2, s[14:15], v[14:15]
	s_and_b32 exec_lo, exec_lo, s2
	s_cbranch_execz .LBB21_19
; %bb.15:
	s_lshl_b64 s[6:7], s[50:51], 7
	v_add_co_u32 v1, s2, v1, s6
	v_add_co_ci_u32_e64 v14, null, s7, v16, s2
	v_add_co_u32 v12, s2, v1, v12
	v_add_co_ci_u32_e64 v13, null, v14, v13, s2
	s_and_saveexec_b32 s2, vcc_lo
	s_cbranch_execz .LBB21_17
; %bb.16:
	v_mul_f64 v[14:15], s[18:19], v[4:5]
	flat_store_dwordx2 v[12:13], v[14:15]
.LBB21_17:
	s_or_b32 exec_lo, exec_lo, s2
	s_and_b32 exec_lo, exec_lo, s1
	s_cbranch_execz .LBB21_19
; %bb.18:
	v_mul_f64 v[14:15], s[18:19], v[2:3]
	flat_store_dwordx2 v[12:13], v[14:15] offset:128
.LBB21_19:
	s_or_b32 exec_lo, exec_lo, s5
	s_cbranch_execz .LBB21_22
.LBB21_20:
	s_endpgm
.LBB21_21:
.LBB21_22:
	s_and_saveexec_b32 s1, s0
	s_cbranch_execz .LBB21_20
; %bb.23:
	v_mul_lo_u32 v1, v11, s44
	v_mul_lo_u32 v12, v10, s45
	v_mad_u64_u32 v[14:15], null, v10, s44, 0
	v_mul_lo_u32 v18, v11, s50
	v_mul_lo_u32 v19, v10, s51
	v_mad_u64_u32 v[16:17], null, v10, s50, 0
	s_lshl_b64 s[0:1], s[46:47], 3
	v_add3_u32 v15, v15, v12, v1
	v_add_co_u32 v12, s2, s10, v0
	v_add_co_ci_u32_e64 v13, null, s11, 0, s2
	v_add3_u32 v17, v17, v19, v18
	v_lshlrev_b64 v[0:1], 3, v[14:15]
	s_add_u32 s0, s8, s0
	s_addc_u32 s1, s9, s1
	v_cmp_gt_i64_e32 vcc_lo, s[12:13], v[12:13]
	v_lshlrev_b64 v[16:17], 3, v[16:17]
	v_add_co_u32 v14, s0, s0, v0
	v_add_co_ci_u32_e64 v15, null, s1, v1, s0
	v_add_co_u32 v16, s0, s4, v16
	v_lshlrev_b64 v[0:1], 3, v[12:13]
	v_add_co_ci_u32_e64 v17, null, s3, v17, s0
	s_and_saveexec_b32 s1, vcc_lo
	s_cbranch_execz .LBB21_25
; %bb.24:
	v_add_co_u32 v18, s0, v14, v0
	v_add_co_ci_u32_e64 v19, null, v15, v1, s0
	flat_load_dwordx2 v[18:19], v[18:19]
	s_waitcnt vmcnt(0) lgkmcnt(0)
	v_mul_f64 v[18:19], s[40:41], v[18:19]
	v_fma_f64 v[8:9], s[18:19], v[8:9], v[18:19]
	v_add_co_u32 v18, s0, v16, v0
	v_add_co_ci_u32_e64 v19, null, v17, v1, s0
	flat_store_dwordx2 v[18:19], v[8:9]
.LBB21_25:
	s_or_b32 exec_lo, exec_lo, s1
	v_add_co_u32 v8, s0, v12, 16
	v_add_co_ci_u32_e64 v9, null, 0, v13, s0
	v_cmp_gt_i64_e64 s0, s[12:13], v[8:9]
	s_and_saveexec_b32 s2, s0
	s_cbranch_execz .LBB21_27
; %bb.26:
	v_add_co_u32 v8, s1, v14, v0
	v_add_co_ci_u32_e64 v9, null, v15, v1, s1
	flat_load_dwordx2 v[8:9], v[8:9] offset:128
	s_waitcnt vmcnt(0) lgkmcnt(0)
	v_mul_f64 v[8:9], s[40:41], v[8:9]
	v_fma_f64 v[6:7], s[18:19], v[6:7], v[8:9]
	v_add_co_u32 v8, s1, v16, v0
	v_add_co_ci_u32_e64 v9, null, v17, v1, s1
	flat_store_dwordx2 v[8:9], v[6:7] offset:128
.LBB21_27:
	s_or_b32 exec_lo, exec_lo, s2
	v_add_co_u32 v6, s1, v10, 16
	v_add_co_ci_u32_e64 v7, null, 0, v11, s1
	v_cmp_gt_i64_e64 s1, s[14:15], v[6:7]
	s_and_b32 exec_lo, exec_lo, s1
	s_cbranch_execz .LBB21_20
; %bb.28:
	s_lshl_b64 s[2:3], s[44:45], 7
	v_add_co_u32 v6, s1, v14, s2
	v_add_co_ci_u32_e64 v7, null, s3, v15, s1
	s_lshl_b64 s[2:3], s[50:51], 7
	v_add_co_u32 v8, s1, v16, s2
	v_add_co_ci_u32_e64 v9, null, s3, v17, s1
	v_add_co_u32 v6, s1, v6, v0
	v_add_co_ci_u32_e64 v7, null, v7, v1, s1
	;; [unrolled: 2-line block ×3, first 2 shown]
	s_and_saveexec_b32 s1, vcc_lo
	s_cbranch_execz .LBB21_30
; %bb.29:
	flat_load_dwordx2 v[8:9], v[6:7]
	s_waitcnt vmcnt(0) lgkmcnt(0)
	v_mul_f64 v[8:9], s[40:41], v[8:9]
	v_fma_f64 v[4:5], s[18:19], v[4:5], v[8:9]
	flat_store_dwordx2 v[0:1], v[4:5]
.LBB21_30:
	s_or_b32 exec_lo, exec_lo, s1
	s_and_b32 exec_lo, exec_lo, s0
	s_cbranch_execz .LBB21_20
; %bb.31:
	flat_load_dwordx2 v[4:5], v[6:7] offset:128
	s_waitcnt vmcnt(0) lgkmcnt(0)
	v_mul_f64 v[4:5], s[40:41], v[4:5]
	v_fma_f64 v[2:3], s[18:19], v[2:3], v[4:5]
	flat_store_dwordx2 v[0:1], v[2:3] offset:128
	s_endpgm
	.section	.rodata,"a",@progbits
	.p2align	6, 0x0
	.amdhsa_kernel _ZN12_GLOBAL__N_135rocblas_gemm_batched_general_kernelIdLi16ELi16ELi32ELi32ELi8ELi32ELi8ELi8ELi32ELc78ELc84EKPKdS3_KPdEEvlllT_PT11_llS8_llS6_PT12_llPT13_lli
		.amdhsa_group_segment_fixed_size 4096
		.amdhsa_private_segment_fixed_size 0
		.amdhsa_kernarg_size 140
		.amdhsa_user_sgpr_count 6
		.amdhsa_user_sgpr_private_segment_buffer 1
		.amdhsa_user_sgpr_dispatch_ptr 0
		.amdhsa_user_sgpr_queue_ptr 0
		.amdhsa_user_sgpr_kernarg_segment_ptr 1
		.amdhsa_user_sgpr_dispatch_id 0
		.amdhsa_user_sgpr_flat_scratch_init 0
		.amdhsa_user_sgpr_private_segment_size 0
		.amdhsa_wavefront_size32 1
		.amdhsa_uses_dynamic_stack 0
		.amdhsa_system_sgpr_private_segment_wavefront_offset 0
		.amdhsa_system_sgpr_workgroup_id_x 1
		.amdhsa_system_sgpr_workgroup_id_y 1
		.amdhsa_system_sgpr_workgroup_id_z 1
		.amdhsa_system_sgpr_workgroup_info 0
		.amdhsa_system_vgpr_workitem_id 1
		.amdhsa_next_free_vgpr 44
		.amdhsa_next_free_sgpr 52
		.amdhsa_reserve_vcc 1
		.amdhsa_reserve_flat_scratch 0
		.amdhsa_float_round_mode_32 0
		.amdhsa_float_round_mode_16_64 0
		.amdhsa_float_denorm_mode_32 3
		.amdhsa_float_denorm_mode_16_64 3
		.amdhsa_dx10_clamp 1
		.amdhsa_ieee_mode 1
		.amdhsa_fp16_overflow 0
		.amdhsa_workgroup_processor_mode 1
		.amdhsa_memory_ordered 1
		.amdhsa_forward_progress 1
		.amdhsa_shared_vgpr_count 0
		.amdhsa_exception_fp_ieee_invalid_op 0
		.amdhsa_exception_fp_denorm_src 0
		.amdhsa_exception_fp_ieee_div_zero 0
		.amdhsa_exception_fp_ieee_overflow 0
		.amdhsa_exception_fp_ieee_underflow 0
		.amdhsa_exception_fp_ieee_inexact 0
		.amdhsa_exception_int_div_zero 0
	.end_amdhsa_kernel
	.section	.text._ZN12_GLOBAL__N_135rocblas_gemm_batched_general_kernelIdLi16ELi16ELi32ELi32ELi8ELi32ELi8ELi8ELi32ELc78ELc84EKPKdS3_KPdEEvlllT_PT11_llS8_llS6_PT12_llPT13_lli,"axG",@progbits,_ZN12_GLOBAL__N_135rocblas_gemm_batched_general_kernelIdLi16ELi16ELi32ELi32ELi8ELi32ELi8ELi8ELi32ELc78ELc84EKPKdS3_KPdEEvlllT_PT11_llS8_llS6_PT12_llPT13_lli,comdat
.Lfunc_end21:
	.size	_ZN12_GLOBAL__N_135rocblas_gemm_batched_general_kernelIdLi16ELi16ELi32ELi32ELi8ELi32ELi8ELi8ELi32ELc78ELc84EKPKdS3_KPdEEvlllT_PT11_llS8_llS6_PT12_llPT13_lli, .Lfunc_end21-_ZN12_GLOBAL__N_135rocblas_gemm_batched_general_kernelIdLi16ELi16ELi32ELi32ELi8ELi32ELi8ELi8ELi32ELc78ELc84EKPKdS3_KPdEEvlllT_PT11_llS8_llS6_PT12_llPT13_lli
                                        ; -- End function
	.set _ZN12_GLOBAL__N_135rocblas_gemm_batched_general_kernelIdLi16ELi16ELi32ELi32ELi8ELi32ELi8ELi8ELi32ELc78ELc84EKPKdS3_KPdEEvlllT_PT11_llS8_llS6_PT12_llPT13_lli.num_vgpr, 44
	.set _ZN12_GLOBAL__N_135rocblas_gemm_batched_general_kernelIdLi16ELi16ELi32ELi32ELi8ELi32ELi8ELi8ELi32ELc78ELc84EKPKdS3_KPdEEvlllT_PT11_llS8_llS6_PT12_llPT13_lli.num_agpr, 0
	.set _ZN12_GLOBAL__N_135rocblas_gemm_batched_general_kernelIdLi16ELi16ELi32ELi32ELi8ELi32ELi8ELi8ELi32ELc78ELc84EKPKdS3_KPdEEvlllT_PT11_llS8_llS6_PT12_llPT13_lli.numbered_sgpr, 52
	.set _ZN12_GLOBAL__N_135rocblas_gemm_batched_general_kernelIdLi16ELi16ELi32ELi32ELi8ELi32ELi8ELi8ELi32ELc78ELc84EKPKdS3_KPdEEvlllT_PT11_llS8_llS6_PT12_llPT13_lli.num_named_barrier, 0
	.set _ZN12_GLOBAL__N_135rocblas_gemm_batched_general_kernelIdLi16ELi16ELi32ELi32ELi8ELi32ELi8ELi8ELi32ELc78ELc84EKPKdS3_KPdEEvlllT_PT11_llS8_llS6_PT12_llPT13_lli.private_seg_size, 0
	.set _ZN12_GLOBAL__N_135rocblas_gemm_batched_general_kernelIdLi16ELi16ELi32ELi32ELi8ELi32ELi8ELi8ELi32ELc78ELc84EKPKdS3_KPdEEvlllT_PT11_llS8_llS6_PT12_llPT13_lli.uses_vcc, 1
	.set _ZN12_GLOBAL__N_135rocblas_gemm_batched_general_kernelIdLi16ELi16ELi32ELi32ELi8ELi32ELi8ELi8ELi32ELc78ELc84EKPKdS3_KPdEEvlllT_PT11_llS8_llS6_PT12_llPT13_lli.uses_flat_scratch, 0
	.set _ZN12_GLOBAL__N_135rocblas_gemm_batched_general_kernelIdLi16ELi16ELi32ELi32ELi8ELi32ELi8ELi8ELi32ELc78ELc84EKPKdS3_KPdEEvlllT_PT11_llS8_llS6_PT12_llPT13_lli.has_dyn_sized_stack, 0
	.set _ZN12_GLOBAL__N_135rocblas_gemm_batched_general_kernelIdLi16ELi16ELi32ELi32ELi8ELi32ELi8ELi8ELi32ELc78ELc84EKPKdS3_KPdEEvlllT_PT11_llS8_llS6_PT12_llPT13_lli.has_recursion, 0
	.set _ZN12_GLOBAL__N_135rocblas_gemm_batched_general_kernelIdLi16ELi16ELi32ELi32ELi8ELi32ELi8ELi8ELi32ELc78ELc84EKPKdS3_KPdEEvlllT_PT11_llS8_llS6_PT12_llPT13_lli.has_indirect_call, 0
	.section	.AMDGPU.csdata,"",@progbits
; Kernel info:
; codeLenInByte = 2104
; TotalNumSgprs: 54
; NumVgprs: 44
; ScratchSize: 0
; MemoryBound: 0
; FloatMode: 240
; IeeeMode: 1
; LDSByteSize: 4096 bytes/workgroup (compile time only)
; SGPRBlocks: 0
; VGPRBlocks: 5
; NumSGPRsForWavesPerEU: 54
; NumVGPRsForWavesPerEU: 44
; Occupancy: 16
; WaveLimiterHint : 1
; COMPUTE_PGM_RSRC2:SCRATCH_EN: 0
; COMPUTE_PGM_RSRC2:USER_SGPR: 6
; COMPUTE_PGM_RSRC2:TRAP_HANDLER: 0
; COMPUTE_PGM_RSRC2:TGID_X_EN: 1
; COMPUTE_PGM_RSRC2:TGID_Y_EN: 1
; COMPUTE_PGM_RSRC2:TGID_Z_EN: 1
; COMPUTE_PGM_RSRC2:TIDIG_COMP_CNT: 1
	.section	.text._ZN12_GLOBAL__N_135rocblas_gemm_batched_general_kernelIdLi16ELi16ELi32ELi32ELi8ELi32ELi8ELi8ELi32ELc84ELc84EKPKdS3_KPdEEvlllT_PT11_llS8_llS6_PT12_llPT13_lli,"axG",@progbits,_ZN12_GLOBAL__N_135rocblas_gemm_batched_general_kernelIdLi16ELi16ELi32ELi32ELi8ELi32ELi8ELi8ELi32ELc84ELc84EKPKdS3_KPdEEvlllT_PT11_llS8_llS6_PT12_llPT13_lli,comdat
	.globl	_ZN12_GLOBAL__N_135rocblas_gemm_batched_general_kernelIdLi16ELi16ELi32ELi32ELi8ELi32ELi8ELi8ELi32ELc84ELc84EKPKdS3_KPdEEvlllT_PT11_llS8_llS6_PT12_llPT13_lli ; -- Begin function _ZN12_GLOBAL__N_135rocblas_gemm_batched_general_kernelIdLi16ELi16ELi32ELi32ELi8ELi32ELi8ELi8ELi32ELc84ELc84EKPKdS3_KPdEEvlllT_PT11_llS8_llS6_PT12_llPT13_lli
	.p2align	8
	.type	_ZN12_GLOBAL__N_135rocblas_gemm_batched_general_kernelIdLi16ELi16ELi32ELi32ELi8ELi32ELi8ELi8ELi32ELc84ELc84EKPKdS3_KPdEEvlllT_PT11_llS8_llS6_PT12_llPT13_lli,@function
_ZN12_GLOBAL__N_135rocblas_gemm_batched_general_kernelIdLi16ELi16ELi32ELi32ELi8ELi32ELi8ELi8ELi32ELc84ELc84EKPKdS3_KPdEEvlllT_PT11_llS8_llS6_PT12_llPT13_lli: ; @_ZN12_GLOBAL__N_135rocblas_gemm_batched_general_kernelIdLi16ELi16ELi32ELi32ELi8ELi32ELi8ELi8ELi32ELc84ELc84EKPKdS3_KPdEEvlllT_PT11_llS8_llS6_PT12_llPT13_lli
; %bb.0:
	s_clause 0x1
	s_load_dwordx16 s[36:51], s[4:5], 0x40
	s_load_dwordx16 s[12:27], s[4:5], 0x0
	s_mov_b32 s9, 0
	s_mov_b32 s28, s7
	s_lshl_b64 s[0:1], s[8:9], 3
	s_waitcnt lgkmcnt(0)
	s_add_u32 s2, s42, s0
	s_addc_u32 s3, s43, s1
	s_add_u32 s10, s48, s0
	s_addc_u32 s11, s49, s1
	s_load_dwordx2 s[8:9], s[2:3], 0x0
	s_load_dwordx2 s[2:3], s[10:11], 0x0
	v_cmp_lt_i64_e64 s10, s[16:17], 1
	s_ashr_i32 s7, s6, 31
	s_ashr_i32 s29, s28, 31
	s_lshl_b64 s[6:7], s[6:7], 5
	s_and_b32 vcc_lo, exec_lo, s10
	s_lshl_b64 s[10:11], s[28:29], 5
	s_cbranch_vccnz .LBB22_7
; %bb.1:
	v_lshl_add_u32 v8, v1, 4, v0
	v_and_b32_e32 v18, 7, v0
	s_add_u32 s26, s26, s0
	s_addc_u32 s27, s27, s1
	v_mov_b32_e32 v3, s7
	v_and_b32_e32 v9, 31, v8
	v_mad_u64_u32 v[4:5], null, s36, v18, 0
	v_lshrrev_b32_e32 v10, 3, v8
	s_add_u32 s0, s20, s0
	v_or_b32_e32 v2, s6, v9
	s_addc_u32 s1, s21, s1
	s_load_dwordx2 s[20:21], s[26:27], 0x0
	s_load_dwordx2 s[26:27], s[0:1], 0x0
	v_add_co_u32 v6, s0, v10, s10
	v_add_co_ci_u32_e64 v7, null, 0, s11, s0
	v_cmp_gt_i64_e64 s0, s[12:13], v[2:3]
	v_mov_b32_e32 v2, v5
	v_lshlrev_b32_e32 v5, 3, v18
	v_cmp_gt_i64_e64 s1, s[14:15], v[6:7]
	v_add_co_u32 v6, s30, s6, v9
	v_mad_u64_u32 v[2:3], null, s37, v18, v[2:3]
	v_lshl_or_b32 v3, v10, 6, v5
	v_add_co_ci_u32_e64 v7, null, s7, 0, s30
	v_lshlrev_b32_e32 v11, 3, v9
	v_mul_lo_u32 v9, s23, v6
	v_add_nc_u32_e32 v21, 0x800, v3
	v_mov_b32_e32 v5, v2
	v_mul_lo_u32 v7, s22, v7
	v_mad_u64_u32 v[2:3], null, s22, v6, 0
	s_lshl_b64 s[22:23], s[28:29], 8
	v_lshlrev_b64 v[4:5], 3, v[4:5]
	s_lshl_b64 s[28:29], s[38:39], 3
	v_and_b32_e32 v6, 0x1ff8, v8
	s_add_u32 s22, s28, s22
	s_addc_u32 s23, s29, s23
	v_add3_u32 v3, v3, v7, v9
	v_add_co_u32 v4, vcc_lo, s22, v4
	v_lshrrev_b32_e32 v19, 5, v8
	v_add_co_ci_u32_e64 v5, null, s23, v5, vcc_lo
	v_lshlrev_b64 v[2:3], 3, v[2:3]
	v_add_co_u32 v4, vcc_lo, v4, v6
	s_lshl_b64 s[22:23], s[24:25], 3
	v_add_co_ci_u32_e64 v5, null, 0, v5, vcc_lo
	v_add_co_u32 v2, vcc_lo, v2, s22
	v_lshlrev_b32_e32 v6, 3, v19
	v_add_co_ci_u32_e64 v3, null, s23, v3, vcc_lo
	s_waitcnt lgkmcnt(0)
	v_add_co_u32 v10, vcc_lo, s20, v4
	v_lshl_or_b32 v20, v19, 8, v11
	v_add_co_ci_u32_e64 v11, null, s21, v5, vcc_lo
	v_add_co_u32 v12, vcc_lo, v2, v6
	v_add_co_ci_u32_e64 v13, null, 0, v3, vcc_lo
	v_mov_b32_e32 v2, 0
	v_add_co_u32 v12, vcc_lo, s26, v12
	v_mov_b32_e32 v4, 0
	v_mov_b32_e32 v6, 0
	;; [unrolled: 1-line block ×3, first 2 shown]
	v_lshlrev_b32_e32 v22, 3, v0
	v_lshl_add_u32 v23, v1, 6, 0x800
	v_mov_b32_e32 v3, 0
	v_mov_b32_e32 v5, 0
	;; [unrolled: 1-line block ×4, first 2 shown]
	v_add_co_ci_u32_e64 v13, null, s27, v13, vcc_lo
	s_lshl_b64 s[20:21], s[36:37], 6
	s_mov_b64 s[22:23], 0
	s_branch .LBB22_3
.LBB22_2:                               ;   in Loop: Header=BB22_3 Depth=1
	s_or_b32 exec_lo, exec_lo, s24
	s_waitcnt vmcnt(0) lgkmcnt(0)
	ds_write_b64 v21, v[16:17]
	s_waitcnt lgkmcnt(0)
	s_barrier
	buffer_gl0_inv
	ds_read_b128 v[14:17], v23
	ds_read2_b64 v[24:27], v22 offset1:16
	ds_read_b128 v[28:31], v23 offset:1024
	ds_read_b128 v[32:35], v23 offset:16
	ds_read2_b64 v[36:39], v22 offset0:32 offset1:48
	ds_read_b128 v[40:43], v23 offset:1040
	s_add_u32 s22, s22, 8
	s_addc_u32 s23, s23, 0
	v_add_co_u32 v10, vcc_lo, v10, s20
	v_cmp_lt_i64_e64 s24, s[22:23], s[16:17]
	v_add_co_ci_u32_e64 v11, null, s21, v11, vcc_lo
	v_add_co_u32 v12, vcc_lo, v12, 64
	v_add_co_ci_u32_e64 v13, null, 0, v13, vcc_lo
	s_and_b32 vcc_lo, exec_lo, s24
	s_waitcnt lgkmcnt(4)
	v_fma_f64 v[8:9], v[24:25], v[14:15], v[8:9]
	v_fma_f64 v[6:7], v[26:27], v[14:15], v[6:7]
	s_waitcnt lgkmcnt(3)
	v_fma_f64 v[14:15], v[24:25], v[28:29], v[4:5]
	v_fma_f64 v[24:25], v[26:27], v[28:29], v[2:3]
	ds_read2_b64 v[2:5], v22 offset0:64 offset1:80
	s_waitcnt lgkmcnt(2)
	v_fma_f64 v[26:27], v[36:37], v[16:17], v[8:9]
	v_fma_f64 v[16:17], v[38:39], v[16:17], v[6:7]
	;; [unrolled: 1-line block ×4, first 2 shown]
	ds_read2_b64 v[6:9], v22 offset0:96 offset1:112
	s_waitcnt lgkmcnt(1)
	v_fma_f64 v[26:27], v[2:3], v[32:33], v[26:27]
	v_fma_f64 v[28:29], v[4:5], v[32:33], v[16:17]
	v_fma_f64 v[30:31], v[2:3], v[40:41], v[14:15]
	v_fma_f64 v[24:25], v[4:5], v[40:41], v[24:25]
	ds_read_b128 v[2:5], v23 offset:32
	ds_read2_b64 v[14:17], v22 offset0:128 offset1:144
	s_waitcnt lgkmcnt(2)
	v_fma_f64 v[36:37], v[6:7], v[34:35], v[26:27]
	v_fma_f64 v[38:39], v[8:9], v[34:35], v[28:29]
	v_fma_f64 v[40:41], v[6:7], v[42:43], v[30:31]
	v_fma_f64 v[42:43], v[8:9], v[42:43], v[24:25]
	ds_read_b128 v[6:9], v23 offset:1056
	ds_read_b128 v[24:27], v23 offset:48
	ds_read2_b64 v[28:31], v22 offset0:160 offset1:176
	ds_read_b128 v[32:35], v23 offset:1072
	s_waitcnt lgkmcnt(4)
	v_fma_f64 v[36:37], v[14:15], v[2:3], v[36:37]
	v_fma_f64 v[2:3], v[16:17], v[2:3], v[38:39]
	s_waitcnt lgkmcnt(3)
	v_fma_f64 v[38:39], v[14:15], v[6:7], v[40:41]
	v_fma_f64 v[6:7], v[16:17], v[6:7], v[42:43]
	ds_read2_b64 v[14:17], v22 offset0:192 offset1:208
	s_waitcnt lgkmcnt(2)
	v_fma_f64 v[36:37], v[28:29], v[4:5], v[36:37]
	v_fma_f64 v[2:3], v[30:31], v[4:5], v[2:3]
	;; [unrolled: 1-line block ×4, first 2 shown]
	ds_read2_b64 v[28:31], v22 offset0:224 offset1:240
	s_waitcnt lgkmcnt(0)
	s_barrier
	buffer_gl0_inv
	v_fma_f64 v[8:9], v[14:15], v[24:25], v[36:37]
	v_fma_f64 v[2:3], v[16:17], v[24:25], v[2:3]
	v_fma_f64 v[4:5], v[14:15], v[32:33], v[4:5]
	v_fma_f64 v[14:15], v[16:17], v[32:33], v[6:7]
	v_fma_f64 v[8:9], v[28:29], v[26:27], v[8:9]
	v_fma_f64 v[6:7], v[30:31], v[26:27], v[2:3]
	v_fma_f64 v[4:5], v[28:29], v[34:35], v[4:5]
	v_fma_f64 v[2:3], v[30:31], v[34:35], v[14:15]
	s_cbranch_vccz .LBB22_8
.LBB22_3:                               ; =>This Inner Loop Header: Depth=1
	v_add_co_u32 v14, s24, v19, s22
	v_add_co_ci_u32_e64 v15, null, 0, s23, s24
	v_cmp_gt_i64_e32 vcc_lo, s[16:17], v[14:15]
	v_mov_b32_e32 v14, 0
	v_mov_b32_e32 v15, 0
	s_and_b32 s25, s0, vcc_lo
	s_and_saveexec_b32 s24, s25
	s_cbranch_execz .LBB22_5
; %bb.4:                                ;   in Loop: Header=BB22_3 Depth=1
	flat_load_dwordx2 v[14:15], v[12:13]
.LBB22_5:                               ;   in Loop: Header=BB22_3 Depth=1
	s_or_b32 exec_lo, exec_lo, s24
	v_add_co_u32 v16, s24, v18, s22
	v_add_co_ci_u32_e64 v17, null, 0, s23, s24
	s_waitcnt vmcnt(0) lgkmcnt(0)
	ds_write_b64 v20, v[14:15]
	v_cmp_gt_i64_e32 vcc_lo, s[16:17], v[16:17]
	v_mov_b32_e32 v16, 0
	v_mov_b32_e32 v17, 0
	s_and_b32 s25, vcc_lo, s1
	s_and_saveexec_b32 s24, s25
	s_cbranch_execz .LBB22_2
; %bb.6:                                ;   in Loop: Header=BB22_3 Depth=1
	flat_load_dwordx2 v[16:17], v[10:11]
	s_branch .LBB22_2
.LBB22_7:
	v_mov_b32_e32 v8, 0
	v_mov_b32_e32 v6, 0
	;; [unrolled: 1-line block ×8, first 2 shown]
.LBB22_8:
	s_load_dwordx2 s[0:1], s[4:5], 0x80
	v_cmp_neq_f64_e64 s16, s[40:41], 0
	v_add_co_u32 v10, s4, s10, v1
	v_add_co_ci_u32_e64 v11, null, s11, 0, s4
	s_waitcnt lgkmcnt(0)
	s_lshl_b64 s[4:5], s[0:1], 3
	v_cmp_gt_i64_e64 s0, s[14:15], v[10:11]
	s_add_u32 s4, s2, s4
	s_addc_u32 s3, s3, s5
	s_and_b32 vcc_lo, exec_lo, s16
	s_cbranch_vccnz .LBB22_21
; %bb.9:
	s_and_saveexec_b32 s5, s0
	s_cbranch_execz .LBB22_19
; %bb.10:
	v_mul_lo_u32 v1, v11, s50
	v_mul_lo_u32 v14, v10, s51
	v_mad_u64_u32 v[12:13], null, v10, s50, 0
	v_add3_u32 v13, v13, v14, v1
	v_add_co_u32 v14, s1, s6, v0
	v_add_co_ci_u32_e64 v15, null, s7, 0, s1
	v_lshlrev_b64 v[16:17], 3, v[12:13]
	v_cmp_gt_i64_e32 vcc_lo, s[12:13], v[14:15]
	v_lshlrev_b64 v[12:13], 3, v[14:15]
	v_add_co_u32 v1, s1, s4, v16
	v_add_co_ci_u32_e64 v16, null, s3, v17, s1
	s_and_saveexec_b32 s2, vcc_lo
	s_cbranch_execz .LBB22_12
; %bb.11:
	v_mul_f64 v[17:18], s[18:19], v[8:9]
	v_add_co_u32 v19, s1, v1, v12
	v_add_co_ci_u32_e64 v20, null, v16, v13, s1
	flat_store_dwordx2 v[19:20], v[17:18]
.LBB22_12:
	s_or_b32 exec_lo, exec_lo, s2
	v_add_co_u32 v14, s1, v14, 16
	v_add_co_ci_u32_e64 v15, null, 0, v15, s1
	v_cmp_gt_i64_e64 s1, s[12:13], v[14:15]
	s_and_saveexec_b32 s10, s1
	s_cbranch_execz .LBB22_14
; %bb.13:
	v_mul_f64 v[14:15], s[18:19], v[6:7]
	v_add_co_u32 v17, s2, v1, v12
	v_add_co_ci_u32_e64 v18, null, v16, v13, s2
	flat_store_dwordx2 v[17:18], v[14:15] offset:128
.LBB22_14:
	s_or_b32 exec_lo, exec_lo, s10
	v_add_co_u32 v14, s2, v10, 16
	v_add_co_ci_u32_e64 v15, null, 0, v11, s2
	v_cmp_gt_i64_e64 s2, s[14:15], v[14:15]
	s_and_b32 exec_lo, exec_lo, s2
	s_cbranch_execz .LBB22_19
; %bb.15:
	s_lshl_b64 s[10:11], s[50:51], 7
	v_add_co_u32 v1, s2, v1, s10
	v_add_co_ci_u32_e64 v14, null, s11, v16, s2
	v_add_co_u32 v12, s2, v1, v12
	v_add_co_ci_u32_e64 v13, null, v14, v13, s2
	s_and_saveexec_b32 s2, vcc_lo
	s_cbranch_execz .LBB22_17
; %bb.16:
	v_mul_f64 v[14:15], s[18:19], v[4:5]
	flat_store_dwordx2 v[12:13], v[14:15]
.LBB22_17:
	s_or_b32 exec_lo, exec_lo, s2
	s_and_b32 exec_lo, exec_lo, s1
	s_cbranch_execz .LBB22_19
; %bb.18:
	v_mul_f64 v[14:15], s[18:19], v[2:3]
	flat_store_dwordx2 v[12:13], v[14:15] offset:128
.LBB22_19:
	s_or_b32 exec_lo, exec_lo, s5
	s_cbranch_execz .LBB22_22
.LBB22_20:
	s_endpgm
.LBB22_21:
.LBB22_22:
	s_and_saveexec_b32 s1, s0
	s_cbranch_execz .LBB22_20
; %bb.23:
	v_mul_lo_u32 v1, v11, s44
	v_mul_lo_u32 v12, v10, s45
	v_mad_u64_u32 v[14:15], null, v10, s44, 0
	v_mul_lo_u32 v18, v11, s50
	v_mul_lo_u32 v19, v10, s51
	v_mad_u64_u32 v[16:17], null, v10, s50, 0
	s_lshl_b64 s[0:1], s[46:47], 3
	v_add3_u32 v15, v15, v12, v1
	v_add_co_u32 v12, s2, s6, v0
	v_add_co_ci_u32_e64 v13, null, s7, 0, s2
	v_add3_u32 v17, v17, v19, v18
	v_lshlrev_b64 v[0:1], 3, v[14:15]
	s_add_u32 s0, s8, s0
	s_addc_u32 s1, s9, s1
	v_cmp_gt_i64_e32 vcc_lo, s[12:13], v[12:13]
	v_lshlrev_b64 v[16:17], 3, v[16:17]
	v_add_co_u32 v14, s0, s0, v0
	v_add_co_ci_u32_e64 v15, null, s1, v1, s0
	v_add_co_u32 v16, s0, s4, v16
	v_lshlrev_b64 v[0:1], 3, v[12:13]
	v_add_co_ci_u32_e64 v17, null, s3, v17, s0
	s_and_saveexec_b32 s1, vcc_lo
	s_cbranch_execz .LBB22_25
; %bb.24:
	v_add_co_u32 v18, s0, v14, v0
	v_add_co_ci_u32_e64 v19, null, v15, v1, s0
	flat_load_dwordx2 v[18:19], v[18:19]
	s_waitcnt vmcnt(0) lgkmcnt(0)
	v_mul_f64 v[18:19], s[40:41], v[18:19]
	v_fma_f64 v[8:9], s[18:19], v[8:9], v[18:19]
	v_add_co_u32 v18, s0, v16, v0
	v_add_co_ci_u32_e64 v19, null, v17, v1, s0
	flat_store_dwordx2 v[18:19], v[8:9]
.LBB22_25:
	s_or_b32 exec_lo, exec_lo, s1
	v_add_co_u32 v8, s0, v12, 16
	v_add_co_ci_u32_e64 v9, null, 0, v13, s0
	v_cmp_gt_i64_e64 s0, s[12:13], v[8:9]
	s_and_saveexec_b32 s2, s0
	s_cbranch_execz .LBB22_27
; %bb.26:
	v_add_co_u32 v8, s1, v14, v0
	v_add_co_ci_u32_e64 v9, null, v15, v1, s1
	flat_load_dwordx2 v[8:9], v[8:9] offset:128
	s_waitcnt vmcnt(0) lgkmcnt(0)
	v_mul_f64 v[8:9], s[40:41], v[8:9]
	v_fma_f64 v[6:7], s[18:19], v[6:7], v[8:9]
	v_add_co_u32 v8, s1, v16, v0
	v_add_co_ci_u32_e64 v9, null, v17, v1, s1
	flat_store_dwordx2 v[8:9], v[6:7] offset:128
.LBB22_27:
	s_or_b32 exec_lo, exec_lo, s2
	v_add_co_u32 v6, s1, v10, 16
	v_add_co_ci_u32_e64 v7, null, 0, v11, s1
	v_cmp_gt_i64_e64 s1, s[14:15], v[6:7]
	s_and_b32 exec_lo, exec_lo, s1
	s_cbranch_execz .LBB22_20
; %bb.28:
	s_lshl_b64 s[2:3], s[44:45], 7
	v_add_co_u32 v6, s1, v14, s2
	v_add_co_ci_u32_e64 v7, null, s3, v15, s1
	s_lshl_b64 s[2:3], s[50:51], 7
	v_add_co_u32 v8, s1, v16, s2
	v_add_co_ci_u32_e64 v9, null, s3, v17, s1
	v_add_co_u32 v6, s1, v6, v0
	v_add_co_ci_u32_e64 v7, null, v7, v1, s1
	;; [unrolled: 2-line block ×3, first 2 shown]
	s_and_saveexec_b32 s1, vcc_lo
	s_cbranch_execz .LBB22_30
; %bb.29:
	flat_load_dwordx2 v[8:9], v[6:7]
	s_waitcnt vmcnt(0) lgkmcnt(0)
	v_mul_f64 v[8:9], s[40:41], v[8:9]
	v_fma_f64 v[4:5], s[18:19], v[4:5], v[8:9]
	flat_store_dwordx2 v[0:1], v[4:5]
.LBB22_30:
	s_or_b32 exec_lo, exec_lo, s1
	s_and_b32 exec_lo, exec_lo, s0
	s_cbranch_execz .LBB22_20
; %bb.31:
	flat_load_dwordx2 v[4:5], v[6:7] offset:128
	s_waitcnt vmcnt(0) lgkmcnt(0)
	v_mul_f64 v[4:5], s[40:41], v[4:5]
	v_fma_f64 v[2:3], s[18:19], v[2:3], v[4:5]
	flat_store_dwordx2 v[0:1], v[2:3] offset:128
	s_endpgm
	.section	.rodata,"a",@progbits
	.p2align	6, 0x0
	.amdhsa_kernel _ZN12_GLOBAL__N_135rocblas_gemm_batched_general_kernelIdLi16ELi16ELi32ELi32ELi8ELi32ELi8ELi8ELi32ELc84ELc84EKPKdS3_KPdEEvlllT_PT11_llS8_llS6_PT12_llPT13_lli
		.amdhsa_group_segment_fixed_size 4096
		.amdhsa_private_segment_fixed_size 0
		.amdhsa_kernarg_size 140
		.amdhsa_user_sgpr_count 6
		.amdhsa_user_sgpr_private_segment_buffer 1
		.amdhsa_user_sgpr_dispatch_ptr 0
		.amdhsa_user_sgpr_queue_ptr 0
		.amdhsa_user_sgpr_kernarg_segment_ptr 1
		.amdhsa_user_sgpr_dispatch_id 0
		.amdhsa_user_sgpr_flat_scratch_init 0
		.amdhsa_user_sgpr_private_segment_size 0
		.amdhsa_wavefront_size32 1
		.amdhsa_uses_dynamic_stack 0
		.amdhsa_system_sgpr_private_segment_wavefront_offset 0
		.amdhsa_system_sgpr_workgroup_id_x 1
		.amdhsa_system_sgpr_workgroup_id_y 1
		.amdhsa_system_sgpr_workgroup_id_z 1
		.amdhsa_system_sgpr_workgroup_info 0
		.amdhsa_system_vgpr_workitem_id 1
		.amdhsa_next_free_vgpr 44
		.amdhsa_next_free_sgpr 52
		.amdhsa_reserve_vcc 1
		.amdhsa_reserve_flat_scratch 0
		.amdhsa_float_round_mode_32 0
		.amdhsa_float_round_mode_16_64 0
		.amdhsa_float_denorm_mode_32 3
		.amdhsa_float_denorm_mode_16_64 3
		.amdhsa_dx10_clamp 1
		.amdhsa_ieee_mode 1
		.amdhsa_fp16_overflow 0
		.amdhsa_workgroup_processor_mode 1
		.amdhsa_memory_ordered 1
		.amdhsa_forward_progress 1
		.amdhsa_shared_vgpr_count 0
		.amdhsa_exception_fp_ieee_invalid_op 0
		.amdhsa_exception_fp_denorm_src 0
		.amdhsa_exception_fp_ieee_div_zero 0
		.amdhsa_exception_fp_ieee_overflow 0
		.amdhsa_exception_fp_ieee_underflow 0
		.amdhsa_exception_fp_ieee_inexact 0
		.amdhsa_exception_int_div_zero 0
	.end_amdhsa_kernel
	.section	.text._ZN12_GLOBAL__N_135rocblas_gemm_batched_general_kernelIdLi16ELi16ELi32ELi32ELi8ELi32ELi8ELi8ELi32ELc84ELc84EKPKdS3_KPdEEvlllT_PT11_llS8_llS6_PT12_llPT13_lli,"axG",@progbits,_ZN12_GLOBAL__N_135rocblas_gemm_batched_general_kernelIdLi16ELi16ELi32ELi32ELi8ELi32ELi8ELi8ELi32ELc84ELc84EKPKdS3_KPdEEvlllT_PT11_llS8_llS6_PT12_llPT13_lli,comdat
.Lfunc_end22:
	.size	_ZN12_GLOBAL__N_135rocblas_gemm_batched_general_kernelIdLi16ELi16ELi32ELi32ELi8ELi32ELi8ELi8ELi32ELc84ELc84EKPKdS3_KPdEEvlllT_PT11_llS8_llS6_PT12_llPT13_lli, .Lfunc_end22-_ZN12_GLOBAL__N_135rocblas_gemm_batched_general_kernelIdLi16ELi16ELi32ELi32ELi8ELi32ELi8ELi8ELi32ELc84ELc84EKPKdS3_KPdEEvlllT_PT11_llS8_llS6_PT12_llPT13_lli
                                        ; -- End function
	.set _ZN12_GLOBAL__N_135rocblas_gemm_batched_general_kernelIdLi16ELi16ELi32ELi32ELi8ELi32ELi8ELi8ELi32ELc84ELc84EKPKdS3_KPdEEvlllT_PT11_llS8_llS6_PT12_llPT13_lli.num_vgpr, 44
	.set _ZN12_GLOBAL__N_135rocblas_gemm_batched_general_kernelIdLi16ELi16ELi32ELi32ELi8ELi32ELi8ELi8ELi32ELc84ELc84EKPKdS3_KPdEEvlllT_PT11_llS8_llS6_PT12_llPT13_lli.num_agpr, 0
	.set _ZN12_GLOBAL__N_135rocblas_gemm_batched_general_kernelIdLi16ELi16ELi32ELi32ELi8ELi32ELi8ELi8ELi32ELc84ELc84EKPKdS3_KPdEEvlllT_PT11_llS8_llS6_PT12_llPT13_lli.numbered_sgpr, 52
	.set _ZN12_GLOBAL__N_135rocblas_gemm_batched_general_kernelIdLi16ELi16ELi32ELi32ELi8ELi32ELi8ELi8ELi32ELc84ELc84EKPKdS3_KPdEEvlllT_PT11_llS8_llS6_PT12_llPT13_lli.num_named_barrier, 0
	.set _ZN12_GLOBAL__N_135rocblas_gemm_batched_general_kernelIdLi16ELi16ELi32ELi32ELi8ELi32ELi8ELi8ELi32ELc84ELc84EKPKdS3_KPdEEvlllT_PT11_llS8_llS6_PT12_llPT13_lli.private_seg_size, 0
	.set _ZN12_GLOBAL__N_135rocblas_gemm_batched_general_kernelIdLi16ELi16ELi32ELi32ELi8ELi32ELi8ELi8ELi32ELc84ELc84EKPKdS3_KPdEEvlllT_PT11_llS8_llS6_PT12_llPT13_lli.uses_vcc, 1
	.set _ZN12_GLOBAL__N_135rocblas_gemm_batched_general_kernelIdLi16ELi16ELi32ELi32ELi8ELi32ELi8ELi8ELi32ELc84ELc84EKPKdS3_KPdEEvlllT_PT11_llS8_llS6_PT12_llPT13_lli.uses_flat_scratch, 0
	.set _ZN12_GLOBAL__N_135rocblas_gemm_batched_general_kernelIdLi16ELi16ELi32ELi32ELi8ELi32ELi8ELi8ELi32ELc84ELc84EKPKdS3_KPdEEvlllT_PT11_llS8_llS6_PT12_llPT13_lli.has_dyn_sized_stack, 0
	.set _ZN12_GLOBAL__N_135rocblas_gemm_batched_general_kernelIdLi16ELi16ELi32ELi32ELi8ELi32ELi8ELi8ELi32ELc84ELc84EKPKdS3_KPdEEvlllT_PT11_llS8_llS6_PT12_llPT13_lli.has_recursion, 0
	.set _ZN12_GLOBAL__N_135rocblas_gemm_batched_general_kernelIdLi16ELi16ELi32ELi32ELi8ELi32ELi8ELi8ELi32ELc84ELc84EKPKdS3_KPdEEvlllT_PT11_llS8_llS6_PT12_llPT13_lli.has_indirect_call, 0
	.section	.AMDGPU.csdata,"",@progbits
; Kernel info:
; codeLenInByte = 2120
; TotalNumSgprs: 54
; NumVgprs: 44
; ScratchSize: 0
; MemoryBound: 0
; FloatMode: 240
; IeeeMode: 1
; LDSByteSize: 4096 bytes/workgroup (compile time only)
; SGPRBlocks: 0
; VGPRBlocks: 5
; NumSGPRsForWavesPerEU: 54
; NumVGPRsForWavesPerEU: 44
; Occupancy: 16
; WaveLimiterHint : 1
; COMPUTE_PGM_RSRC2:SCRATCH_EN: 0
; COMPUTE_PGM_RSRC2:USER_SGPR: 6
; COMPUTE_PGM_RSRC2:TRAP_HANDLER: 0
; COMPUTE_PGM_RSRC2:TGID_X_EN: 1
; COMPUTE_PGM_RSRC2:TGID_Y_EN: 1
; COMPUTE_PGM_RSRC2:TGID_Z_EN: 1
; COMPUTE_PGM_RSRC2:TIDIG_COMP_CNT: 1
	.section	.text._ZN12_GLOBAL__N_135rocblas_gemm_batched_general_kernelIdLi16ELi16ELi32ELi32ELi8ELi32ELi8ELi8ELi32ELc67ELc67EKPKdS3_KPdEEvlllT_PT11_llS8_llS6_PT12_llPT13_lli,"axG",@progbits,_ZN12_GLOBAL__N_135rocblas_gemm_batched_general_kernelIdLi16ELi16ELi32ELi32ELi8ELi32ELi8ELi8ELi32ELc67ELc67EKPKdS3_KPdEEvlllT_PT11_llS8_llS6_PT12_llPT13_lli,comdat
	.globl	_ZN12_GLOBAL__N_135rocblas_gemm_batched_general_kernelIdLi16ELi16ELi32ELi32ELi8ELi32ELi8ELi8ELi32ELc67ELc67EKPKdS3_KPdEEvlllT_PT11_llS8_llS6_PT12_llPT13_lli ; -- Begin function _ZN12_GLOBAL__N_135rocblas_gemm_batched_general_kernelIdLi16ELi16ELi32ELi32ELi8ELi32ELi8ELi8ELi32ELc67ELc67EKPKdS3_KPdEEvlllT_PT11_llS8_llS6_PT12_llPT13_lli
	.p2align	8
	.type	_ZN12_GLOBAL__N_135rocblas_gemm_batched_general_kernelIdLi16ELi16ELi32ELi32ELi8ELi32ELi8ELi8ELi32ELc67ELc67EKPKdS3_KPdEEvlllT_PT11_llS8_llS6_PT12_llPT13_lli,@function
_ZN12_GLOBAL__N_135rocblas_gemm_batched_general_kernelIdLi16ELi16ELi32ELi32ELi8ELi32ELi8ELi8ELi32ELc67ELc67EKPKdS3_KPdEEvlllT_PT11_llS8_llS6_PT12_llPT13_lli: ; @_ZN12_GLOBAL__N_135rocblas_gemm_batched_general_kernelIdLi16ELi16ELi32ELi32ELi8ELi32ELi8ELi8ELi32ELc67ELc67EKPKdS3_KPdEEvlllT_PT11_llS8_llS6_PT12_llPT13_lli
; %bb.0:
	s_clause 0x1
	s_load_dwordx16 s[36:51], s[4:5], 0x40
	s_load_dwordx16 s[12:27], s[4:5], 0x0
	s_mov_b32 s9, 0
	s_mov_b32 s28, s7
	s_lshl_b64 s[0:1], s[8:9], 3
	s_waitcnt lgkmcnt(0)
	s_add_u32 s2, s42, s0
	s_addc_u32 s3, s43, s1
	s_add_u32 s10, s48, s0
	s_addc_u32 s11, s49, s1
	s_load_dwordx2 s[8:9], s[2:3], 0x0
	s_load_dwordx2 s[2:3], s[10:11], 0x0
	v_cmp_lt_i64_e64 s10, s[16:17], 1
	s_ashr_i32 s7, s6, 31
	s_ashr_i32 s29, s28, 31
	s_lshl_b64 s[6:7], s[6:7], 5
	s_and_b32 vcc_lo, exec_lo, s10
	s_lshl_b64 s[10:11], s[28:29], 5
	s_cbranch_vccnz .LBB23_7
; %bb.1:
	v_lshl_add_u32 v8, v1, 4, v0
	v_and_b32_e32 v18, 7, v0
	s_add_u32 s26, s26, s0
	s_addc_u32 s27, s27, s1
	v_mov_b32_e32 v3, s7
	v_and_b32_e32 v9, 31, v8
	v_mad_u64_u32 v[4:5], null, s36, v18, 0
	v_lshrrev_b32_e32 v10, 3, v8
	s_add_u32 s0, s20, s0
	v_or_b32_e32 v2, s6, v9
	s_addc_u32 s1, s21, s1
	s_load_dwordx2 s[20:21], s[26:27], 0x0
	s_load_dwordx2 s[26:27], s[0:1], 0x0
	v_add_co_u32 v6, s0, v10, s10
	v_add_co_ci_u32_e64 v7, null, 0, s11, s0
	v_cmp_gt_i64_e64 s0, s[12:13], v[2:3]
	v_mov_b32_e32 v2, v5
	v_lshlrev_b32_e32 v5, 3, v18
	v_cmp_gt_i64_e64 s1, s[14:15], v[6:7]
	v_add_co_u32 v6, s30, s6, v9
	v_mad_u64_u32 v[2:3], null, s37, v18, v[2:3]
	v_lshl_or_b32 v3, v10, 6, v5
	v_add_co_ci_u32_e64 v7, null, s7, 0, s30
	v_lshlrev_b32_e32 v11, 3, v9
	v_mul_lo_u32 v9, s23, v6
	v_add_nc_u32_e32 v21, 0x800, v3
	v_mov_b32_e32 v5, v2
	v_mul_lo_u32 v7, s22, v7
	v_mad_u64_u32 v[2:3], null, s22, v6, 0
	s_lshl_b64 s[22:23], s[28:29], 8
	v_lshlrev_b64 v[4:5], 3, v[4:5]
	s_lshl_b64 s[28:29], s[38:39], 3
	v_and_b32_e32 v6, 0x1ff8, v8
	s_add_u32 s22, s28, s22
	s_addc_u32 s23, s29, s23
	v_add3_u32 v3, v3, v7, v9
	v_add_co_u32 v4, vcc_lo, s22, v4
	v_lshrrev_b32_e32 v19, 5, v8
	v_add_co_ci_u32_e64 v5, null, s23, v5, vcc_lo
	v_lshlrev_b64 v[2:3], 3, v[2:3]
	v_add_co_u32 v4, vcc_lo, v4, v6
	s_lshl_b64 s[22:23], s[24:25], 3
	v_add_co_ci_u32_e64 v5, null, 0, v5, vcc_lo
	v_add_co_u32 v2, vcc_lo, v2, s22
	v_lshlrev_b32_e32 v6, 3, v19
	v_add_co_ci_u32_e64 v3, null, s23, v3, vcc_lo
	s_waitcnt lgkmcnt(0)
	v_add_co_u32 v10, vcc_lo, s20, v4
	v_lshl_or_b32 v20, v19, 8, v11
	v_add_co_ci_u32_e64 v11, null, s21, v5, vcc_lo
	v_add_co_u32 v12, vcc_lo, v2, v6
	v_add_co_ci_u32_e64 v13, null, 0, v3, vcc_lo
	v_mov_b32_e32 v2, 0
	v_add_co_u32 v12, vcc_lo, s26, v12
	v_mov_b32_e32 v4, 0
	v_mov_b32_e32 v6, 0
	;; [unrolled: 1-line block ×3, first 2 shown]
	v_lshlrev_b32_e32 v22, 3, v0
	v_lshl_add_u32 v23, v1, 6, 0x800
	v_mov_b32_e32 v3, 0
	v_mov_b32_e32 v5, 0
	;; [unrolled: 1-line block ×4, first 2 shown]
	v_add_co_ci_u32_e64 v13, null, s27, v13, vcc_lo
	s_lshl_b64 s[20:21], s[36:37], 6
	s_mov_b64 s[22:23], 0
	s_branch .LBB23_3
.LBB23_2:                               ;   in Loop: Header=BB23_3 Depth=1
	s_or_b32 exec_lo, exec_lo, s24
	s_waitcnt vmcnt(0) lgkmcnt(0)
	ds_write_b64 v21, v[16:17]
	s_waitcnt lgkmcnt(0)
	s_barrier
	buffer_gl0_inv
	ds_read_b128 v[14:17], v23
	ds_read2_b64 v[24:27], v22 offset1:16
	ds_read_b128 v[28:31], v23 offset:1024
	ds_read_b128 v[32:35], v23 offset:16
	ds_read2_b64 v[36:39], v22 offset0:32 offset1:48
	ds_read_b128 v[40:43], v23 offset:1040
	s_add_u32 s22, s22, 8
	s_addc_u32 s23, s23, 0
	v_add_co_u32 v10, vcc_lo, v10, s20
	v_cmp_lt_i64_e64 s24, s[22:23], s[16:17]
	v_add_co_ci_u32_e64 v11, null, s21, v11, vcc_lo
	v_add_co_u32 v12, vcc_lo, v12, 64
	v_add_co_ci_u32_e64 v13, null, 0, v13, vcc_lo
	s_and_b32 vcc_lo, exec_lo, s24
	s_waitcnt lgkmcnt(4)
	v_fma_f64 v[8:9], v[24:25], v[14:15], v[8:9]
	v_fma_f64 v[6:7], v[26:27], v[14:15], v[6:7]
	s_waitcnt lgkmcnt(3)
	v_fma_f64 v[14:15], v[24:25], v[28:29], v[4:5]
	v_fma_f64 v[24:25], v[26:27], v[28:29], v[2:3]
	ds_read2_b64 v[2:5], v22 offset0:64 offset1:80
	s_waitcnt lgkmcnt(2)
	v_fma_f64 v[26:27], v[36:37], v[16:17], v[8:9]
	v_fma_f64 v[16:17], v[38:39], v[16:17], v[6:7]
	;; [unrolled: 1-line block ×4, first 2 shown]
	ds_read2_b64 v[6:9], v22 offset0:96 offset1:112
	s_waitcnt lgkmcnt(1)
	v_fma_f64 v[26:27], v[2:3], v[32:33], v[26:27]
	v_fma_f64 v[28:29], v[4:5], v[32:33], v[16:17]
	;; [unrolled: 1-line block ×4, first 2 shown]
	ds_read_b128 v[2:5], v23 offset:32
	ds_read2_b64 v[14:17], v22 offset0:128 offset1:144
	s_waitcnt lgkmcnt(2)
	v_fma_f64 v[36:37], v[6:7], v[34:35], v[26:27]
	v_fma_f64 v[38:39], v[8:9], v[34:35], v[28:29]
	;; [unrolled: 1-line block ×4, first 2 shown]
	ds_read_b128 v[6:9], v23 offset:1056
	ds_read_b128 v[24:27], v23 offset:48
	ds_read2_b64 v[28:31], v22 offset0:160 offset1:176
	ds_read_b128 v[32:35], v23 offset:1072
	s_waitcnt lgkmcnt(4)
	v_fma_f64 v[36:37], v[14:15], v[2:3], v[36:37]
	v_fma_f64 v[2:3], v[16:17], v[2:3], v[38:39]
	s_waitcnt lgkmcnt(3)
	v_fma_f64 v[38:39], v[14:15], v[6:7], v[40:41]
	v_fma_f64 v[6:7], v[16:17], v[6:7], v[42:43]
	ds_read2_b64 v[14:17], v22 offset0:192 offset1:208
	s_waitcnt lgkmcnt(2)
	v_fma_f64 v[36:37], v[28:29], v[4:5], v[36:37]
	v_fma_f64 v[2:3], v[30:31], v[4:5], v[2:3]
	;; [unrolled: 1-line block ×4, first 2 shown]
	ds_read2_b64 v[28:31], v22 offset0:224 offset1:240
	s_waitcnt lgkmcnt(0)
	s_barrier
	buffer_gl0_inv
	v_fma_f64 v[8:9], v[14:15], v[24:25], v[36:37]
	v_fma_f64 v[2:3], v[16:17], v[24:25], v[2:3]
	;; [unrolled: 1-line block ×8, first 2 shown]
	s_cbranch_vccz .LBB23_8
.LBB23_3:                               ; =>This Inner Loop Header: Depth=1
	v_add_co_u32 v14, s24, v19, s22
	v_add_co_ci_u32_e64 v15, null, 0, s23, s24
	v_cmp_gt_i64_e32 vcc_lo, s[16:17], v[14:15]
	v_mov_b32_e32 v14, 0
	v_mov_b32_e32 v15, 0
	s_and_b32 s25, s0, vcc_lo
	s_and_saveexec_b32 s24, s25
	s_cbranch_execz .LBB23_5
; %bb.4:                                ;   in Loop: Header=BB23_3 Depth=1
	flat_load_dwordx2 v[14:15], v[12:13]
.LBB23_5:                               ;   in Loop: Header=BB23_3 Depth=1
	s_or_b32 exec_lo, exec_lo, s24
	v_add_co_u32 v16, s24, v18, s22
	v_add_co_ci_u32_e64 v17, null, 0, s23, s24
	s_waitcnt vmcnt(0) lgkmcnt(0)
	ds_write_b64 v20, v[14:15]
	v_cmp_gt_i64_e32 vcc_lo, s[16:17], v[16:17]
	v_mov_b32_e32 v16, 0
	v_mov_b32_e32 v17, 0
	s_and_b32 s25, vcc_lo, s1
	s_and_saveexec_b32 s24, s25
	s_cbranch_execz .LBB23_2
; %bb.6:                                ;   in Loop: Header=BB23_3 Depth=1
	flat_load_dwordx2 v[16:17], v[10:11]
	s_branch .LBB23_2
.LBB23_7:
	v_mov_b32_e32 v8, 0
	v_mov_b32_e32 v6, 0
	;; [unrolled: 1-line block ×8, first 2 shown]
.LBB23_8:
	s_load_dwordx2 s[0:1], s[4:5], 0x80
	v_cmp_neq_f64_e64 s16, s[40:41], 0
	v_add_co_u32 v10, s4, s10, v1
	v_add_co_ci_u32_e64 v11, null, s11, 0, s4
	s_waitcnt lgkmcnt(0)
	s_lshl_b64 s[4:5], s[0:1], 3
	v_cmp_gt_i64_e64 s0, s[14:15], v[10:11]
	s_add_u32 s4, s2, s4
	s_addc_u32 s3, s3, s5
	s_and_b32 vcc_lo, exec_lo, s16
	s_cbranch_vccnz .LBB23_21
; %bb.9:
	s_and_saveexec_b32 s5, s0
	s_cbranch_execz .LBB23_19
; %bb.10:
	v_mul_lo_u32 v1, v11, s50
	v_mul_lo_u32 v14, v10, s51
	v_mad_u64_u32 v[12:13], null, v10, s50, 0
	v_add3_u32 v13, v13, v14, v1
	v_add_co_u32 v14, s1, s6, v0
	v_add_co_ci_u32_e64 v15, null, s7, 0, s1
	v_lshlrev_b64 v[16:17], 3, v[12:13]
	v_cmp_gt_i64_e32 vcc_lo, s[12:13], v[14:15]
	v_lshlrev_b64 v[12:13], 3, v[14:15]
	v_add_co_u32 v1, s1, s4, v16
	v_add_co_ci_u32_e64 v16, null, s3, v17, s1
	s_and_saveexec_b32 s2, vcc_lo
	s_cbranch_execz .LBB23_12
; %bb.11:
	v_mul_f64 v[17:18], s[18:19], v[8:9]
	v_add_co_u32 v19, s1, v1, v12
	v_add_co_ci_u32_e64 v20, null, v16, v13, s1
	flat_store_dwordx2 v[19:20], v[17:18]
.LBB23_12:
	s_or_b32 exec_lo, exec_lo, s2
	v_add_co_u32 v14, s1, v14, 16
	v_add_co_ci_u32_e64 v15, null, 0, v15, s1
	v_cmp_gt_i64_e64 s1, s[12:13], v[14:15]
	s_and_saveexec_b32 s10, s1
	s_cbranch_execz .LBB23_14
; %bb.13:
	v_mul_f64 v[14:15], s[18:19], v[6:7]
	v_add_co_u32 v17, s2, v1, v12
	v_add_co_ci_u32_e64 v18, null, v16, v13, s2
	flat_store_dwordx2 v[17:18], v[14:15] offset:128
.LBB23_14:
	s_or_b32 exec_lo, exec_lo, s10
	v_add_co_u32 v14, s2, v10, 16
	v_add_co_ci_u32_e64 v15, null, 0, v11, s2
	v_cmp_gt_i64_e64 s2, s[14:15], v[14:15]
	s_and_b32 exec_lo, exec_lo, s2
	s_cbranch_execz .LBB23_19
; %bb.15:
	s_lshl_b64 s[10:11], s[50:51], 7
	v_add_co_u32 v1, s2, v1, s10
	v_add_co_ci_u32_e64 v14, null, s11, v16, s2
	v_add_co_u32 v12, s2, v1, v12
	v_add_co_ci_u32_e64 v13, null, v14, v13, s2
	s_and_saveexec_b32 s2, vcc_lo
	s_cbranch_execz .LBB23_17
; %bb.16:
	v_mul_f64 v[14:15], s[18:19], v[4:5]
	flat_store_dwordx2 v[12:13], v[14:15]
.LBB23_17:
	s_or_b32 exec_lo, exec_lo, s2
	s_and_b32 exec_lo, exec_lo, s1
	s_cbranch_execz .LBB23_19
; %bb.18:
	v_mul_f64 v[14:15], s[18:19], v[2:3]
	flat_store_dwordx2 v[12:13], v[14:15] offset:128
.LBB23_19:
	s_or_b32 exec_lo, exec_lo, s5
	s_cbranch_execz .LBB23_22
.LBB23_20:
	s_endpgm
.LBB23_21:
.LBB23_22:
	s_and_saveexec_b32 s1, s0
	s_cbranch_execz .LBB23_20
; %bb.23:
	v_mul_lo_u32 v1, v11, s44
	v_mul_lo_u32 v12, v10, s45
	v_mad_u64_u32 v[14:15], null, v10, s44, 0
	v_mul_lo_u32 v18, v11, s50
	v_mul_lo_u32 v19, v10, s51
	v_mad_u64_u32 v[16:17], null, v10, s50, 0
	s_lshl_b64 s[0:1], s[46:47], 3
	v_add3_u32 v15, v15, v12, v1
	v_add_co_u32 v12, s2, s6, v0
	v_add_co_ci_u32_e64 v13, null, s7, 0, s2
	v_add3_u32 v17, v17, v19, v18
	v_lshlrev_b64 v[0:1], 3, v[14:15]
	s_add_u32 s0, s8, s0
	s_addc_u32 s1, s9, s1
	v_cmp_gt_i64_e32 vcc_lo, s[12:13], v[12:13]
	v_lshlrev_b64 v[16:17], 3, v[16:17]
	v_add_co_u32 v14, s0, s0, v0
	v_add_co_ci_u32_e64 v15, null, s1, v1, s0
	v_add_co_u32 v16, s0, s4, v16
	v_lshlrev_b64 v[0:1], 3, v[12:13]
	v_add_co_ci_u32_e64 v17, null, s3, v17, s0
	s_and_saveexec_b32 s1, vcc_lo
	s_cbranch_execz .LBB23_25
; %bb.24:
	v_add_co_u32 v18, s0, v14, v0
	v_add_co_ci_u32_e64 v19, null, v15, v1, s0
	flat_load_dwordx2 v[18:19], v[18:19]
	s_waitcnt vmcnt(0) lgkmcnt(0)
	v_mul_f64 v[18:19], s[40:41], v[18:19]
	v_fma_f64 v[8:9], s[18:19], v[8:9], v[18:19]
	v_add_co_u32 v18, s0, v16, v0
	v_add_co_ci_u32_e64 v19, null, v17, v1, s0
	flat_store_dwordx2 v[18:19], v[8:9]
.LBB23_25:
	s_or_b32 exec_lo, exec_lo, s1
	v_add_co_u32 v8, s0, v12, 16
	v_add_co_ci_u32_e64 v9, null, 0, v13, s0
	v_cmp_gt_i64_e64 s0, s[12:13], v[8:9]
	s_and_saveexec_b32 s2, s0
	s_cbranch_execz .LBB23_27
; %bb.26:
	v_add_co_u32 v8, s1, v14, v0
	v_add_co_ci_u32_e64 v9, null, v15, v1, s1
	flat_load_dwordx2 v[8:9], v[8:9] offset:128
	s_waitcnt vmcnt(0) lgkmcnt(0)
	v_mul_f64 v[8:9], s[40:41], v[8:9]
	v_fma_f64 v[6:7], s[18:19], v[6:7], v[8:9]
	v_add_co_u32 v8, s1, v16, v0
	v_add_co_ci_u32_e64 v9, null, v17, v1, s1
	flat_store_dwordx2 v[8:9], v[6:7] offset:128
.LBB23_27:
	s_or_b32 exec_lo, exec_lo, s2
	v_add_co_u32 v6, s1, v10, 16
	v_add_co_ci_u32_e64 v7, null, 0, v11, s1
	v_cmp_gt_i64_e64 s1, s[14:15], v[6:7]
	s_and_b32 exec_lo, exec_lo, s1
	s_cbranch_execz .LBB23_20
; %bb.28:
	s_lshl_b64 s[2:3], s[44:45], 7
	v_add_co_u32 v6, s1, v14, s2
	v_add_co_ci_u32_e64 v7, null, s3, v15, s1
	s_lshl_b64 s[2:3], s[50:51], 7
	v_add_co_u32 v8, s1, v16, s2
	v_add_co_ci_u32_e64 v9, null, s3, v17, s1
	v_add_co_u32 v6, s1, v6, v0
	v_add_co_ci_u32_e64 v7, null, v7, v1, s1
	;; [unrolled: 2-line block ×3, first 2 shown]
	s_and_saveexec_b32 s1, vcc_lo
	s_cbranch_execz .LBB23_30
; %bb.29:
	flat_load_dwordx2 v[8:9], v[6:7]
	s_waitcnt vmcnt(0) lgkmcnt(0)
	v_mul_f64 v[8:9], s[40:41], v[8:9]
	v_fma_f64 v[4:5], s[18:19], v[4:5], v[8:9]
	flat_store_dwordx2 v[0:1], v[4:5]
.LBB23_30:
	s_or_b32 exec_lo, exec_lo, s1
	s_and_b32 exec_lo, exec_lo, s0
	s_cbranch_execz .LBB23_20
; %bb.31:
	flat_load_dwordx2 v[4:5], v[6:7] offset:128
	s_waitcnt vmcnt(0) lgkmcnt(0)
	v_mul_f64 v[4:5], s[40:41], v[4:5]
	v_fma_f64 v[2:3], s[18:19], v[2:3], v[4:5]
	flat_store_dwordx2 v[0:1], v[2:3] offset:128
	s_endpgm
	.section	.rodata,"a",@progbits
	.p2align	6, 0x0
	.amdhsa_kernel _ZN12_GLOBAL__N_135rocblas_gemm_batched_general_kernelIdLi16ELi16ELi32ELi32ELi8ELi32ELi8ELi8ELi32ELc67ELc67EKPKdS3_KPdEEvlllT_PT11_llS8_llS6_PT12_llPT13_lli
		.amdhsa_group_segment_fixed_size 4096
		.amdhsa_private_segment_fixed_size 0
		.amdhsa_kernarg_size 140
		.amdhsa_user_sgpr_count 6
		.amdhsa_user_sgpr_private_segment_buffer 1
		.amdhsa_user_sgpr_dispatch_ptr 0
		.amdhsa_user_sgpr_queue_ptr 0
		.amdhsa_user_sgpr_kernarg_segment_ptr 1
		.amdhsa_user_sgpr_dispatch_id 0
		.amdhsa_user_sgpr_flat_scratch_init 0
		.amdhsa_user_sgpr_private_segment_size 0
		.amdhsa_wavefront_size32 1
		.amdhsa_uses_dynamic_stack 0
		.amdhsa_system_sgpr_private_segment_wavefront_offset 0
		.amdhsa_system_sgpr_workgroup_id_x 1
		.amdhsa_system_sgpr_workgroup_id_y 1
		.amdhsa_system_sgpr_workgroup_id_z 1
		.amdhsa_system_sgpr_workgroup_info 0
		.amdhsa_system_vgpr_workitem_id 1
		.amdhsa_next_free_vgpr 44
		.amdhsa_next_free_sgpr 52
		.amdhsa_reserve_vcc 1
		.amdhsa_reserve_flat_scratch 0
		.amdhsa_float_round_mode_32 0
		.amdhsa_float_round_mode_16_64 0
		.amdhsa_float_denorm_mode_32 3
		.amdhsa_float_denorm_mode_16_64 3
		.amdhsa_dx10_clamp 1
		.amdhsa_ieee_mode 1
		.amdhsa_fp16_overflow 0
		.amdhsa_workgroup_processor_mode 1
		.amdhsa_memory_ordered 1
		.amdhsa_forward_progress 1
		.amdhsa_shared_vgpr_count 0
		.amdhsa_exception_fp_ieee_invalid_op 0
		.amdhsa_exception_fp_denorm_src 0
		.amdhsa_exception_fp_ieee_div_zero 0
		.amdhsa_exception_fp_ieee_overflow 0
		.amdhsa_exception_fp_ieee_underflow 0
		.amdhsa_exception_fp_ieee_inexact 0
		.amdhsa_exception_int_div_zero 0
	.end_amdhsa_kernel
	.section	.text._ZN12_GLOBAL__N_135rocblas_gemm_batched_general_kernelIdLi16ELi16ELi32ELi32ELi8ELi32ELi8ELi8ELi32ELc67ELc67EKPKdS3_KPdEEvlllT_PT11_llS8_llS6_PT12_llPT13_lli,"axG",@progbits,_ZN12_GLOBAL__N_135rocblas_gemm_batched_general_kernelIdLi16ELi16ELi32ELi32ELi8ELi32ELi8ELi8ELi32ELc67ELc67EKPKdS3_KPdEEvlllT_PT11_llS8_llS6_PT12_llPT13_lli,comdat
.Lfunc_end23:
	.size	_ZN12_GLOBAL__N_135rocblas_gemm_batched_general_kernelIdLi16ELi16ELi32ELi32ELi8ELi32ELi8ELi8ELi32ELc67ELc67EKPKdS3_KPdEEvlllT_PT11_llS8_llS6_PT12_llPT13_lli, .Lfunc_end23-_ZN12_GLOBAL__N_135rocblas_gemm_batched_general_kernelIdLi16ELi16ELi32ELi32ELi8ELi32ELi8ELi8ELi32ELc67ELc67EKPKdS3_KPdEEvlllT_PT11_llS8_llS6_PT12_llPT13_lli
                                        ; -- End function
	.set _ZN12_GLOBAL__N_135rocblas_gemm_batched_general_kernelIdLi16ELi16ELi32ELi32ELi8ELi32ELi8ELi8ELi32ELc67ELc67EKPKdS3_KPdEEvlllT_PT11_llS8_llS6_PT12_llPT13_lli.num_vgpr, 44
	.set _ZN12_GLOBAL__N_135rocblas_gemm_batched_general_kernelIdLi16ELi16ELi32ELi32ELi8ELi32ELi8ELi8ELi32ELc67ELc67EKPKdS3_KPdEEvlllT_PT11_llS8_llS6_PT12_llPT13_lli.num_agpr, 0
	.set _ZN12_GLOBAL__N_135rocblas_gemm_batched_general_kernelIdLi16ELi16ELi32ELi32ELi8ELi32ELi8ELi8ELi32ELc67ELc67EKPKdS3_KPdEEvlllT_PT11_llS8_llS6_PT12_llPT13_lli.numbered_sgpr, 52
	.set _ZN12_GLOBAL__N_135rocblas_gemm_batched_general_kernelIdLi16ELi16ELi32ELi32ELi8ELi32ELi8ELi8ELi32ELc67ELc67EKPKdS3_KPdEEvlllT_PT11_llS8_llS6_PT12_llPT13_lli.num_named_barrier, 0
	.set _ZN12_GLOBAL__N_135rocblas_gemm_batched_general_kernelIdLi16ELi16ELi32ELi32ELi8ELi32ELi8ELi8ELi32ELc67ELc67EKPKdS3_KPdEEvlllT_PT11_llS8_llS6_PT12_llPT13_lli.private_seg_size, 0
	.set _ZN12_GLOBAL__N_135rocblas_gemm_batched_general_kernelIdLi16ELi16ELi32ELi32ELi8ELi32ELi8ELi8ELi32ELc67ELc67EKPKdS3_KPdEEvlllT_PT11_llS8_llS6_PT12_llPT13_lli.uses_vcc, 1
	.set _ZN12_GLOBAL__N_135rocblas_gemm_batched_general_kernelIdLi16ELi16ELi32ELi32ELi8ELi32ELi8ELi8ELi32ELc67ELc67EKPKdS3_KPdEEvlllT_PT11_llS8_llS6_PT12_llPT13_lli.uses_flat_scratch, 0
	.set _ZN12_GLOBAL__N_135rocblas_gemm_batched_general_kernelIdLi16ELi16ELi32ELi32ELi8ELi32ELi8ELi8ELi32ELc67ELc67EKPKdS3_KPdEEvlllT_PT11_llS8_llS6_PT12_llPT13_lli.has_dyn_sized_stack, 0
	.set _ZN12_GLOBAL__N_135rocblas_gemm_batched_general_kernelIdLi16ELi16ELi32ELi32ELi8ELi32ELi8ELi8ELi32ELc67ELc67EKPKdS3_KPdEEvlllT_PT11_llS8_llS6_PT12_llPT13_lli.has_recursion, 0
	.set _ZN12_GLOBAL__N_135rocblas_gemm_batched_general_kernelIdLi16ELi16ELi32ELi32ELi8ELi32ELi8ELi8ELi32ELc67ELc67EKPKdS3_KPdEEvlllT_PT11_llS8_llS6_PT12_llPT13_lli.has_indirect_call, 0
	.section	.AMDGPU.csdata,"",@progbits
; Kernel info:
; codeLenInByte = 2120
; TotalNumSgprs: 54
; NumVgprs: 44
; ScratchSize: 0
; MemoryBound: 0
; FloatMode: 240
; IeeeMode: 1
; LDSByteSize: 4096 bytes/workgroup (compile time only)
; SGPRBlocks: 0
; VGPRBlocks: 5
; NumSGPRsForWavesPerEU: 54
; NumVGPRsForWavesPerEU: 44
; Occupancy: 16
; WaveLimiterHint : 1
; COMPUTE_PGM_RSRC2:SCRATCH_EN: 0
; COMPUTE_PGM_RSRC2:USER_SGPR: 6
; COMPUTE_PGM_RSRC2:TRAP_HANDLER: 0
; COMPUTE_PGM_RSRC2:TGID_X_EN: 1
; COMPUTE_PGM_RSRC2:TGID_Y_EN: 1
; COMPUTE_PGM_RSRC2:TGID_Z_EN: 1
; COMPUTE_PGM_RSRC2:TIDIG_COMP_CNT: 1
	.section	.text._ZN12_GLOBAL__N_135rocblas_gemm_batched_general_kernelIdLi16ELi16ELi32ELi32ELi8ELi32ELi8ELi8ELi32ELc67ELc78EKPKdS3_KPdEEvlllT_PT11_llS8_llS6_PT12_llPT13_lli,"axG",@progbits,_ZN12_GLOBAL__N_135rocblas_gemm_batched_general_kernelIdLi16ELi16ELi32ELi32ELi8ELi32ELi8ELi8ELi32ELc67ELc78EKPKdS3_KPdEEvlllT_PT11_llS8_llS6_PT12_llPT13_lli,comdat
	.globl	_ZN12_GLOBAL__N_135rocblas_gemm_batched_general_kernelIdLi16ELi16ELi32ELi32ELi8ELi32ELi8ELi8ELi32ELc67ELc78EKPKdS3_KPdEEvlllT_PT11_llS8_llS6_PT12_llPT13_lli ; -- Begin function _ZN12_GLOBAL__N_135rocblas_gemm_batched_general_kernelIdLi16ELi16ELi32ELi32ELi8ELi32ELi8ELi8ELi32ELc67ELc78EKPKdS3_KPdEEvlllT_PT11_llS8_llS6_PT12_llPT13_lli
	.p2align	8
	.type	_ZN12_GLOBAL__N_135rocblas_gemm_batched_general_kernelIdLi16ELi16ELi32ELi32ELi8ELi32ELi8ELi8ELi32ELc67ELc78EKPKdS3_KPdEEvlllT_PT11_llS8_llS6_PT12_llPT13_lli,@function
_ZN12_GLOBAL__N_135rocblas_gemm_batched_general_kernelIdLi16ELi16ELi32ELi32ELi8ELi32ELi8ELi8ELi32ELc67ELc78EKPKdS3_KPdEEvlllT_PT11_llS8_llS6_PT12_llPT13_lli: ; @_ZN12_GLOBAL__N_135rocblas_gemm_batched_general_kernelIdLi16ELi16ELi32ELi32ELi8ELi32ELi8ELi8ELi32ELc67ELc78EKPKdS3_KPdEEvlllT_PT11_llS8_llS6_PT12_llPT13_lli
; %bb.0:
	s_clause 0x1
	s_load_dwordx16 s[36:51], s[4:5], 0x40
	s_load_dwordx16 s[12:27], s[4:5], 0x0
	s_mov_b32 s9, 0
	s_mov_b32 s10, s7
	s_lshl_b64 s[0:1], s[8:9], 3
	s_waitcnt lgkmcnt(0)
	s_add_u32 s2, s42, s0
	s_addc_u32 s3, s43, s1
	s_add_u32 s28, s48, s0
	s_addc_u32 s29, s49, s1
	s_load_dwordx2 s[8:9], s[2:3], 0x0
	s_load_dwordx2 s[2:3], s[28:29], 0x0
	v_cmp_lt_i64_e64 s28, s[16:17], 1
	s_ashr_i32 s7, s6, 31
	s_ashr_i32 s11, s10, 31
	s_lshl_b64 s[6:7], s[6:7], 5
	s_lshl_b64 s[10:11], s[10:11], 5
	s_and_b32 vcc_lo, exec_lo, s28
	s_cbranch_vccnz .LBB24_7
; %bb.1:
	v_lshl_add_u32 v2, v1, 4, v0
	s_add_u32 s26, s26, s0
	s_addc_u32 s27, s27, s1
	s_add_u32 s0, s20, s0
	v_mov_b32_e32 v3, s7
	v_lshrrev_b32_e32 v7, 3, v2
	v_and_b32_e32 v6, 31, v2
	v_lshrrev_b32_e32 v19, 5, v2
	v_and_b32_e32 v18, 7, v0
	s_addc_u32 s1, s21, s1
	v_add_co_u32 v4, s20, v7, s10
	v_or_b32_e32 v2, s6, v6
	v_add_co_ci_u32_e64 v5, null, 0, s11, s20
	s_load_dwordx2 s[20:21], s[26:27], 0x0
	s_load_dwordx2 s[26:27], s[0:1], 0x0
	v_mul_lo_u32 v8, s37, v4
	v_cmp_gt_i64_e64 s0, s[12:13], v[2:3]
	v_mul_lo_u32 v9, s36, v5
	v_mad_u64_u32 v[2:3], null, s36, v4, 0
	v_add_co_u32 v11, s1, s6, v6
	v_lshlrev_b32_e32 v10, 3, v18
	v_add_co_ci_u32_e64 v12, null, s7, 0, s1
	v_lshlrev_b32_e32 v13, 3, v6
	v_add3_u32 v3, v3, v9, v8
	v_lshl_or_b32 v14, v7, 6, v10
	v_mul_lo_u32 v8, s23, v11
	v_mul_lo_u32 v9, s22, v12
	v_mad_u64_u32 v[6:7], null, s22, v11, 0
	v_lshlrev_b64 v[2:3], 3, v[2:3]
	s_lshl_b64 s[22:23], s[38:39], 3
	v_cmp_gt_i64_e64 s1, s[14:15], v[4:5]
	v_lshl_or_b32 v20, v19, 8, v13
	v_add_nc_u32_e32 v21, 0x800, v14
	v_lshlrev_b32_e32 v22, 3, v0
	v_add3_u32 v7, v7, v9, v8
	v_add_co_u32 v4, vcc_lo, v2, s22
	v_add_co_ci_u32_e64 v5, null, s23, v3, vcc_lo
	v_lshlrev_b64 v[2:3], 3, v[6:7]
	v_add_co_u32 v4, vcc_lo, v4, v10
	s_lshl_b64 s[22:23], s[24:25], 3
	v_add_co_ci_u32_e64 v5, null, 0, v5, vcc_lo
	v_add_co_u32 v2, vcc_lo, v2, s22
	v_lshlrev_b32_e32 v6, 3, v19
	v_add_co_ci_u32_e64 v3, null, s23, v3, vcc_lo
	s_waitcnt lgkmcnt(0)
	v_add_co_u32 v10, vcc_lo, s20, v4
	v_add_co_ci_u32_e64 v11, null, s21, v5, vcc_lo
	v_add_co_u32 v12, vcc_lo, v2, v6
	v_add_co_ci_u32_e64 v13, null, 0, v3, vcc_lo
	v_mov_b32_e32 v2, 0
	v_add_co_u32 v12, vcc_lo, s26, v12
	v_mov_b32_e32 v4, 0
	v_mov_b32_e32 v6, 0
	v_mov_b32_e32 v8, 0
	v_lshl_add_u32 v23, v1, 6, 0x800
	v_mov_b32_e32 v3, 0
	v_mov_b32_e32 v5, 0
	;; [unrolled: 1-line block ×4, first 2 shown]
	v_add_co_ci_u32_e64 v13, null, s27, v13, vcc_lo
	s_mov_b64 s[20:21], 0
	s_branch .LBB24_3
.LBB24_2:                               ;   in Loop: Header=BB24_3 Depth=1
	s_or_b32 exec_lo, exec_lo, s22
	s_waitcnt vmcnt(0) lgkmcnt(0)
	ds_write_b64 v21, v[16:17]
	s_waitcnt lgkmcnt(0)
	s_barrier
	buffer_gl0_inv
	ds_read_b128 v[14:17], v23
	ds_read2_b64 v[24:27], v22 offset1:16
	ds_read_b128 v[28:31], v23 offset:1024
	ds_read_b128 v[32:35], v23 offset:16
	ds_read2_b64 v[36:39], v22 offset0:32 offset1:48
	ds_read_b128 v[40:43], v23 offset:1040
	s_add_u32 s20, s20, 8
	s_addc_u32 s21, s21, 0
	v_add_co_u32 v10, vcc_lo, v10, 64
	v_cmp_lt_i64_e64 s22, s[20:21], s[16:17]
	v_add_co_ci_u32_e64 v11, null, 0, v11, vcc_lo
	v_add_co_u32 v12, vcc_lo, v12, 64
	v_add_co_ci_u32_e64 v13, null, 0, v13, vcc_lo
	s_and_b32 vcc_lo, exec_lo, s22
	s_waitcnt lgkmcnt(4)
	v_fma_f64 v[8:9], v[24:25], v[14:15], v[8:9]
	v_fma_f64 v[6:7], v[26:27], v[14:15], v[6:7]
	s_waitcnt lgkmcnt(3)
	v_fma_f64 v[14:15], v[24:25], v[28:29], v[4:5]
	v_fma_f64 v[24:25], v[26:27], v[28:29], v[2:3]
	ds_read2_b64 v[2:5], v22 offset0:64 offset1:80
	s_waitcnt lgkmcnt(2)
	v_fma_f64 v[26:27], v[36:37], v[16:17], v[8:9]
	v_fma_f64 v[16:17], v[38:39], v[16:17], v[6:7]
	;; [unrolled: 1-line block ×4, first 2 shown]
	ds_read2_b64 v[6:9], v22 offset0:96 offset1:112
	s_waitcnt lgkmcnt(1)
	v_fma_f64 v[26:27], v[2:3], v[32:33], v[26:27]
	v_fma_f64 v[28:29], v[4:5], v[32:33], v[16:17]
	;; [unrolled: 1-line block ×4, first 2 shown]
	ds_read_b128 v[2:5], v23 offset:32
	ds_read2_b64 v[14:17], v22 offset0:128 offset1:144
	s_waitcnt lgkmcnt(2)
	v_fma_f64 v[36:37], v[6:7], v[34:35], v[26:27]
	v_fma_f64 v[38:39], v[8:9], v[34:35], v[28:29]
	;; [unrolled: 1-line block ×4, first 2 shown]
	ds_read_b128 v[6:9], v23 offset:1056
	ds_read_b128 v[24:27], v23 offset:48
	ds_read2_b64 v[28:31], v22 offset0:160 offset1:176
	ds_read_b128 v[32:35], v23 offset:1072
	s_waitcnt lgkmcnt(4)
	v_fma_f64 v[36:37], v[14:15], v[2:3], v[36:37]
	v_fma_f64 v[2:3], v[16:17], v[2:3], v[38:39]
	s_waitcnt lgkmcnt(3)
	v_fma_f64 v[38:39], v[14:15], v[6:7], v[40:41]
	v_fma_f64 v[6:7], v[16:17], v[6:7], v[42:43]
	ds_read2_b64 v[14:17], v22 offset0:192 offset1:208
	s_waitcnt lgkmcnt(2)
	v_fma_f64 v[36:37], v[28:29], v[4:5], v[36:37]
	v_fma_f64 v[2:3], v[30:31], v[4:5], v[2:3]
	;; [unrolled: 1-line block ×4, first 2 shown]
	ds_read2_b64 v[28:31], v22 offset0:224 offset1:240
	s_waitcnt lgkmcnt(0)
	s_barrier
	buffer_gl0_inv
	v_fma_f64 v[8:9], v[14:15], v[24:25], v[36:37]
	v_fma_f64 v[2:3], v[16:17], v[24:25], v[2:3]
	;; [unrolled: 1-line block ×8, first 2 shown]
	s_cbranch_vccz .LBB24_8
.LBB24_3:                               ; =>This Inner Loop Header: Depth=1
	v_add_co_u32 v14, s22, v19, s20
	v_add_co_ci_u32_e64 v15, null, 0, s21, s22
	v_cmp_gt_i64_e32 vcc_lo, s[16:17], v[14:15]
	v_mov_b32_e32 v14, 0
	v_mov_b32_e32 v15, 0
	s_and_b32 s23, s0, vcc_lo
	s_and_saveexec_b32 s22, s23
	s_cbranch_execz .LBB24_5
; %bb.4:                                ;   in Loop: Header=BB24_3 Depth=1
	flat_load_dwordx2 v[14:15], v[12:13]
.LBB24_5:                               ;   in Loop: Header=BB24_3 Depth=1
	s_or_b32 exec_lo, exec_lo, s22
	v_add_co_u32 v16, s22, v18, s20
	v_add_co_ci_u32_e64 v17, null, 0, s21, s22
	s_waitcnt vmcnt(0) lgkmcnt(0)
	ds_write_b64 v20, v[14:15]
	v_cmp_gt_i64_e32 vcc_lo, s[16:17], v[16:17]
	v_mov_b32_e32 v16, 0
	v_mov_b32_e32 v17, 0
	s_and_b32 s23, vcc_lo, s1
	s_and_saveexec_b32 s22, s23
	s_cbranch_execz .LBB24_2
; %bb.6:                                ;   in Loop: Header=BB24_3 Depth=1
	flat_load_dwordx2 v[16:17], v[10:11]
	s_branch .LBB24_2
.LBB24_7:
	v_mov_b32_e32 v8, 0
	v_mov_b32_e32 v6, 0
	;; [unrolled: 1-line block ×8, first 2 shown]
.LBB24_8:
	s_load_dwordx2 s[0:1], s[4:5], 0x80
	v_cmp_neq_f64_e64 s16, s[40:41], 0
	v_add_co_u32 v10, s4, s10, v1
	v_add_co_ci_u32_e64 v11, null, s11, 0, s4
	s_waitcnt lgkmcnt(0)
	s_lshl_b64 s[4:5], s[0:1], 3
	v_cmp_gt_i64_e64 s0, s[14:15], v[10:11]
	s_add_u32 s4, s2, s4
	s_addc_u32 s3, s3, s5
	s_and_b32 vcc_lo, exec_lo, s16
	s_cbranch_vccnz .LBB24_21
; %bb.9:
	s_and_saveexec_b32 s5, s0
	s_cbranch_execz .LBB24_19
; %bb.10:
	v_mul_lo_u32 v1, v11, s50
	v_mul_lo_u32 v14, v10, s51
	v_mad_u64_u32 v[12:13], null, v10, s50, 0
	v_add3_u32 v13, v13, v14, v1
	v_add_co_u32 v14, s1, s6, v0
	v_add_co_ci_u32_e64 v15, null, s7, 0, s1
	v_lshlrev_b64 v[16:17], 3, v[12:13]
	v_cmp_gt_i64_e32 vcc_lo, s[12:13], v[14:15]
	v_lshlrev_b64 v[12:13], 3, v[14:15]
	v_add_co_u32 v1, s1, s4, v16
	v_add_co_ci_u32_e64 v16, null, s3, v17, s1
	s_and_saveexec_b32 s2, vcc_lo
	s_cbranch_execz .LBB24_12
; %bb.11:
	v_mul_f64 v[17:18], s[18:19], v[8:9]
	v_add_co_u32 v19, s1, v1, v12
	v_add_co_ci_u32_e64 v20, null, v16, v13, s1
	flat_store_dwordx2 v[19:20], v[17:18]
.LBB24_12:
	s_or_b32 exec_lo, exec_lo, s2
	v_add_co_u32 v14, s1, v14, 16
	v_add_co_ci_u32_e64 v15, null, 0, v15, s1
	v_cmp_gt_i64_e64 s1, s[12:13], v[14:15]
	s_and_saveexec_b32 s10, s1
	s_cbranch_execz .LBB24_14
; %bb.13:
	v_mul_f64 v[14:15], s[18:19], v[6:7]
	v_add_co_u32 v17, s2, v1, v12
	v_add_co_ci_u32_e64 v18, null, v16, v13, s2
	flat_store_dwordx2 v[17:18], v[14:15] offset:128
.LBB24_14:
	s_or_b32 exec_lo, exec_lo, s10
	v_add_co_u32 v14, s2, v10, 16
	v_add_co_ci_u32_e64 v15, null, 0, v11, s2
	v_cmp_gt_i64_e64 s2, s[14:15], v[14:15]
	s_and_b32 exec_lo, exec_lo, s2
	s_cbranch_execz .LBB24_19
; %bb.15:
	s_lshl_b64 s[10:11], s[50:51], 7
	v_add_co_u32 v1, s2, v1, s10
	v_add_co_ci_u32_e64 v14, null, s11, v16, s2
	v_add_co_u32 v12, s2, v1, v12
	v_add_co_ci_u32_e64 v13, null, v14, v13, s2
	s_and_saveexec_b32 s2, vcc_lo
	s_cbranch_execz .LBB24_17
; %bb.16:
	v_mul_f64 v[14:15], s[18:19], v[4:5]
	flat_store_dwordx2 v[12:13], v[14:15]
.LBB24_17:
	s_or_b32 exec_lo, exec_lo, s2
	s_and_b32 exec_lo, exec_lo, s1
	s_cbranch_execz .LBB24_19
; %bb.18:
	v_mul_f64 v[14:15], s[18:19], v[2:3]
	flat_store_dwordx2 v[12:13], v[14:15] offset:128
.LBB24_19:
	s_or_b32 exec_lo, exec_lo, s5
	s_cbranch_execz .LBB24_22
.LBB24_20:
	s_endpgm
.LBB24_21:
.LBB24_22:
	s_and_saveexec_b32 s1, s0
	s_cbranch_execz .LBB24_20
; %bb.23:
	v_mul_lo_u32 v1, v11, s44
	v_mul_lo_u32 v12, v10, s45
	v_mad_u64_u32 v[14:15], null, v10, s44, 0
	v_mul_lo_u32 v18, v11, s50
	v_mul_lo_u32 v19, v10, s51
	v_mad_u64_u32 v[16:17], null, v10, s50, 0
	s_lshl_b64 s[0:1], s[46:47], 3
	v_add3_u32 v15, v15, v12, v1
	v_add_co_u32 v12, s2, s6, v0
	v_add_co_ci_u32_e64 v13, null, s7, 0, s2
	v_add3_u32 v17, v17, v19, v18
	v_lshlrev_b64 v[0:1], 3, v[14:15]
	s_add_u32 s0, s8, s0
	s_addc_u32 s1, s9, s1
	v_cmp_gt_i64_e32 vcc_lo, s[12:13], v[12:13]
	v_lshlrev_b64 v[16:17], 3, v[16:17]
	v_add_co_u32 v14, s0, s0, v0
	v_add_co_ci_u32_e64 v15, null, s1, v1, s0
	v_add_co_u32 v16, s0, s4, v16
	v_lshlrev_b64 v[0:1], 3, v[12:13]
	v_add_co_ci_u32_e64 v17, null, s3, v17, s0
	s_and_saveexec_b32 s1, vcc_lo
	s_cbranch_execz .LBB24_25
; %bb.24:
	v_add_co_u32 v18, s0, v14, v0
	v_add_co_ci_u32_e64 v19, null, v15, v1, s0
	flat_load_dwordx2 v[18:19], v[18:19]
	s_waitcnt vmcnt(0) lgkmcnt(0)
	v_mul_f64 v[18:19], s[40:41], v[18:19]
	v_fma_f64 v[8:9], s[18:19], v[8:9], v[18:19]
	v_add_co_u32 v18, s0, v16, v0
	v_add_co_ci_u32_e64 v19, null, v17, v1, s0
	flat_store_dwordx2 v[18:19], v[8:9]
.LBB24_25:
	s_or_b32 exec_lo, exec_lo, s1
	v_add_co_u32 v8, s0, v12, 16
	v_add_co_ci_u32_e64 v9, null, 0, v13, s0
	v_cmp_gt_i64_e64 s0, s[12:13], v[8:9]
	s_and_saveexec_b32 s2, s0
	s_cbranch_execz .LBB24_27
; %bb.26:
	v_add_co_u32 v8, s1, v14, v0
	v_add_co_ci_u32_e64 v9, null, v15, v1, s1
	flat_load_dwordx2 v[8:9], v[8:9] offset:128
	s_waitcnt vmcnt(0) lgkmcnt(0)
	v_mul_f64 v[8:9], s[40:41], v[8:9]
	v_fma_f64 v[6:7], s[18:19], v[6:7], v[8:9]
	v_add_co_u32 v8, s1, v16, v0
	v_add_co_ci_u32_e64 v9, null, v17, v1, s1
	flat_store_dwordx2 v[8:9], v[6:7] offset:128
.LBB24_27:
	s_or_b32 exec_lo, exec_lo, s2
	v_add_co_u32 v6, s1, v10, 16
	v_add_co_ci_u32_e64 v7, null, 0, v11, s1
	v_cmp_gt_i64_e64 s1, s[14:15], v[6:7]
	s_and_b32 exec_lo, exec_lo, s1
	s_cbranch_execz .LBB24_20
; %bb.28:
	s_lshl_b64 s[2:3], s[44:45], 7
	v_add_co_u32 v6, s1, v14, s2
	v_add_co_ci_u32_e64 v7, null, s3, v15, s1
	s_lshl_b64 s[2:3], s[50:51], 7
	v_add_co_u32 v8, s1, v16, s2
	v_add_co_ci_u32_e64 v9, null, s3, v17, s1
	v_add_co_u32 v6, s1, v6, v0
	v_add_co_ci_u32_e64 v7, null, v7, v1, s1
	;; [unrolled: 2-line block ×3, first 2 shown]
	s_and_saveexec_b32 s1, vcc_lo
	s_cbranch_execz .LBB24_30
; %bb.29:
	flat_load_dwordx2 v[8:9], v[6:7]
	s_waitcnt vmcnt(0) lgkmcnt(0)
	v_mul_f64 v[8:9], s[40:41], v[8:9]
	v_fma_f64 v[4:5], s[18:19], v[4:5], v[8:9]
	flat_store_dwordx2 v[0:1], v[4:5]
.LBB24_30:
	s_or_b32 exec_lo, exec_lo, s1
	s_and_b32 exec_lo, exec_lo, s0
	s_cbranch_execz .LBB24_20
; %bb.31:
	flat_load_dwordx2 v[4:5], v[6:7] offset:128
	s_waitcnt vmcnt(0) lgkmcnt(0)
	v_mul_f64 v[4:5], s[40:41], v[4:5]
	v_fma_f64 v[2:3], s[18:19], v[2:3], v[4:5]
	flat_store_dwordx2 v[0:1], v[2:3] offset:128
	s_endpgm
	.section	.rodata,"a",@progbits
	.p2align	6, 0x0
	.amdhsa_kernel _ZN12_GLOBAL__N_135rocblas_gemm_batched_general_kernelIdLi16ELi16ELi32ELi32ELi8ELi32ELi8ELi8ELi32ELc67ELc78EKPKdS3_KPdEEvlllT_PT11_llS8_llS6_PT12_llPT13_lli
		.amdhsa_group_segment_fixed_size 4096
		.amdhsa_private_segment_fixed_size 0
		.amdhsa_kernarg_size 140
		.amdhsa_user_sgpr_count 6
		.amdhsa_user_sgpr_private_segment_buffer 1
		.amdhsa_user_sgpr_dispatch_ptr 0
		.amdhsa_user_sgpr_queue_ptr 0
		.amdhsa_user_sgpr_kernarg_segment_ptr 1
		.amdhsa_user_sgpr_dispatch_id 0
		.amdhsa_user_sgpr_flat_scratch_init 0
		.amdhsa_user_sgpr_private_segment_size 0
		.amdhsa_wavefront_size32 1
		.amdhsa_uses_dynamic_stack 0
		.amdhsa_system_sgpr_private_segment_wavefront_offset 0
		.amdhsa_system_sgpr_workgroup_id_x 1
		.amdhsa_system_sgpr_workgroup_id_y 1
		.amdhsa_system_sgpr_workgroup_id_z 1
		.amdhsa_system_sgpr_workgroup_info 0
		.amdhsa_system_vgpr_workitem_id 1
		.amdhsa_next_free_vgpr 44
		.amdhsa_next_free_sgpr 52
		.amdhsa_reserve_vcc 1
		.amdhsa_reserve_flat_scratch 0
		.amdhsa_float_round_mode_32 0
		.amdhsa_float_round_mode_16_64 0
		.amdhsa_float_denorm_mode_32 3
		.amdhsa_float_denorm_mode_16_64 3
		.amdhsa_dx10_clamp 1
		.amdhsa_ieee_mode 1
		.amdhsa_fp16_overflow 0
		.amdhsa_workgroup_processor_mode 1
		.amdhsa_memory_ordered 1
		.amdhsa_forward_progress 1
		.amdhsa_shared_vgpr_count 0
		.amdhsa_exception_fp_ieee_invalid_op 0
		.amdhsa_exception_fp_denorm_src 0
		.amdhsa_exception_fp_ieee_div_zero 0
		.amdhsa_exception_fp_ieee_overflow 0
		.amdhsa_exception_fp_ieee_underflow 0
		.amdhsa_exception_fp_ieee_inexact 0
		.amdhsa_exception_int_div_zero 0
	.end_amdhsa_kernel
	.section	.text._ZN12_GLOBAL__N_135rocblas_gemm_batched_general_kernelIdLi16ELi16ELi32ELi32ELi8ELi32ELi8ELi8ELi32ELc67ELc78EKPKdS3_KPdEEvlllT_PT11_llS8_llS6_PT12_llPT13_lli,"axG",@progbits,_ZN12_GLOBAL__N_135rocblas_gemm_batched_general_kernelIdLi16ELi16ELi32ELi32ELi8ELi32ELi8ELi8ELi32ELc67ELc78EKPKdS3_KPdEEvlllT_PT11_llS8_llS6_PT12_llPT13_lli,comdat
.Lfunc_end24:
	.size	_ZN12_GLOBAL__N_135rocblas_gemm_batched_general_kernelIdLi16ELi16ELi32ELi32ELi8ELi32ELi8ELi8ELi32ELc67ELc78EKPKdS3_KPdEEvlllT_PT11_llS8_llS6_PT12_llPT13_lli, .Lfunc_end24-_ZN12_GLOBAL__N_135rocblas_gemm_batched_general_kernelIdLi16ELi16ELi32ELi32ELi8ELi32ELi8ELi8ELi32ELc67ELc78EKPKdS3_KPdEEvlllT_PT11_llS8_llS6_PT12_llPT13_lli
                                        ; -- End function
	.set _ZN12_GLOBAL__N_135rocblas_gemm_batched_general_kernelIdLi16ELi16ELi32ELi32ELi8ELi32ELi8ELi8ELi32ELc67ELc78EKPKdS3_KPdEEvlllT_PT11_llS8_llS6_PT12_llPT13_lli.num_vgpr, 44
	.set _ZN12_GLOBAL__N_135rocblas_gemm_batched_general_kernelIdLi16ELi16ELi32ELi32ELi8ELi32ELi8ELi8ELi32ELc67ELc78EKPKdS3_KPdEEvlllT_PT11_llS8_llS6_PT12_llPT13_lli.num_agpr, 0
	.set _ZN12_GLOBAL__N_135rocblas_gemm_batched_general_kernelIdLi16ELi16ELi32ELi32ELi8ELi32ELi8ELi8ELi32ELc67ELc78EKPKdS3_KPdEEvlllT_PT11_llS8_llS6_PT12_llPT13_lli.numbered_sgpr, 52
	.set _ZN12_GLOBAL__N_135rocblas_gemm_batched_general_kernelIdLi16ELi16ELi32ELi32ELi8ELi32ELi8ELi8ELi32ELc67ELc78EKPKdS3_KPdEEvlllT_PT11_llS8_llS6_PT12_llPT13_lli.num_named_barrier, 0
	.set _ZN12_GLOBAL__N_135rocblas_gemm_batched_general_kernelIdLi16ELi16ELi32ELi32ELi8ELi32ELi8ELi8ELi32ELc67ELc78EKPKdS3_KPdEEvlllT_PT11_llS8_llS6_PT12_llPT13_lli.private_seg_size, 0
	.set _ZN12_GLOBAL__N_135rocblas_gemm_batched_general_kernelIdLi16ELi16ELi32ELi32ELi8ELi32ELi8ELi8ELi32ELc67ELc78EKPKdS3_KPdEEvlllT_PT11_llS8_llS6_PT12_llPT13_lli.uses_vcc, 1
	.set _ZN12_GLOBAL__N_135rocblas_gemm_batched_general_kernelIdLi16ELi16ELi32ELi32ELi8ELi32ELi8ELi8ELi32ELc67ELc78EKPKdS3_KPdEEvlllT_PT11_llS8_llS6_PT12_llPT13_lli.uses_flat_scratch, 0
	.set _ZN12_GLOBAL__N_135rocblas_gemm_batched_general_kernelIdLi16ELi16ELi32ELi32ELi8ELi32ELi8ELi8ELi32ELc67ELc78EKPKdS3_KPdEEvlllT_PT11_llS8_llS6_PT12_llPT13_lli.has_dyn_sized_stack, 0
	.set _ZN12_GLOBAL__N_135rocblas_gemm_batched_general_kernelIdLi16ELi16ELi32ELi32ELi8ELi32ELi8ELi8ELi32ELc67ELc78EKPKdS3_KPdEEvlllT_PT11_llS8_llS6_PT12_llPT13_lli.has_recursion, 0
	.set _ZN12_GLOBAL__N_135rocblas_gemm_batched_general_kernelIdLi16ELi16ELi32ELi32ELi8ELi32ELi8ELi8ELi32ELc67ELc78EKPKdS3_KPdEEvlllT_PT11_llS8_llS6_PT12_llPT13_lli.has_indirect_call, 0
	.section	.AMDGPU.csdata,"",@progbits
; Kernel info:
; codeLenInByte = 2104
; TotalNumSgprs: 54
; NumVgprs: 44
; ScratchSize: 0
; MemoryBound: 0
; FloatMode: 240
; IeeeMode: 1
; LDSByteSize: 4096 bytes/workgroup (compile time only)
; SGPRBlocks: 0
; VGPRBlocks: 5
; NumSGPRsForWavesPerEU: 54
; NumVGPRsForWavesPerEU: 44
; Occupancy: 16
; WaveLimiterHint : 1
; COMPUTE_PGM_RSRC2:SCRATCH_EN: 0
; COMPUTE_PGM_RSRC2:USER_SGPR: 6
; COMPUTE_PGM_RSRC2:TRAP_HANDLER: 0
; COMPUTE_PGM_RSRC2:TGID_X_EN: 1
; COMPUTE_PGM_RSRC2:TGID_Y_EN: 1
; COMPUTE_PGM_RSRC2:TGID_Z_EN: 1
; COMPUTE_PGM_RSRC2:TIDIG_COMP_CNT: 1
	.section	.text._ZN12_GLOBAL__N_135rocblas_gemm_batched_general_kernelIdLi16ELi16ELi32ELi32ELi8ELi32ELi8ELi8ELi32ELc67ELc84EKPKdS3_KPdEEvlllT_PT11_llS8_llS6_PT12_llPT13_lli,"axG",@progbits,_ZN12_GLOBAL__N_135rocblas_gemm_batched_general_kernelIdLi16ELi16ELi32ELi32ELi8ELi32ELi8ELi8ELi32ELc67ELc84EKPKdS3_KPdEEvlllT_PT11_llS8_llS6_PT12_llPT13_lli,comdat
	.globl	_ZN12_GLOBAL__N_135rocblas_gemm_batched_general_kernelIdLi16ELi16ELi32ELi32ELi8ELi32ELi8ELi8ELi32ELc67ELc84EKPKdS3_KPdEEvlllT_PT11_llS8_llS6_PT12_llPT13_lli ; -- Begin function _ZN12_GLOBAL__N_135rocblas_gemm_batched_general_kernelIdLi16ELi16ELi32ELi32ELi8ELi32ELi8ELi8ELi32ELc67ELc84EKPKdS3_KPdEEvlllT_PT11_llS8_llS6_PT12_llPT13_lli
	.p2align	8
	.type	_ZN12_GLOBAL__N_135rocblas_gemm_batched_general_kernelIdLi16ELi16ELi32ELi32ELi8ELi32ELi8ELi8ELi32ELc67ELc84EKPKdS3_KPdEEvlllT_PT11_llS8_llS6_PT12_llPT13_lli,@function
_ZN12_GLOBAL__N_135rocblas_gemm_batched_general_kernelIdLi16ELi16ELi32ELi32ELi8ELi32ELi8ELi8ELi32ELc67ELc84EKPKdS3_KPdEEvlllT_PT11_llS8_llS6_PT12_llPT13_lli: ; @_ZN12_GLOBAL__N_135rocblas_gemm_batched_general_kernelIdLi16ELi16ELi32ELi32ELi8ELi32ELi8ELi8ELi32ELc67ELc84EKPKdS3_KPdEEvlllT_PT11_llS8_llS6_PT12_llPT13_lli
; %bb.0:
	s_clause 0x1
	s_load_dwordx16 s[36:51], s[4:5], 0x40
	s_load_dwordx16 s[12:27], s[4:5], 0x0
	s_mov_b32 s9, 0
	s_mov_b32 s28, s7
	s_lshl_b64 s[0:1], s[8:9], 3
	s_waitcnt lgkmcnt(0)
	s_add_u32 s2, s42, s0
	s_addc_u32 s3, s43, s1
	s_add_u32 s10, s48, s0
	s_addc_u32 s11, s49, s1
	s_load_dwordx2 s[8:9], s[2:3], 0x0
	s_load_dwordx2 s[2:3], s[10:11], 0x0
	v_cmp_lt_i64_e64 s10, s[16:17], 1
	s_ashr_i32 s7, s6, 31
	s_ashr_i32 s29, s28, 31
	s_lshl_b64 s[6:7], s[6:7], 5
	s_and_b32 vcc_lo, exec_lo, s10
	s_lshl_b64 s[10:11], s[28:29], 5
	s_cbranch_vccnz .LBB25_7
; %bb.1:
	v_lshl_add_u32 v8, v1, 4, v0
	v_and_b32_e32 v18, 7, v0
	s_add_u32 s26, s26, s0
	s_addc_u32 s27, s27, s1
	v_mov_b32_e32 v3, s7
	v_and_b32_e32 v9, 31, v8
	v_mad_u64_u32 v[4:5], null, s36, v18, 0
	v_lshrrev_b32_e32 v10, 3, v8
	s_add_u32 s0, s20, s0
	v_or_b32_e32 v2, s6, v9
	s_addc_u32 s1, s21, s1
	s_load_dwordx2 s[20:21], s[26:27], 0x0
	s_load_dwordx2 s[26:27], s[0:1], 0x0
	v_add_co_u32 v6, s0, v10, s10
	v_add_co_ci_u32_e64 v7, null, 0, s11, s0
	v_cmp_gt_i64_e64 s0, s[12:13], v[2:3]
	v_mov_b32_e32 v2, v5
	v_lshlrev_b32_e32 v5, 3, v18
	v_cmp_gt_i64_e64 s1, s[14:15], v[6:7]
	v_add_co_u32 v6, s30, s6, v9
	v_mad_u64_u32 v[2:3], null, s37, v18, v[2:3]
	v_lshl_or_b32 v3, v10, 6, v5
	v_add_co_ci_u32_e64 v7, null, s7, 0, s30
	v_lshlrev_b32_e32 v11, 3, v9
	v_mul_lo_u32 v9, s23, v6
	v_add_nc_u32_e32 v21, 0x800, v3
	v_mov_b32_e32 v5, v2
	v_mul_lo_u32 v7, s22, v7
	v_mad_u64_u32 v[2:3], null, s22, v6, 0
	s_lshl_b64 s[22:23], s[28:29], 8
	v_lshlrev_b64 v[4:5], 3, v[4:5]
	s_lshl_b64 s[28:29], s[38:39], 3
	v_and_b32_e32 v6, 0x1ff8, v8
	s_add_u32 s22, s28, s22
	s_addc_u32 s23, s29, s23
	v_add3_u32 v3, v3, v7, v9
	v_add_co_u32 v4, vcc_lo, s22, v4
	v_lshrrev_b32_e32 v19, 5, v8
	v_add_co_ci_u32_e64 v5, null, s23, v5, vcc_lo
	v_lshlrev_b64 v[2:3], 3, v[2:3]
	v_add_co_u32 v4, vcc_lo, v4, v6
	s_lshl_b64 s[22:23], s[24:25], 3
	v_add_co_ci_u32_e64 v5, null, 0, v5, vcc_lo
	v_add_co_u32 v2, vcc_lo, v2, s22
	v_lshlrev_b32_e32 v6, 3, v19
	v_add_co_ci_u32_e64 v3, null, s23, v3, vcc_lo
	s_waitcnt lgkmcnt(0)
	v_add_co_u32 v10, vcc_lo, s20, v4
	v_lshl_or_b32 v20, v19, 8, v11
	v_add_co_ci_u32_e64 v11, null, s21, v5, vcc_lo
	v_add_co_u32 v12, vcc_lo, v2, v6
	v_add_co_ci_u32_e64 v13, null, 0, v3, vcc_lo
	v_mov_b32_e32 v2, 0
	v_add_co_u32 v12, vcc_lo, s26, v12
	v_mov_b32_e32 v4, 0
	v_mov_b32_e32 v6, 0
	;; [unrolled: 1-line block ×3, first 2 shown]
	v_lshlrev_b32_e32 v22, 3, v0
	v_lshl_add_u32 v23, v1, 6, 0x800
	v_mov_b32_e32 v3, 0
	v_mov_b32_e32 v5, 0
	;; [unrolled: 1-line block ×4, first 2 shown]
	v_add_co_ci_u32_e64 v13, null, s27, v13, vcc_lo
	s_lshl_b64 s[20:21], s[36:37], 6
	s_mov_b64 s[22:23], 0
	s_branch .LBB25_3
.LBB25_2:                               ;   in Loop: Header=BB25_3 Depth=1
	s_or_b32 exec_lo, exec_lo, s24
	s_waitcnt vmcnt(0) lgkmcnt(0)
	ds_write_b64 v21, v[16:17]
	s_waitcnt lgkmcnt(0)
	s_barrier
	buffer_gl0_inv
	ds_read_b128 v[14:17], v23
	ds_read2_b64 v[24:27], v22 offset1:16
	ds_read_b128 v[28:31], v23 offset:1024
	ds_read_b128 v[32:35], v23 offset:16
	ds_read2_b64 v[36:39], v22 offset0:32 offset1:48
	ds_read_b128 v[40:43], v23 offset:1040
	s_add_u32 s22, s22, 8
	s_addc_u32 s23, s23, 0
	v_add_co_u32 v10, vcc_lo, v10, s20
	v_cmp_lt_i64_e64 s24, s[22:23], s[16:17]
	v_add_co_ci_u32_e64 v11, null, s21, v11, vcc_lo
	v_add_co_u32 v12, vcc_lo, v12, 64
	v_add_co_ci_u32_e64 v13, null, 0, v13, vcc_lo
	s_and_b32 vcc_lo, exec_lo, s24
	s_waitcnt lgkmcnt(4)
	v_fma_f64 v[8:9], v[24:25], v[14:15], v[8:9]
	v_fma_f64 v[6:7], v[26:27], v[14:15], v[6:7]
	s_waitcnt lgkmcnt(3)
	v_fma_f64 v[14:15], v[24:25], v[28:29], v[4:5]
	v_fma_f64 v[24:25], v[26:27], v[28:29], v[2:3]
	ds_read2_b64 v[2:5], v22 offset0:64 offset1:80
	s_waitcnt lgkmcnt(2)
	v_fma_f64 v[26:27], v[36:37], v[16:17], v[8:9]
	v_fma_f64 v[16:17], v[38:39], v[16:17], v[6:7]
	;; [unrolled: 1-line block ×4, first 2 shown]
	ds_read2_b64 v[6:9], v22 offset0:96 offset1:112
	s_waitcnt lgkmcnt(1)
	v_fma_f64 v[26:27], v[2:3], v[32:33], v[26:27]
	v_fma_f64 v[28:29], v[4:5], v[32:33], v[16:17]
	;; [unrolled: 1-line block ×4, first 2 shown]
	ds_read_b128 v[2:5], v23 offset:32
	ds_read2_b64 v[14:17], v22 offset0:128 offset1:144
	s_waitcnt lgkmcnt(2)
	v_fma_f64 v[36:37], v[6:7], v[34:35], v[26:27]
	v_fma_f64 v[38:39], v[8:9], v[34:35], v[28:29]
	;; [unrolled: 1-line block ×4, first 2 shown]
	ds_read_b128 v[6:9], v23 offset:1056
	ds_read_b128 v[24:27], v23 offset:48
	ds_read2_b64 v[28:31], v22 offset0:160 offset1:176
	ds_read_b128 v[32:35], v23 offset:1072
	s_waitcnt lgkmcnt(4)
	v_fma_f64 v[36:37], v[14:15], v[2:3], v[36:37]
	v_fma_f64 v[2:3], v[16:17], v[2:3], v[38:39]
	s_waitcnt lgkmcnt(3)
	v_fma_f64 v[38:39], v[14:15], v[6:7], v[40:41]
	v_fma_f64 v[6:7], v[16:17], v[6:7], v[42:43]
	ds_read2_b64 v[14:17], v22 offset0:192 offset1:208
	s_waitcnt lgkmcnt(2)
	v_fma_f64 v[36:37], v[28:29], v[4:5], v[36:37]
	v_fma_f64 v[2:3], v[30:31], v[4:5], v[2:3]
	v_fma_f64 v[4:5], v[28:29], v[8:9], v[38:39]
	v_fma_f64 v[6:7], v[30:31], v[8:9], v[6:7]
	ds_read2_b64 v[28:31], v22 offset0:224 offset1:240
	s_waitcnt lgkmcnt(0)
	s_barrier
	buffer_gl0_inv
	v_fma_f64 v[8:9], v[14:15], v[24:25], v[36:37]
	v_fma_f64 v[2:3], v[16:17], v[24:25], v[2:3]
	;; [unrolled: 1-line block ×8, first 2 shown]
	s_cbranch_vccz .LBB25_8
.LBB25_3:                               ; =>This Inner Loop Header: Depth=1
	v_add_co_u32 v14, s24, v19, s22
	v_add_co_ci_u32_e64 v15, null, 0, s23, s24
	v_cmp_gt_i64_e32 vcc_lo, s[16:17], v[14:15]
	v_mov_b32_e32 v14, 0
	v_mov_b32_e32 v15, 0
	s_and_b32 s25, s0, vcc_lo
	s_and_saveexec_b32 s24, s25
	s_cbranch_execz .LBB25_5
; %bb.4:                                ;   in Loop: Header=BB25_3 Depth=1
	flat_load_dwordx2 v[14:15], v[12:13]
.LBB25_5:                               ;   in Loop: Header=BB25_3 Depth=1
	s_or_b32 exec_lo, exec_lo, s24
	v_add_co_u32 v16, s24, v18, s22
	v_add_co_ci_u32_e64 v17, null, 0, s23, s24
	s_waitcnt vmcnt(0) lgkmcnt(0)
	ds_write_b64 v20, v[14:15]
	v_cmp_gt_i64_e32 vcc_lo, s[16:17], v[16:17]
	v_mov_b32_e32 v16, 0
	v_mov_b32_e32 v17, 0
	s_and_b32 s25, vcc_lo, s1
	s_and_saveexec_b32 s24, s25
	s_cbranch_execz .LBB25_2
; %bb.6:                                ;   in Loop: Header=BB25_3 Depth=1
	flat_load_dwordx2 v[16:17], v[10:11]
	s_branch .LBB25_2
.LBB25_7:
	v_mov_b32_e32 v8, 0
	v_mov_b32_e32 v6, 0
	;; [unrolled: 1-line block ×8, first 2 shown]
.LBB25_8:
	s_load_dwordx2 s[0:1], s[4:5], 0x80
	v_cmp_neq_f64_e64 s16, s[40:41], 0
	v_add_co_u32 v10, s4, s10, v1
	v_add_co_ci_u32_e64 v11, null, s11, 0, s4
	s_waitcnt lgkmcnt(0)
	s_lshl_b64 s[4:5], s[0:1], 3
	v_cmp_gt_i64_e64 s0, s[14:15], v[10:11]
	s_add_u32 s4, s2, s4
	s_addc_u32 s3, s3, s5
	s_and_b32 vcc_lo, exec_lo, s16
	s_cbranch_vccnz .LBB25_21
; %bb.9:
	s_and_saveexec_b32 s5, s0
	s_cbranch_execz .LBB25_19
; %bb.10:
	v_mul_lo_u32 v1, v11, s50
	v_mul_lo_u32 v14, v10, s51
	v_mad_u64_u32 v[12:13], null, v10, s50, 0
	v_add3_u32 v13, v13, v14, v1
	v_add_co_u32 v14, s1, s6, v0
	v_add_co_ci_u32_e64 v15, null, s7, 0, s1
	v_lshlrev_b64 v[16:17], 3, v[12:13]
	v_cmp_gt_i64_e32 vcc_lo, s[12:13], v[14:15]
	v_lshlrev_b64 v[12:13], 3, v[14:15]
	v_add_co_u32 v1, s1, s4, v16
	v_add_co_ci_u32_e64 v16, null, s3, v17, s1
	s_and_saveexec_b32 s2, vcc_lo
	s_cbranch_execz .LBB25_12
; %bb.11:
	v_mul_f64 v[17:18], s[18:19], v[8:9]
	v_add_co_u32 v19, s1, v1, v12
	v_add_co_ci_u32_e64 v20, null, v16, v13, s1
	flat_store_dwordx2 v[19:20], v[17:18]
.LBB25_12:
	s_or_b32 exec_lo, exec_lo, s2
	v_add_co_u32 v14, s1, v14, 16
	v_add_co_ci_u32_e64 v15, null, 0, v15, s1
	v_cmp_gt_i64_e64 s1, s[12:13], v[14:15]
	s_and_saveexec_b32 s10, s1
	s_cbranch_execz .LBB25_14
; %bb.13:
	v_mul_f64 v[14:15], s[18:19], v[6:7]
	v_add_co_u32 v17, s2, v1, v12
	v_add_co_ci_u32_e64 v18, null, v16, v13, s2
	flat_store_dwordx2 v[17:18], v[14:15] offset:128
.LBB25_14:
	s_or_b32 exec_lo, exec_lo, s10
	v_add_co_u32 v14, s2, v10, 16
	v_add_co_ci_u32_e64 v15, null, 0, v11, s2
	v_cmp_gt_i64_e64 s2, s[14:15], v[14:15]
	s_and_b32 exec_lo, exec_lo, s2
	s_cbranch_execz .LBB25_19
; %bb.15:
	s_lshl_b64 s[10:11], s[50:51], 7
	v_add_co_u32 v1, s2, v1, s10
	v_add_co_ci_u32_e64 v14, null, s11, v16, s2
	v_add_co_u32 v12, s2, v1, v12
	v_add_co_ci_u32_e64 v13, null, v14, v13, s2
	s_and_saveexec_b32 s2, vcc_lo
	s_cbranch_execz .LBB25_17
; %bb.16:
	v_mul_f64 v[14:15], s[18:19], v[4:5]
	flat_store_dwordx2 v[12:13], v[14:15]
.LBB25_17:
	s_or_b32 exec_lo, exec_lo, s2
	s_and_b32 exec_lo, exec_lo, s1
	s_cbranch_execz .LBB25_19
; %bb.18:
	v_mul_f64 v[14:15], s[18:19], v[2:3]
	flat_store_dwordx2 v[12:13], v[14:15] offset:128
.LBB25_19:
	s_or_b32 exec_lo, exec_lo, s5
	s_cbranch_execz .LBB25_22
.LBB25_20:
	s_endpgm
.LBB25_21:
.LBB25_22:
	s_and_saveexec_b32 s1, s0
	s_cbranch_execz .LBB25_20
; %bb.23:
	v_mul_lo_u32 v1, v11, s44
	v_mul_lo_u32 v12, v10, s45
	v_mad_u64_u32 v[14:15], null, v10, s44, 0
	v_mul_lo_u32 v18, v11, s50
	v_mul_lo_u32 v19, v10, s51
	v_mad_u64_u32 v[16:17], null, v10, s50, 0
	s_lshl_b64 s[0:1], s[46:47], 3
	v_add3_u32 v15, v15, v12, v1
	v_add_co_u32 v12, s2, s6, v0
	v_add_co_ci_u32_e64 v13, null, s7, 0, s2
	v_add3_u32 v17, v17, v19, v18
	v_lshlrev_b64 v[0:1], 3, v[14:15]
	s_add_u32 s0, s8, s0
	s_addc_u32 s1, s9, s1
	v_cmp_gt_i64_e32 vcc_lo, s[12:13], v[12:13]
	v_lshlrev_b64 v[16:17], 3, v[16:17]
	v_add_co_u32 v14, s0, s0, v0
	v_add_co_ci_u32_e64 v15, null, s1, v1, s0
	v_add_co_u32 v16, s0, s4, v16
	v_lshlrev_b64 v[0:1], 3, v[12:13]
	v_add_co_ci_u32_e64 v17, null, s3, v17, s0
	s_and_saveexec_b32 s1, vcc_lo
	s_cbranch_execz .LBB25_25
; %bb.24:
	v_add_co_u32 v18, s0, v14, v0
	v_add_co_ci_u32_e64 v19, null, v15, v1, s0
	flat_load_dwordx2 v[18:19], v[18:19]
	s_waitcnt vmcnt(0) lgkmcnt(0)
	v_mul_f64 v[18:19], s[40:41], v[18:19]
	v_fma_f64 v[8:9], s[18:19], v[8:9], v[18:19]
	v_add_co_u32 v18, s0, v16, v0
	v_add_co_ci_u32_e64 v19, null, v17, v1, s0
	flat_store_dwordx2 v[18:19], v[8:9]
.LBB25_25:
	s_or_b32 exec_lo, exec_lo, s1
	v_add_co_u32 v8, s0, v12, 16
	v_add_co_ci_u32_e64 v9, null, 0, v13, s0
	v_cmp_gt_i64_e64 s0, s[12:13], v[8:9]
	s_and_saveexec_b32 s2, s0
	s_cbranch_execz .LBB25_27
; %bb.26:
	v_add_co_u32 v8, s1, v14, v0
	v_add_co_ci_u32_e64 v9, null, v15, v1, s1
	flat_load_dwordx2 v[8:9], v[8:9] offset:128
	s_waitcnt vmcnt(0) lgkmcnt(0)
	v_mul_f64 v[8:9], s[40:41], v[8:9]
	v_fma_f64 v[6:7], s[18:19], v[6:7], v[8:9]
	v_add_co_u32 v8, s1, v16, v0
	v_add_co_ci_u32_e64 v9, null, v17, v1, s1
	flat_store_dwordx2 v[8:9], v[6:7] offset:128
.LBB25_27:
	s_or_b32 exec_lo, exec_lo, s2
	v_add_co_u32 v6, s1, v10, 16
	v_add_co_ci_u32_e64 v7, null, 0, v11, s1
	v_cmp_gt_i64_e64 s1, s[14:15], v[6:7]
	s_and_b32 exec_lo, exec_lo, s1
	s_cbranch_execz .LBB25_20
; %bb.28:
	s_lshl_b64 s[2:3], s[44:45], 7
	v_add_co_u32 v6, s1, v14, s2
	v_add_co_ci_u32_e64 v7, null, s3, v15, s1
	s_lshl_b64 s[2:3], s[50:51], 7
	v_add_co_u32 v8, s1, v16, s2
	v_add_co_ci_u32_e64 v9, null, s3, v17, s1
	v_add_co_u32 v6, s1, v6, v0
	v_add_co_ci_u32_e64 v7, null, v7, v1, s1
	;; [unrolled: 2-line block ×3, first 2 shown]
	s_and_saveexec_b32 s1, vcc_lo
	s_cbranch_execz .LBB25_30
; %bb.29:
	flat_load_dwordx2 v[8:9], v[6:7]
	s_waitcnt vmcnt(0) lgkmcnt(0)
	v_mul_f64 v[8:9], s[40:41], v[8:9]
	v_fma_f64 v[4:5], s[18:19], v[4:5], v[8:9]
	flat_store_dwordx2 v[0:1], v[4:5]
.LBB25_30:
	s_or_b32 exec_lo, exec_lo, s1
	s_and_b32 exec_lo, exec_lo, s0
	s_cbranch_execz .LBB25_20
; %bb.31:
	flat_load_dwordx2 v[4:5], v[6:7] offset:128
	s_waitcnt vmcnt(0) lgkmcnt(0)
	v_mul_f64 v[4:5], s[40:41], v[4:5]
	v_fma_f64 v[2:3], s[18:19], v[2:3], v[4:5]
	flat_store_dwordx2 v[0:1], v[2:3] offset:128
	s_endpgm
	.section	.rodata,"a",@progbits
	.p2align	6, 0x0
	.amdhsa_kernel _ZN12_GLOBAL__N_135rocblas_gemm_batched_general_kernelIdLi16ELi16ELi32ELi32ELi8ELi32ELi8ELi8ELi32ELc67ELc84EKPKdS3_KPdEEvlllT_PT11_llS8_llS6_PT12_llPT13_lli
		.amdhsa_group_segment_fixed_size 4096
		.amdhsa_private_segment_fixed_size 0
		.amdhsa_kernarg_size 140
		.amdhsa_user_sgpr_count 6
		.amdhsa_user_sgpr_private_segment_buffer 1
		.amdhsa_user_sgpr_dispatch_ptr 0
		.amdhsa_user_sgpr_queue_ptr 0
		.amdhsa_user_sgpr_kernarg_segment_ptr 1
		.amdhsa_user_sgpr_dispatch_id 0
		.amdhsa_user_sgpr_flat_scratch_init 0
		.amdhsa_user_sgpr_private_segment_size 0
		.amdhsa_wavefront_size32 1
		.amdhsa_uses_dynamic_stack 0
		.amdhsa_system_sgpr_private_segment_wavefront_offset 0
		.amdhsa_system_sgpr_workgroup_id_x 1
		.amdhsa_system_sgpr_workgroup_id_y 1
		.amdhsa_system_sgpr_workgroup_id_z 1
		.amdhsa_system_sgpr_workgroup_info 0
		.amdhsa_system_vgpr_workitem_id 1
		.amdhsa_next_free_vgpr 44
		.amdhsa_next_free_sgpr 52
		.amdhsa_reserve_vcc 1
		.amdhsa_reserve_flat_scratch 0
		.amdhsa_float_round_mode_32 0
		.amdhsa_float_round_mode_16_64 0
		.amdhsa_float_denorm_mode_32 3
		.amdhsa_float_denorm_mode_16_64 3
		.amdhsa_dx10_clamp 1
		.amdhsa_ieee_mode 1
		.amdhsa_fp16_overflow 0
		.amdhsa_workgroup_processor_mode 1
		.amdhsa_memory_ordered 1
		.amdhsa_forward_progress 1
		.amdhsa_shared_vgpr_count 0
		.amdhsa_exception_fp_ieee_invalid_op 0
		.amdhsa_exception_fp_denorm_src 0
		.amdhsa_exception_fp_ieee_div_zero 0
		.amdhsa_exception_fp_ieee_overflow 0
		.amdhsa_exception_fp_ieee_underflow 0
		.amdhsa_exception_fp_ieee_inexact 0
		.amdhsa_exception_int_div_zero 0
	.end_amdhsa_kernel
	.section	.text._ZN12_GLOBAL__N_135rocblas_gemm_batched_general_kernelIdLi16ELi16ELi32ELi32ELi8ELi32ELi8ELi8ELi32ELc67ELc84EKPKdS3_KPdEEvlllT_PT11_llS8_llS6_PT12_llPT13_lli,"axG",@progbits,_ZN12_GLOBAL__N_135rocblas_gemm_batched_general_kernelIdLi16ELi16ELi32ELi32ELi8ELi32ELi8ELi8ELi32ELc67ELc84EKPKdS3_KPdEEvlllT_PT11_llS8_llS6_PT12_llPT13_lli,comdat
.Lfunc_end25:
	.size	_ZN12_GLOBAL__N_135rocblas_gemm_batched_general_kernelIdLi16ELi16ELi32ELi32ELi8ELi32ELi8ELi8ELi32ELc67ELc84EKPKdS3_KPdEEvlllT_PT11_llS8_llS6_PT12_llPT13_lli, .Lfunc_end25-_ZN12_GLOBAL__N_135rocblas_gemm_batched_general_kernelIdLi16ELi16ELi32ELi32ELi8ELi32ELi8ELi8ELi32ELc67ELc84EKPKdS3_KPdEEvlllT_PT11_llS8_llS6_PT12_llPT13_lli
                                        ; -- End function
	.set _ZN12_GLOBAL__N_135rocblas_gemm_batched_general_kernelIdLi16ELi16ELi32ELi32ELi8ELi32ELi8ELi8ELi32ELc67ELc84EKPKdS3_KPdEEvlllT_PT11_llS8_llS6_PT12_llPT13_lli.num_vgpr, 44
	.set _ZN12_GLOBAL__N_135rocblas_gemm_batched_general_kernelIdLi16ELi16ELi32ELi32ELi8ELi32ELi8ELi8ELi32ELc67ELc84EKPKdS3_KPdEEvlllT_PT11_llS8_llS6_PT12_llPT13_lli.num_agpr, 0
	.set _ZN12_GLOBAL__N_135rocblas_gemm_batched_general_kernelIdLi16ELi16ELi32ELi32ELi8ELi32ELi8ELi8ELi32ELc67ELc84EKPKdS3_KPdEEvlllT_PT11_llS8_llS6_PT12_llPT13_lli.numbered_sgpr, 52
	.set _ZN12_GLOBAL__N_135rocblas_gemm_batched_general_kernelIdLi16ELi16ELi32ELi32ELi8ELi32ELi8ELi8ELi32ELc67ELc84EKPKdS3_KPdEEvlllT_PT11_llS8_llS6_PT12_llPT13_lli.num_named_barrier, 0
	.set _ZN12_GLOBAL__N_135rocblas_gemm_batched_general_kernelIdLi16ELi16ELi32ELi32ELi8ELi32ELi8ELi8ELi32ELc67ELc84EKPKdS3_KPdEEvlllT_PT11_llS8_llS6_PT12_llPT13_lli.private_seg_size, 0
	.set _ZN12_GLOBAL__N_135rocblas_gemm_batched_general_kernelIdLi16ELi16ELi32ELi32ELi8ELi32ELi8ELi8ELi32ELc67ELc84EKPKdS3_KPdEEvlllT_PT11_llS8_llS6_PT12_llPT13_lli.uses_vcc, 1
	.set _ZN12_GLOBAL__N_135rocblas_gemm_batched_general_kernelIdLi16ELi16ELi32ELi32ELi8ELi32ELi8ELi8ELi32ELc67ELc84EKPKdS3_KPdEEvlllT_PT11_llS8_llS6_PT12_llPT13_lli.uses_flat_scratch, 0
	.set _ZN12_GLOBAL__N_135rocblas_gemm_batched_general_kernelIdLi16ELi16ELi32ELi32ELi8ELi32ELi8ELi8ELi32ELc67ELc84EKPKdS3_KPdEEvlllT_PT11_llS8_llS6_PT12_llPT13_lli.has_dyn_sized_stack, 0
	.set _ZN12_GLOBAL__N_135rocblas_gemm_batched_general_kernelIdLi16ELi16ELi32ELi32ELi8ELi32ELi8ELi8ELi32ELc67ELc84EKPKdS3_KPdEEvlllT_PT11_llS8_llS6_PT12_llPT13_lli.has_recursion, 0
	.set _ZN12_GLOBAL__N_135rocblas_gemm_batched_general_kernelIdLi16ELi16ELi32ELi32ELi8ELi32ELi8ELi8ELi32ELc67ELc84EKPKdS3_KPdEEvlllT_PT11_llS8_llS6_PT12_llPT13_lli.has_indirect_call, 0
	.section	.AMDGPU.csdata,"",@progbits
; Kernel info:
; codeLenInByte = 2120
; TotalNumSgprs: 54
; NumVgprs: 44
; ScratchSize: 0
; MemoryBound: 0
; FloatMode: 240
; IeeeMode: 1
; LDSByteSize: 4096 bytes/workgroup (compile time only)
; SGPRBlocks: 0
; VGPRBlocks: 5
; NumSGPRsForWavesPerEU: 54
; NumVGPRsForWavesPerEU: 44
; Occupancy: 16
; WaveLimiterHint : 1
; COMPUTE_PGM_RSRC2:SCRATCH_EN: 0
; COMPUTE_PGM_RSRC2:USER_SGPR: 6
; COMPUTE_PGM_RSRC2:TRAP_HANDLER: 0
; COMPUTE_PGM_RSRC2:TGID_X_EN: 1
; COMPUTE_PGM_RSRC2:TGID_Y_EN: 1
; COMPUTE_PGM_RSRC2:TGID_Z_EN: 1
; COMPUTE_PGM_RSRC2:TIDIG_COMP_CNT: 1
	.section	.text._ZN12_GLOBAL__N_135rocblas_gemm_batched_general_kernelIdLi16ELi16ELi32ELi32ELi8ELi32ELi8ELi8ELi32ELc78ELc67EKPKdS3_KPdEEvlllT_PT11_llS8_llS6_PT12_llPT13_lli,"axG",@progbits,_ZN12_GLOBAL__N_135rocblas_gemm_batched_general_kernelIdLi16ELi16ELi32ELi32ELi8ELi32ELi8ELi8ELi32ELc78ELc67EKPKdS3_KPdEEvlllT_PT11_llS8_llS6_PT12_llPT13_lli,comdat
	.globl	_ZN12_GLOBAL__N_135rocblas_gemm_batched_general_kernelIdLi16ELi16ELi32ELi32ELi8ELi32ELi8ELi8ELi32ELc78ELc67EKPKdS3_KPdEEvlllT_PT11_llS8_llS6_PT12_llPT13_lli ; -- Begin function _ZN12_GLOBAL__N_135rocblas_gemm_batched_general_kernelIdLi16ELi16ELi32ELi32ELi8ELi32ELi8ELi8ELi32ELc78ELc67EKPKdS3_KPdEEvlllT_PT11_llS8_llS6_PT12_llPT13_lli
	.p2align	8
	.type	_ZN12_GLOBAL__N_135rocblas_gemm_batched_general_kernelIdLi16ELi16ELi32ELi32ELi8ELi32ELi8ELi8ELi32ELc78ELc67EKPKdS3_KPdEEvlllT_PT11_llS8_llS6_PT12_llPT13_lli,@function
_ZN12_GLOBAL__N_135rocblas_gemm_batched_general_kernelIdLi16ELi16ELi32ELi32ELi8ELi32ELi8ELi8ELi32ELc78ELc67EKPKdS3_KPdEEvlllT_PT11_llS8_llS6_PT12_llPT13_lli: ; @_ZN12_GLOBAL__N_135rocblas_gemm_batched_general_kernelIdLi16ELi16ELi32ELi32ELi8ELi32ELi8ELi8ELi32ELc78ELc67EKPKdS3_KPdEEvlllT_PT11_llS8_llS6_PT12_llPT13_lli
; %bb.0:
	s_clause 0x1
	s_load_dwordx16 s[36:51], s[4:5], 0x40
	s_load_dwordx16 s[12:27], s[4:5], 0x0
	s_mov_b32 s9, 0
	s_mov_b32 s30, s7
	s_lshl_b64 s[0:1], s[8:9], 3
	s_waitcnt lgkmcnt(0)
	s_add_u32 s2, s42, s0
	s_addc_u32 s3, s43, s1
	s_add_u32 s10, s48, s0
	s_addc_u32 s11, s49, s1
	s_load_dwordx2 s[8:9], s[2:3], 0x0
	s_load_dwordx2 s[2:3], s[10:11], 0x0
	v_cmp_lt_i64_e64 s28, s[16:17], 1
	s_ashr_i32 s7, s6, 31
	s_ashr_i32 s31, s30, 31
	s_lshl_b64 s[10:11], s[6:7], 5
	s_and_b32 vcc_lo, exec_lo, s28
	s_lshl_b64 s[28:29], s[30:31], 5
	s_cbranch_vccnz .LBB26_7
; %bb.1:
	v_lshl_add_u32 v11, v1, 4, v0
	v_and_b32_e32 v18, 7, v0
	s_add_u32 s26, s26, s0
	s_addc_u32 s27, s27, s1
	s_add_u32 s0, s20, s0
	v_lshrrev_b32_e32 v10, 3, v11
	v_mad_u64_u32 v[2:3], null, s36, v18, 0
	s_addc_u32 s1, s21, s1
	s_load_dwordx2 s[20:21], s[26:27], 0x0
	s_load_dwordx2 s[26:27], s[0:1], 0x0
	v_add_co_u32 v4, s0, v10, s28
	v_lshrrev_b32_e32 v19, 5, v11
	v_lshlrev_b32_e32 v13, 3, v18
	v_add_co_ci_u32_e64 v5, null, 0, s29, s0
	v_mad_u64_u32 v[8:9], null, s37, v18, v[3:4]
	v_lshl_or_b32 v13, v10, 6, v13
	v_mad_u64_u32 v[9:10], null, s22, v19, 0
	v_cmp_gt_i64_e64 s1, s[14:15], v[4:5]
	s_lshl_b64 s[30:31], s[30:31], 8
	s_lshl_b64 s[34:35], s[38:39], 3
	v_mov_b32_e32 v3, v8
	s_add_u32 s30, s34, s30
	s_addc_u32 s31, s35, s31
	v_mov_b32_e32 v4, v10
	v_and_b32_e32 v12, 31, v11
	v_lshlrev_b64 v[2:3], 3, v[2:3]
	s_lshl_b64 s[24:25], s[24:25], 3
	v_mov_b32_e32 v7, s11
	v_mad_u64_u32 v[4:5], null, s23, v19, v[4:5]
	v_and_b32_e32 v5, 0x1ff8, v11
	v_add_co_u32 v2, vcc_lo, s30, v2
	v_add_co_ci_u32_e64 v3, null, s31, v3, vcc_lo
	s_lshl_b64 s[30:31], s[6:7], 8
	v_mov_b32_e32 v10, v4
	v_add_co_u32 v4, vcc_lo, v2, v5
	v_add_co_ci_u32_e64 v5, null, 0, v3, vcc_lo
	v_lshlrev_b64 v[2:3], 3, v[9:10]
	s_lshl_b64 s[6:7], s[36:37], 6
	s_add_u32 s24, s24, s30
	v_or_b32_e32 v6, s10, v12
	v_lshlrev_b32_e32 v12, 3, v12
	s_addc_u32 s25, s25, s31
	v_add_co_u32 v2, vcc_lo, s24, v2
	v_add_co_ci_u32_e64 v3, null, s25, v3, vcc_lo
	s_waitcnt lgkmcnt(0)
	v_add_co_u32 v10, vcc_lo, s20, v4
	v_lshl_or_b32 v20, v19, 8, v12
	v_add_co_ci_u32_e64 v11, null, s21, v5, vcc_lo
	v_add_co_u32 v12, vcc_lo, v2, v12
	v_add_nc_u32_e32 v21, 0x800, v13
	v_add_co_ci_u32_e64 v13, null, 0, v3, vcc_lo
	v_add_co_u32 v12, vcc_lo, s26, v12
	v_cmp_gt_i64_e64 s0, s[12:13], v[6:7]
	v_mov_b32_e32 v2, 0
	v_mov_b32_e32 v4, 0
	;; [unrolled: 1-line block ×4, first 2 shown]
	v_lshlrev_b32_e32 v22, 3, v0
	v_lshl_add_u32 v23, v1, 6, 0x800
	v_mov_b32_e32 v3, 0
	v_mov_b32_e32 v5, 0
	;; [unrolled: 1-line block ×4, first 2 shown]
	v_add_co_ci_u32_e64 v13, null, s27, v13, vcc_lo
	s_lshl_b64 s[20:21], s[22:23], 6
	s_mov_b64 s[22:23], 0
	s_branch .LBB26_3
.LBB26_2:                               ;   in Loop: Header=BB26_3 Depth=1
	s_or_b32 exec_lo, exec_lo, s24
	s_waitcnt vmcnt(0) lgkmcnt(0)
	ds_write_b64 v21, v[16:17]
	s_waitcnt lgkmcnt(0)
	s_barrier
	buffer_gl0_inv
	ds_read_b128 v[14:17], v23
	ds_read2_b64 v[24:27], v22 offset1:16
	ds_read_b128 v[28:31], v23 offset:1024
	ds_read_b128 v[32:35], v23 offset:16
	ds_read2_b64 v[36:39], v22 offset0:32 offset1:48
	ds_read_b128 v[40:43], v23 offset:1040
	s_add_u32 s22, s22, 8
	s_addc_u32 s23, s23, 0
	v_add_co_u32 v10, vcc_lo, v10, s6
	v_cmp_lt_i64_e64 s24, s[22:23], s[16:17]
	v_add_co_ci_u32_e64 v11, null, s7, v11, vcc_lo
	v_add_co_u32 v12, vcc_lo, v12, s20
	v_add_co_ci_u32_e64 v13, null, s21, v13, vcc_lo
	s_and_b32 vcc_lo, exec_lo, s24
	s_waitcnt lgkmcnt(4)
	v_fma_f64 v[8:9], v[24:25], v[14:15], v[8:9]
	v_fma_f64 v[6:7], v[26:27], v[14:15], v[6:7]
	s_waitcnt lgkmcnt(3)
	v_fma_f64 v[14:15], v[24:25], v[28:29], v[4:5]
	v_fma_f64 v[24:25], v[26:27], v[28:29], v[2:3]
	ds_read2_b64 v[2:5], v22 offset0:64 offset1:80
	s_waitcnt lgkmcnt(2)
	v_fma_f64 v[26:27], v[36:37], v[16:17], v[8:9]
	v_fma_f64 v[16:17], v[38:39], v[16:17], v[6:7]
	;; [unrolled: 1-line block ×4, first 2 shown]
	ds_read2_b64 v[6:9], v22 offset0:96 offset1:112
	s_waitcnt lgkmcnt(1)
	v_fma_f64 v[26:27], v[2:3], v[32:33], v[26:27]
	v_fma_f64 v[28:29], v[4:5], v[32:33], v[16:17]
	;; [unrolled: 1-line block ×4, first 2 shown]
	ds_read_b128 v[2:5], v23 offset:32
	ds_read2_b64 v[14:17], v22 offset0:128 offset1:144
	s_waitcnt lgkmcnt(2)
	v_fma_f64 v[36:37], v[6:7], v[34:35], v[26:27]
	v_fma_f64 v[38:39], v[8:9], v[34:35], v[28:29]
	;; [unrolled: 1-line block ×4, first 2 shown]
	ds_read_b128 v[6:9], v23 offset:1056
	ds_read_b128 v[24:27], v23 offset:48
	ds_read2_b64 v[28:31], v22 offset0:160 offset1:176
	ds_read_b128 v[32:35], v23 offset:1072
	s_waitcnt lgkmcnt(4)
	v_fma_f64 v[36:37], v[14:15], v[2:3], v[36:37]
	v_fma_f64 v[2:3], v[16:17], v[2:3], v[38:39]
	s_waitcnt lgkmcnt(3)
	v_fma_f64 v[38:39], v[14:15], v[6:7], v[40:41]
	v_fma_f64 v[6:7], v[16:17], v[6:7], v[42:43]
	ds_read2_b64 v[14:17], v22 offset0:192 offset1:208
	s_waitcnt lgkmcnt(2)
	v_fma_f64 v[36:37], v[28:29], v[4:5], v[36:37]
	v_fma_f64 v[2:3], v[30:31], v[4:5], v[2:3]
	;; [unrolled: 1-line block ×4, first 2 shown]
	ds_read2_b64 v[28:31], v22 offset0:224 offset1:240
	s_waitcnt lgkmcnt(0)
	s_barrier
	buffer_gl0_inv
	v_fma_f64 v[8:9], v[14:15], v[24:25], v[36:37]
	v_fma_f64 v[2:3], v[16:17], v[24:25], v[2:3]
	;; [unrolled: 1-line block ×8, first 2 shown]
	s_cbranch_vccz .LBB26_8
.LBB26_3:                               ; =>This Inner Loop Header: Depth=1
	v_add_co_u32 v14, s24, v19, s22
	v_add_co_ci_u32_e64 v15, null, 0, s23, s24
	v_cmp_gt_i64_e32 vcc_lo, s[16:17], v[14:15]
	v_mov_b32_e32 v14, 0
	v_mov_b32_e32 v15, 0
	s_and_b32 s25, s0, vcc_lo
	s_and_saveexec_b32 s24, s25
	s_cbranch_execz .LBB26_5
; %bb.4:                                ;   in Loop: Header=BB26_3 Depth=1
	flat_load_dwordx2 v[14:15], v[12:13]
.LBB26_5:                               ;   in Loop: Header=BB26_3 Depth=1
	s_or_b32 exec_lo, exec_lo, s24
	v_add_co_u32 v16, s24, v18, s22
	v_add_co_ci_u32_e64 v17, null, 0, s23, s24
	s_waitcnt vmcnt(0) lgkmcnt(0)
	ds_write_b64 v20, v[14:15]
	v_cmp_gt_i64_e32 vcc_lo, s[16:17], v[16:17]
	v_mov_b32_e32 v16, 0
	v_mov_b32_e32 v17, 0
	s_and_b32 s25, vcc_lo, s1
	s_and_saveexec_b32 s24, s25
	s_cbranch_execz .LBB26_2
; %bb.6:                                ;   in Loop: Header=BB26_3 Depth=1
	flat_load_dwordx2 v[16:17], v[10:11]
	s_branch .LBB26_2
.LBB26_7:
	v_mov_b32_e32 v8, 0
	v_mov_b32_e32 v6, 0
	;; [unrolled: 1-line block ×8, first 2 shown]
.LBB26_8:
	s_load_dwordx2 s[0:1], s[4:5], 0x80
	v_cmp_neq_f64_e64 s6, s[40:41], 0
	v_add_co_u32 v10, s4, s28, v1
	v_add_co_ci_u32_e64 v11, null, s29, 0, s4
	s_waitcnt lgkmcnt(0)
	s_lshl_b64 s[4:5], s[0:1], 3
	v_cmp_gt_i64_e64 s0, s[14:15], v[10:11]
	s_add_u32 s4, s2, s4
	s_addc_u32 s3, s3, s5
	s_and_b32 vcc_lo, exec_lo, s6
	s_cbranch_vccnz .LBB26_21
; %bb.9:
	s_and_saveexec_b32 s5, s0
	s_cbranch_execz .LBB26_19
; %bb.10:
	v_mul_lo_u32 v1, v11, s50
	v_mul_lo_u32 v14, v10, s51
	v_mad_u64_u32 v[12:13], null, v10, s50, 0
	v_add3_u32 v13, v13, v14, v1
	v_add_co_u32 v14, s1, s10, v0
	v_add_co_ci_u32_e64 v15, null, s11, 0, s1
	v_lshlrev_b64 v[16:17], 3, v[12:13]
	v_cmp_gt_i64_e32 vcc_lo, s[12:13], v[14:15]
	v_lshlrev_b64 v[12:13], 3, v[14:15]
	v_add_co_u32 v1, s1, s4, v16
	v_add_co_ci_u32_e64 v16, null, s3, v17, s1
	s_and_saveexec_b32 s2, vcc_lo
	s_cbranch_execz .LBB26_12
; %bb.11:
	v_mul_f64 v[17:18], s[18:19], v[8:9]
	v_add_co_u32 v19, s1, v1, v12
	v_add_co_ci_u32_e64 v20, null, v16, v13, s1
	flat_store_dwordx2 v[19:20], v[17:18]
.LBB26_12:
	s_or_b32 exec_lo, exec_lo, s2
	v_add_co_u32 v14, s1, v14, 16
	v_add_co_ci_u32_e64 v15, null, 0, v15, s1
	v_cmp_gt_i64_e64 s1, s[12:13], v[14:15]
	s_and_saveexec_b32 s6, s1
	s_cbranch_execz .LBB26_14
; %bb.13:
	v_mul_f64 v[14:15], s[18:19], v[6:7]
	v_add_co_u32 v17, s2, v1, v12
	v_add_co_ci_u32_e64 v18, null, v16, v13, s2
	flat_store_dwordx2 v[17:18], v[14:15] offset:128
.LBB26_14:
	s_or_b32 exec_lo, exec_lo, s6
	v_add_co_u32 v14, s2, v10, 16
	v_add_co_ci_u32_e64 v15, null, 0, v11, s2
	v_cmp_gt_i64_e64 s2, s[14:15], v[14:15]
	s_and_b32 exec_lo, exec_lo, s2
	s_cbranch_execz .LBB26_19
; %bb.15:
	s_lshl_b64 s[6:7], s[50:51], 7
	v_add_co_u32 v1, s2, v1, s6
	v_add_co_ci_u32_e64 v14, null, s7, v16, s2
	v_add_co_u32 v12, s2, v1, v12
	v_add_co_ci_u32_e64 v13, null, v14, v13, s2
	s_and_saveexec_b32 s2, vcc_lo
	s_cbranch_execz .LBB26_17
; %bb.16:
	v_mul_f64 v[14:15], s[18:19], v[4:5]
	flat_store_dwordx2 v[12:13], v[14:15]
.LBB26_17:
	s_or_b32 exec_lo, exec_lo, s2
	s_and_b32 exec_lo, exec_lo, s1
	s_cbranch_execz .LBB26_19
; %bb.18:
	v_mul_f64 v[14:15], s[18:19], v[2:3]
	flat_store_dwordx2 v[12:13], v[14:15] offset:128
.LBB26_19:
	s_or_b32 exec_lo, exec_lo, s5
	s_cbranch_execz .LBB26_22
.LBB26_20:
	s_endpgm
.LBB26_21:
.LBB26_22:
	s_and_saveexec_b32 s1, s0
	s_cbranch_execz .LBB26_20
; %bb.23:
	v_mul_lo_u32 v1, v11, s44
	v_mul_lo_u32 v12, v10, s45
	v_mad_u64_u32 v[14:15], null, v10, s44, 0
	v_mul_lo_u32 v18, v11, s50
	v_mul_lo_u32 v19, v10, s51
	v_mad_u64_u32 v[16:17], null, v10, s50, 0
	s_lshl_b64 s[0:1], s[46:47], 3
	v_add3_u32 v15, v15, v12, v1
	v_add_co_u32 v12, s2, s10, v0
	v_add_co_ci_u32_e64 v13, null, s11, 0, s2
	v_add3_u32 v17, v17, v19, v18
	v_lshlrev_b64 v[0:1], 3, v[14:15]
	s_add_u32 s0, s8, s0
	s_addc_u32 s1, s9, s1
	v_cmp_gt_i64_e32 vcc_lo, s[12:13], v[12:13]
	v_lshlrev_b64 v[16:17], 3, v[16:17]
	v_add_co_u32 v14, s0, s0, v0
	v_add_co_ci_u32_e64 v15, null, s1, v1, s0
	v_add_co_u32 v16, s0, s4, v16
	v_lshlrev_b64 v[0:1], 3, v[12:13]
	v_add_co_ci_u32_e64 v17, null, s3, v17, s0
	s_and_saveexec_b32 s1, vcc_lo
	s_cbranch_execz .LBB26_25
; %bb.24:
	v_add_co_u32 v18, s0, v14, v0
	v_add_co_ci_u32_e64 v19, null, v15, v1, s0
	flat_load_dwordx2 v[18:19], v[18:19]
	s_waitcnt vmcnt(0) lgkmcnt(0)
	v_mul_f64 v[18:19], s[40:41], v[18:19]
	v_fma_f64 v[8:9], s[18:19], v[8:9], v[18:19]
	v_add_co_u32 v18, s0, v16, v0
	v_add_co_ci_u32_e64 v19, null, v17, v1, s0
	flat_store_dwordx2 v[18:19], v[8:9]
.LBB26_25:
	s_or_b32 exec_lo, exec_lo, s1
	v_add_co_u32 v8, s0, v12, 16
	v_add_co_ci_u32_e64 v9, null, 0, v13, s0
	v_cmp_gt_i64_e64 s0, s[12:13], v[8:9]
	s_and_saveexec_b32 s2, s0
	s_cbranch_execz .LBB26_27
; %bb.26:
	v_add_co_u32 v8, s1, v14, v0
	v_add_co_ci_u32_e64 v9, null, v15, v1, s1
	flat_load_dwordx2 v[8:9], v[8:9] offset:128
	s_waitcnt vmcnt(0) lgkmcnt(0)
	v_mul_f64 v[8:9], s[40:41], v[8:9]
	v_fma_f64 v[6:7], s[18:19], v[6:7], v[8:9]
	v_add_co_u32 v8, s1, v16, v0
	v_add_co_ci_u32_e64 v9, null, v17, v1, s1
	flat_store_dwordx2 v[8:9], v[6:7] offset:128
.LBB26_27:
	s_or_b32 exec_lo, exec_lo, s2
	v_add_co_u32 v6, s1, v10, 16
	v_add_co_ci_u32_e64 v7, null, 0, v11, s1
	v_cmp_gt_i64_e64 s1, s[14:15], v[6:7]
	s_and_b32 exec_lo, exec_lo, s1
	s_cbranch_execz .LBB26_20
; %bb.28:
	s_lshl_b64 s[2:3], s[44:45], 7
	v_add_co_u32 v6, s1, v14, s2
	v_add_co_ci_u32_e64 v7, null, s3, v15, s1
	s_lshl_b64 s[2:3], s[50:51], 7
	v_add_co_u32 v8, s1, v16, s2
	v_add_co_ci_u32_e64 v9, null, s3, v17, s1
	v_add_co_u32 v6, s1, v6, v0
	v_add_co_ci_u32_e64 v7, null, v7, v1, s1
	;; [unrolled: 2-line block ×3, first 2 shown]
	s_and_saveexec_b32 s1, vcc_lo
	s_cbranch_execz .LBB26_30
; %bb.29:
	flat_load_dwordx2 v[8:9], v[6:7]
	s_waitcnt vmcnt(0) lgkmcnt(0)
	v_mul_f64 v[8:9], s[40:41], v[8:9]
	v_fma_f64 v[4:5], s[18:19], v[4:5], v[8:9]
	flat_store_dwordx2 v[0:1], v[4:5]
.LBB26_30:
	s_or_b32 exec_lo, exec_lo, s1
	s_and_b32 exec_lo, exec_lo, s0
	s_cbranch_execz .LBB26_20
; %bb.31:
	flat_load_dwordx2 v[4:5], v[6:7] offset:128
	s_waitcnt vmcnt(0) lgkmcnt(0)
	v_mul_f64 v[4:5], s[40:41], v[4:5]
	v_fma_f64 v[2:3], s[18:19], v[2:3], v[4:5]
	flat_store_dwordx2 v[0:1], v[2:3] offset:128
	s_endpgm
	.section	.rodata,"a",@progbits
	.p2align	6, 0x0
	.amdhsa_kernel _ZN12_GLOBAL__N_135rocblas_gemm_batched_general_kernelIdLi16ELi16ELi32ELi32ELi8ELi32ELi8ELi8ELi32ELc78ELc67EKPKdS3_KPdEEvlllT_PT11_llS8_llS6_PT12_llPT13_lli
		.amdhsa_group_segment_fixed_size 4096
		.amdhsa_private_segment_fixed_size 0
		.amdhsa_kernarg_size 140
		.amdhsa_user_sgpr_count 6
		.amdhsa_user_sgpr_private_segment_buffer 1
		.amdhsa_user_sgpr_dispatch_ptr 0
		.amdhsa_user_sgpr_queue_ptr 0
		.amdhsa_user_sgpr_kernarg_segment_ptr 1
		.amdhsa_user_sgpr_dispatch_id 0
		.amdhsa_user_sgpr_flat_scratch_init 0
		.amdhsa_user_sgpr_private_segment_size 0
		.amdhsa_wavefront_size32 1
		.amdhsa_uses_dynamic_stack 0
		.amdhsa_system_sgpr_private_segment_wavefront_offset 0
		.amdhsa_system_sgpr_workgroup_id_x 1
		.amdhsa_system_sgpr_workgroup_id_y 1
		.amdhsa_system_sgpr_workgroup_id_z 1
		.amdhsa_system_sgpr_workgroup_info 0
		.amdhsa_system_vgpr_workitem_id 1
		.amdhsa_next_free_vgpr 44
		.amdhsa_next_free_sgpr 52
		.amdhsa_reserve_vcc 1
		.amdhsa_reserve_flat_scratch 0
		.amdhsa_float_round_mode_32 0
		.amdhsa_float_round_mode_16_64 0
		.amdhsa_float_denorm_mode_32 3
		.amdhsa_float_denorm_mode_16_64 3
		.amdhsa_dx10_clamp 1
		.amdhsa_ieee_mode 1
		.amdhsa_fp16_overflow 0
		.amdhsa_workgroup_processor_mode 1
		.amdhsa_memory_ordered 1
		.amdhsa_forward_progress 1
		.amdhsa_shared_vgpr_count 0
		.amdhsa_exception_fp_ieee_invalid_op 0
		.amdhsa_exception_fp_denorm_src 0
		.amdhsa_exception_fp_ieee_div_zero 0
		.amdhsa_exception_fp_ieee_overflow 0
		.amdhsa_exception_fp_ieee_underflow 0
		.amdhsa_exception_fp_ieee_inexact 0
		.amdhsa_exception_int_div_zero 0
	.end_amdhsa_kernel
	.section	.text._ZN12_GLOBAL__N_135rocblas_gemm_batched_general_kernelIdLi16ELi16ELi32ELi32ELi8ELi32ELi8ELi8ELi32ELc78ELc67EKPKdS3_KPdEEvlllT_PT11_llS8_llS6_PT12_llPT13_lli,"axG",@progbits,_ZN12_GLOBAL__N_135rocblas_gemm_batched_general_kernelIdLi16ELi16ELi32ELi32ELi8ELi32ELi8ELi8ELi32ELc78ELc67EKPKdS3_KPdEEvlllT_PT11_llS8_llS6_PT12_llPT13_lli,comdat
.Lfunc_end26:
	.size	_ZN12_GLOBAL__N_135rocblas_gemm_batched_general_kernelIdLi16ELi16ELi32ELi32ELi8ELi32ELi8ELi8ELi32ELc78ELc67EKPKdS3_KPdEEvlllT_PT11_llS8_llS6_PT12_llPT13_lli, .Lfunc_end26-_ZN12_GLOBAL__N_135rocblas_gemm_batched_general_kernelIdLi16ELi16ELi32ELi32ELi8ELi32ELi8ELi8ELi32ELc78ELc67EKPKdS3_KPdEEvlllT_PT11_llS8_llS6_PT12_llPT13_lli
                                        ; -- End function
	.set _ZN12_GLOBAL__N_135rocblas_gemm_batched_general_kernelIdLi16ELi16ELi32ELi32ELi8ELi32ELi8ELi8ELi32ELc78ELc67EKPKdS3_KPdEEvlllT_PT11_llS8_llS6_PT12_llPT13_lli.num_vgpr, 44
	.set _ZN12_GLOBAL__N_135rocblas_gemm_batched_general_kernelIdLi16ELi16ELi32ELi32ELi8ELi32ELi8ELi8ELi32ELc78ELc67EKPKdS3_KPdEEvlllT_PT11_llS8_llS6_PT12_llPT13_lli.num_agpr, 0
	.set _ZN12_GLOBAL__N_135rocblas_gemm_batched_general_kernelIdLi16ELi16ELi32ELi32ELi8ELi32ELi8ELi8ELi32ELc78ELc67EKPKdS3_KPdEEvlllT_PT11_llS8_llS6_PT12_llPT13_lli.numbered_sgpr, 52
	.set _ZN12_GLOBAL__N_135rocblas_gemm_batched_general_kernelIdLi16ELi16ELi32ELi32ELi8ELi32ELi8ELi8ELi32ELc78ELc67EKPKdS3_KPdEEvlllT_PT11_llS8_llS6_PT12_llPT13_lli.num_named_barrier, 0
	.set _ZN12_GLOBAL__N_135rocblas_gemm_batched_general_kernelIdLi16ELi16ELi32ELi32ELi8ELi32ELi8ELi8ELi32ELc78ELc67EKPKdS3_KPdEEvlllT_PT11_llS8_llS6_PT12_llPT13_lli.private_seg_size, 0
	.set _ZN12_GLOBAL__N_135rocblas_gemm_batched_general_kernelIdLi16ELi16ELi32ELi32ELi8ELi32ELi8ELi8ELi32ELc78ELc67EKPKdS3_KPdEEvlllT_PT11_llS8_llS6_PT12_llPT13_lli.uses_vcc, 1
	.set _ZN12_GLOBAL__N_135rocblas_gemm_batched_general_kernelIdLi16ELi16ELi32ELi32ELi8ELi32ELi8ELi8ELi32ELc78ELc67EKPKdS3_KPdEEvlllT_PT11_llS8_llS6_PT12_llPT13_lli.uses_flat_scratch, 0
	.set _ZN12_GLOBAL__N_135rocblas_gemm_batched_general_kernelIdLi16ELi16ELi32ELi32ELi8ELi32ELi8ELi8ELi32ELc78ELc67EKPKdS3_KPdEEvlllT_PT11_llS8_llS6_PT12_llPT13_lli.has_dyn_sized_stack, 0
	.set _ZN12_GLOBAL__N_135rocblas_gemm_batched_general_kernelIdLi16ELi16ELi32ELi32ELi8ELi32ELi8ELi8ELi32ELc78ELc67EKPKdS3_KPdEEvlllT_PT11_llS8_llS6_PT12_llPT13_lli.has_recursion, 0
	.set _ZN12_GLOBAL__N_135rocblas_gemm_batched_general_kernelIdLi16ELi16ELi32ELi32ELi8ELi32ELi8ELi8ELi32ELc78ELc67EKPKdS3_KPdEEvlllT_PT11_llS8_llS6_PT12_llPT13_lli.has_indirect_call, 0
	.section	.AMDGPU.csdata,"",@progbits
; Kernel info:
; codeLenInByte = 2104
; TotalNumSgprs: 54
; NumVgprs: 44
; ScratchSize: 0
; MemoryBound: 0
; FloatMode: 240
; IeeeMode: 1
; LDSByteSize: 4096 bytes/workgroup (compile time only)
; SGPRBlocks: 0
; VGPRBlocks: 5
; NumSGPRsForWavesPerEU: 54
; NumVGPRsForWavesPerEU: 44
; Occupancy: 16
; WaveLimiterHint : 1
; COMPUTE_PGM_RSRC2:SCRATCH_EN: 0
; COMPUTE_PGM_RSRC2:USER_SGPR: 6
; COMPUTE_PGM_RSRC2:TRAP_HANDLER: 0
; COMPUTE_PGM_RSRC2:TGID_X_EN: 1
; COMPUTE_PGM_RSRC2:TGID_Y_EN: 1
; COMPUTE_PGM_RSRC2:TGID_Z_EN: 1
; COMPUTE_PGM_RSRC2:TIDIG_COMP_CNT: 1
	.section	.text._ZN12_GLOBAL__N_135rocblas_gemm_batched_general_kernelIdLi16ELi16ELi32ELi32ELi8ELi32ELi8ELi8ELi32ELc84ELc67EKPKdS3_KPdEEvlllT_PT11_llS8_llS6_PT12_llPT13_lli,"axG",@progbits,_ZN12_GLOBAL__N_135rocblas_gemm_batched_general_kernelIdLi16ELi16ELi32ELi32ELi8ELi32ELi8ELi8ELi32ELc84ELc67EKPKdS3_KPdEEvlllT_PT11_llS8_llS6_PT12_llPT13_lli,comdat
	.globl	_ZN12_GLOBAL__N_135rocblas_gemm_batched_general_kernelIdLi16ELi16ELi32ELi32ELi8ELi32ELi8ELi8ELi32ELc84ELc67EKPKdS3_KPdEEvlllT_PT11_llS8_llS6_PT12_llPT13_lli ; -- Begin function _ZN12_GLOBAL__N_135rocblas_gemm_batched_general_kernelIdLi16ELi16ELi32ELi32ELi8ELi32ELi8ELi8ELi32ELc84ELc67EKPKdS3_KPdEEvlllT_PT11_llS8_llS6_PT12_llPT13_lli
	.p2align	8
	.type	_ZN12_GLOBAL__N_135rocblas_gemm_batched_general_kernelIdLi16ELi16ELi32ELi32ELi8ELi32ELi8ELi8ELi32ELc84ELc67EKPKdS3_KPdEEvlllT_PT11_llS8_llS6_PT12_llPT13_lli,@function
_ZN12_GLOBAL__N_135rocblas_gemm_batched_general_kernelIdLi16ELi16ELi32ELi32ELi8ELi32ELi8ELi8ELi32ELc84ELc67EKPKdS3_KPdEEvlllT_PT11_llS8_llS6_PT12_llPT13_lli: ; @_ZN12_GLOBAL__N_135rocblas_gemm_batched_general_kernelIdLi16ELi16ELi32ELi32ELi8ELi32ELi8ELi8ELi32ELc84ELc67EKPKdS3_KPdEEvlllT_PT11_llS8_llS6_PT12_llPT13_lli
; %bb.0:
	s_clause 0x1
	s_load_dwordx16 s[36:51], s[4:5], 0x40
	s_load_dwordx16 s[12:27], s[4:5], 0x0
	s_mov_b32 s9, 0
	s_mov_b32 s28, s7
	s_lshl_b64 s[0:1], s[8:9], 3
	s_waitcnt lgkmcnt(0)
	s_add_u32 s2, s42, s0
	s_addc_u32 s3, s43, s1
	s_add_u32 s10, s48, s0
	s_addc_u32 s11, s49, s1
	s_load_dwordx2 s[8:9], s[2:3], 0x0
	s_load_dwordx2 s[2:3], s[10:11], 0x0
	v_cmp_lt_i64_e64 s10, s[16:17], 1
	s_ashr_i32 s7, s6, 31
	s_ashr_i32 s29, s28, 31
	s_lshl_b64 s[6:7], s[6:7], 5
	s_and_b32 vcc_lo, exec_lo, s10
	s_lshl_b64 s[10:11], s[28:29], 5
	s_cbranch_vccnz .LBB27_7
; %bb.1:
	v_lshl_add_u32 v8, v1, 4, v0
	v_and_b32_e32 v18, 7, v0
	s_add_u32 s26, s26, s0
	s_addc_u32 s27, s27, s1
	v_mov_b32_e32 v3, s7
	v_and_b32_e32 v9, 31, v8
	v_mad_u64_u32 v[4:5], null, s36, v18, 0
	v_lshrrev_b32_e32 v10, 3, v8
	s_add_u32 s0, s20, s0
	v_or_b32_e32 v2, s6, v9
	s_addc_u32 s1, s21, s1
	s_load_dwordx2 s[20:21], s[26:27], 0x0
	s_load_dwordx2 s[26:27], s[0:1], 0x0
	v_add_co_u32 v6, s0, v10, s10
	v_add_co_ci_u32_e64 v7, null, 0, s11, s0
	v_cmp_gt_i64_e64 s0, s[12:13], v[2:3]
	v_mov_b32_e32 v2, v5
	v_lshlrev_b32_e32 v5, 3, v18
	v_cmp_gt_i64_e64 s1, s[14:15], v[6:7]
	v_add_co_u32 v6, s30, s6, v9
	v_mad_u64_u32 v[2:3], null, s37, v18, v[2:3]
	v_lshl_or_b32 v3, v10, 6, v5
	v_add_co_ci_u32_e64 v7, null, s7, 0, s30
	v_lshlrev_b32_e32 v11, 3, v9
	v_mul_lo_u32 v9, s23, v6
	v_add_nc_u32_e32 v21, 0x800, v3
	v_mov_b32_e32 v5, v2
	v_mul_lo_u32 v7, s22, v7
	v_mad_u64_u32 v[2:3], null, s22, v6, 0
	s_lshl_b64 s[22:23], s[28:29], 8
	v_lshlrev_b64 v[4:5], 3, v[4:5]
	s_lshl_b64 s[28:29], s[38:39], 3
	v_and_b32_e32 v6, 0x1ff8, v8
	s_add_u32 s22, s28, s22
	s_addc_u32 s23, s29, s23
	v_add3_u32 v3, v3, v7, v9
	v_add_co_u32 v4, vcc_lo, s22, v4
	v_lshrrev_b32_e32 v19, 5, v8
	v_add_co_ci_u32_e64 v5, null, s23, v5, vcc_lo
	v_lshlrev_b64 v[2:3], 3, v[2:3]
	v_add_co_u32 v4, vcc_lo, v4, v6
	s_lshl_b64 s[22:23], s[24:25], 3
	v_add_co_ci_u32_e64 v5, null, 0, v5, vcc_lo
	v_add_co_u32 v2, vcc_lo, v2, s22
	v_lshlrev_b32_e32 v6, 3, v19
	v_add_co_ci_u32_e64 v3, null, s23, v3, vcc_lo
	s_waitcnt lgkmcnt(0)
	v_add_co_u32 v10, vcc_lo, s20, v4
	v_lshl_or_b32 v20, v19, 8, v11
	v_add_co_ci_u32_e64 v11, null, s21, v5, vcc_lo
	v_add_co_u32 v12, vcc_lo, v2, v6
	v_add_co_ci_u32_e64 v13, null, 0, v3, vcc_lo
	v_mov_b32_e32 v2, 0
	v_add_co_u32 v12, vcc_lo, s26, v12
	v_mov_b32_e32 v4, 0
	v_mov_b32_e32 v6, 0
	;; [unrolled: 1-line block ×3, first 2 shown]
	v_lshlrev_b32_e32 v22, 3, v0
	v_lshl_add_u32 v23, v1, 6, 0x800
	v_mov_b32_e32 v3, 0
	v_mov_b32_e32 v5, 0
	;; [unrolled: 1-line block ×4, first 2 shown]
	v_add_co_ci_u32_e64 v13, null, s27, v13, vcc_lo
	s_lshl_b64 s[20:21], s[36:37], 6
	s_mov_b64 s[22:23], 0
	s_branch .LBB27_3
.LBB27_2:                               ;   in Loop: Header=BB27_3 Depth=1
	s_or_b32 exec_lo, exec_lo, s24
	s_waitcnt vmcnt(0) lgkmcnt(0)
	ds_write_b64 v21, v[16:17]
	s_waitcnt lgkmcnt(0)
	s_barrier
	buffer_gl0_inv
	ds_read_b128 v[14:17], v23
	ds_read2_b64 v[24:27], v22 offset1:16
	ds_read_b128 v[28:31], v23 offset:1024
	ds_read_b128 v[32:35], v23 offset:16
	ds_read2_b64 v[36:39], v22 offset0:32 offset1:48
	ds_read_b128 v[40:43], v23 offset:1040
	s_add_u32 s22, s22, 8
	s_addc_u32 s23, s23, 0
	v_add_co_u32 v10, vcc_lo, v10, s20
	v_cmp_lt_i64_e64 s24, s[22:23], s[16:17]
	v_add_co_ci_u32_e64 v11, null, s21, v11, vcc_lo
	v_add_co_u32 v12, vcc_lo, v12, 64
	v_add_co_ci_u32_e64 v13, null, 0, v13, vcc_lo
	s_and_b32 vcc_lo, exec_lo, s24
	s_waitcnt lgkmcnt(4)
	v_fma_f64 v[8:9], v[24:25], v[14:15], v[8:9]
	v_fma_f64 v[6:7], v[26:27], v[14:15], v[6:7]
	s_waitcnt lgkmcnt(3)
	v_fma_f64 v[14:15], v[24:25], v[28:29], v[4:5]
	v_fma_f64 v[24:25], v[26:27], v[28:29], v[2:3]
	ds_read2_b64 v[2:5], v22 offset0:64 offset1:80
	s_waitcnt lgkmcnt(2)
	v_fma_f64 v[26:27], v[36:37], v[16:17], v[8:9]
	v_fma_f64 v[16:17], v[38:39], v[16:17], v[6:7]
	;; [unrolled: 1-line block ×4, first 2 shown]
	ds_read2_b64 v[6:9], v22 offset0:96 offset1:112
	s_waitcnt lgkmcnt(1)
	v_fma_f64 v[26:27], v[2:3], v[32:33], v[26:27]
	v_fma_f64 v[28:29], v[4:5], v[32:33], v[16:17]
	;; [unrolled: 1-line block ×4, first 2 shown]
	ds_read_b128 v[2:5], v23 offset:32
	ds_read2_b64 v[14:17], v22 offset0:128 offset1:144
	s_waitcnt lgkmcnt(2)
	v_fma_f64 v[36:37], v[6:7], v[34:35], v[26:27]
	v_fma_f64 v[38:39], v[8:9], v[34:35], v[28:29]
	;; [unrolled: 1-line block ×4, first 2 shown]
	ds_read_b128 v[6:9], v23 offset:1056
	ds_read_b128 v[24:27], v23 offset:48
	ds_read2_b64 v[28:31], v22 offset0:160 offset1:176
	ds_read_b128 v[32:35], v23 offset:1072
	s_waitcnt lgkmcnt(4)
	v_fma_f64 v[36:37], v[14:15], v[2:3], v[36:37]
	v_fma_f64 v[2:3], v[16:17], v[2:3], v[38:39]
	s_waitcnt lgkmcnt(3)
	v_fma_f64 v[38:39], v[14:15], v[6:7], v[40:41]
	v_fma_f64 v[6:7], v[16:17], v[6:7], v[42:43]
	ds_read2_b64 v[14:17], v22 offset0:192 offset1:208
	s_waitcnt lgkmcnt(2)
	v_fma_f64 v[36:37], v[28:29], v[4:5], v[36:37]
	v_fma_f64 v[2:3], v[30:31], v[4:5], v[2:3]
	;; [unrolled: 1-line block ×4, first 2 shown]
	ds_read2_b64 v[28:31], v22 offset0:224 offset1:240
	s_waitcnt lgkmcnt(0)
	s_barrier
	buffer_gl0_inv
	v_fma_f64 v[8:9], v[14:15], v[24:25], v[36:37]
	v_fma_f64 v[2:3], v[16:17], v[24:25], v[2:3]
	;; [unrolled: 1-line block ×8, first 2 shown]
	s_cbranch_vccz .LBB27_8
.LBB27_3:                               ; =>This Inner Loop Header: Depth=1
	v_add_co_u32 v14, s24, v19, s22
	v_add_co_ci_u32_e64 v15, null, 0, s23, s24
	v_cmp_gt_i64_e32 vcc_lo, s[16:17], v[14:15]
	v_mov_b32_e32 v14, 0
	v_mov_b32_e32 v15, 0
	s_and_b32 s25, s0, vcc_lo
	s_and_saveexec_b32 s24, s25
	s_cbranch_execz .LBB27_5
; %bb.4:                                ;   in Loop: Header=BB27_3 Depth=1
	flat_load_dwordx2 v[14:15], v[12:13]
.LBB27_5:                               ;   in Loop: Header=BB27_3 Depth=1
	s_or_b32 exec_lo, exec_lo, s24
	v_add_co_u32 v16, s24, v18, s22
	v_add_co_ci_u32_e64 v17, null, 0, s23, s24
	s_waitcnt vmcnt(0) lgkmcnt(0)
	ds_write_b64 v20, v[14:15]
	v_cmp_gt_i64_e32 vcc_lo, s[16:17], v[16:17]
	v_mov_b32_e32 v16, 0
	v_mov_b32_e32 v17, 0
	s_and_b32 s25, vcc_lo, s1
	s_and_saveexec_b32 s24, s25
	s_cbranch_execz .LBB27_2
; %bb.6:                                ;   in Loop: Header=BB27_3 Depth=1
	flat_load_dwordx2 v[16:17], v[10:11]
	s_branch .LBB27_2
.LBB27_7:
	v_mov_b32_e32 v8, 0
	v_mov_b32_e32 v6, 0
	;; [unrolled: 1-line block ×8, first 2 shown]
.LBB27_8:
	s_load_dwordx2 s[0:1], s[4:5], 0x80
	v_cmp_neq_f64_e64 s16, s[40:41], 0
	v_add_co_u32 v10, s4, s10, v1
	v_add_co_ci_u32_e64 v11, null, s11, 0, s4
	s_waitcnt lgkmcnt(0)
	s_lshl_b64 s[4:5], s[0:1], 3
	v_cmp_gt_i64_e64 s0, s[14:15], v[10:11]
	s_add_u32 s4, s2, s4
	s_addc_u32 s3, s3, s5
	s_and_b32 vcc_lo, exec_lo, s16
	s_cbranch_vccnz .LBB27_21
; %bb.9:
	s_and_saveexec_b32 s5, s0
	s_cbranch_execz .LBB27_19
; %bb.10:
	v_mul_lo_u32 v1, v11, s50
	v_mul_lo_u32 v14, v10, s51
	v_mad_u64_u32 v[12:13], null, v10, s50, 0
	v_add3_u32 v13, v13, v14, v1
	v_add_co_u32 v14, s1, s6, v0
	v_add_co_ci_u32_e64 v15, null, s7, 0, s1
	v_lshlrev_b64 v[16:17], 3, v[12:13]
	v_cmp_gt_i64_e32 vcc_lo, s[12:13], v[14:15]
	v_lshlrev_b64 v[12:13], 3, v[14:15]
	v_add_co_u32 v1, s1, s4, v16
	v_add_co_ci_u32_e64 v16, null, s3, v17, s1
	s_and_saveexec_b32 s2, vcc_lo
	s_cbranch_execz .LBB27_12
; %bb.11:
	v_mul_f64 v[17:18], s[18:19], v[8:9]
	v_add_co_u32 v19, s1, v1, v12
	v_add_co_ci_u32_e64 v20, null, v16, v13, s1
	flat_store_dwordx2 v[19:20], v[17:18]
.LBB27_12:
	s_or_b32 exec_lo, exec_lo, s2
	v_add_co_u32 v14, s1, v14, 16
	v_add_co_ci_u32_e64 v15, null, 0, v15, s1
	v_cmp_gt_i64_e64 s1, s[12:13], v[14:15]
	s_and_saveexec_b32 s10, s1
	s_cbranch_execz .LBB27_14
; %bb.13:
	v_mul_f64 v[14:15], s[18:19], v[6:7]
	v_add_co_u32 v17, s2, v1, v12
	v_add_co_ci_u32_e64 v18, null, v16, v13, s2
	flat_store_dwordx2 v[17:18], v[14:15] offset:128
.LBB27_14:
	s_or_b32 exec_lo, exec_lo, s10
	v_add_co_u32 v14, s2, v10, 16
	v_add_co_ci_u32_e64 v15, null, 0, v11, s2
	v_cmp_gt_i64_e64 s2, s[14:15], v[14:15]
	s_and_b32 exec_lo, exec_lo, s2
	s_cbranch_execz .LBB27_19
; %bb.15:
	s_lshl_b64 s[10:11], s[50:51], 7
	v_add_co_u32 v1, s2, v1, s10
	v_add_co_ci_u32_e64 v14, null, s11, v16, s2
	v_add_co_u32 v12, s2, v1, v12
	v_add_co_ci_u32_e64 v13, null, v14, v13, s2
	s_and_saveexec_b32 s2, vcc_lo
	s_cbranch_execz .LBB27_17
; %bb.16:
	v_mul_f64 v[14:15], s[18:19], v[4:5]
	flat_store_dwordx2 v[12:13], v[14:15]
.LBB27_17:
	s_or_b32 exec_lo, exec_lo, s2
	s_and_b32 exec_lo, exec_lo, s1
	s_cbranch_execz .LBB27_19
; %bb.18:
	v_mul_f64 v[14:15], s[18:19], v[2:3]
	flat_store_dwordx2 v[12:13], v[14:15] offset:128
.LBB27_19:
	s_or_b32 exec_lo, exec_lo, s5
	s_cbranch_execz .LBB27_22
.LBB27_20:
	s_endpgm
.LBB27_21:
.LBB27_22:
	s_and_saveexec_b32 s1, s0
	s_cbranch_execz .LBB27_20
; %bb.23:
	v_mul_lo_u32 v1, v11, s44
	v_mul_lo_u32 v12, v10, s45
	v_mad_u64_u32 v[14:15], null, v10, s44, 0
	v_mul_lo_u32 v18, v11, s50
	v_mul_lo_u32 v19, v10, s51
	v_mad_u64_u32 v[16:17], null, v10, s50, 0
	s_lshl_b64 s[0:1], s[46:47], 3
	v_add3_u32 v15, v15, v12, v1
	v_add_co_u32 v12, s2, s6, v0
	v_add_co_ci_u32_e64 v13, null, s7, 0, s2
	v_add3_u32 v17, v17, v19, v18
	v_lshlrev_b64 v[0:1], 3, v[14:15]
	s_add_u32 s0, s8, s0
	s_addc_u32 s1, s9, s1
	v_cmp_gt_i64_e32 vcc_lo, s[12:13], v[12:13]
	v_lshlrev_b64 v[16:17], 3, v[16:17]
	v_add_co_u32 v14, s0, s0, v0
	v_add_co_ci_u32_e64 v15, null, s1, v1, s0
	v_add_co_u32 v16, s0, s4, v16
	v_lshlrev_b64 v[0:1], 3, v[12:13]
	v_add_co_ci_u32_e64 v17, null, s3, v17, s0
	s_and_saveexec_b32 s1, vcc_lo
	s_cbranch_execz .LBB27_25
; %bb.24:
	v_add_co_u32 v18, s0, v14, v0
	v_add_co_ci_u32_e64 v19, null, v15, v1, s0
	flat_load_dwordx2 v[18:19], v[18:19]
	s_waitcnt vmcnt(0) lgkmcnt(0)
	v_mul_f64 v[18:19], s[40:41], v[18:19]
	v_fma_f64 v[8:9], s[18:19], v[8:9], v[18:19]
	v_add_co_u32 v18, s0, v16, v0
	v_add_co_ci_u32_e64 v19, null, v17, v1, s0
	flat_store_dwordx2 v[18:19], v[8:9]
.LBB27_25:
	s_or_b32 exec_lo, exec_lo, s1
	v_add_co_u32 v8, s0, v12, 16
	v_add_co_ci_u32_e64 v9, null, 0, v13, s0
	v_cmp_gt_i64_e64 s0, s[12:13], v[8:9]
	s_and_saveexec_b32 s2, s0
	s_cbranch_execz .LBB27_27
; %bb.26:
	v_add_co_u32 v8, s1, v14, v0
	v_add_co_ci_u32_e64 v9, null, v15, v1, s1
	flat_load_dwordx2 v[8:9], v[8:9] offset:128
	s_waitcnt vmcnt(0) lgkmcnt(0)
	v_mul_f64 v[8:9], s[40:41], v[8:9]
	v_fma_f64 v[6:7], s[18:19], v[6:7], v[8:9]
	v_add_co_u32 v8, s1, v16, v0
	v_add_co_ci_u32_e64 v9, null, v17, v1, s1
	flat_store_dwordx2 v[8:9], v[6:7] offset:128
.LBB27_27:
	s_or_b32 exec_lo, exec_lo, s2
	v_add_co_u32 v6, s1, v10, 16
	v_add_co_ci_u32_e64 v7, null, 0, v11, s1
	v_cmp_gt_i64_e64 s1, s[14:15], v[6:7]
	s_and_b32 exec_lo, exec_lo, s1
	s_cbranch_execz .LBB27_20
; %bb.28:
	s_lshl_b64 s[2:3], s[44:45], 7
	v_add_co_u32 v6, s1, v14, s2
	v_add_co_ci_u32_e64 v7, null, s3, v15, s1
	s_lshl_b64 s[2:3], s[50:51], 7
	v_add_co_u32 v8, s1, v16, s2
	v_add_co_ci_u32_e64 v9, null, s3, v17, s1
	v_add_co_u32 v6, s1, v6, v0
	v_add_co_ci_u32_e64 v7, null, v7, v1, s1
	;; [unrolled: 2-line block ×3, first 2 shown]
	s_and_saveexec_b32 s1, vcc_lo
	s_cbranch_execz .LBB27_30
; %bb.29:
	flat_load_dwordx2 v[8:9], v[6:7]
	s_waitcnt vmcnt(0) lgkmcnt(0)
	v_mul_f64 v[8:9], s[40:41], v[8:9]
	v_fma_f64 v[4:5], s[18:19], v[4:5], v[8:9]
	flat_store_dwordx2 v[0:1], v[4:5]
.LBB27_30:
	s_or_b32 exec_lo, exec_lo, s1
	s_and_b32 exec_lo, exec_lo, s0
	s_cbranch_execz .LBB27_20
; %bb.31:
	flat_load_dwordx2 v[4:5], v[6:7] offset:128
	s_waitcnt vmcnt(0) lgkmcnt(0)
	v_mul_f64 v[4:5], s[40:41], v[4:5]
	v_fma_f64 v[2:3], s[18:19], v[2:3], v[4:5]
	flat_store_dwordx2 v[0:1], v[2:3] offset:128
	s_endpgm
	.section	.rodata,"a",@progbits
	.p2align	6, 0x0
	.amdhsa_kernel _ZN12_GLOBAL__N_135rocblas_gemm_batched_general_kernelIdLi16ELi16ELi32ELi32ELi8ELi32ELi8ELi8ELi32ELc84ELc67EKPKdS3_KPdEEvlllT_PT11_llS8_llS6_PT12_llPT13_lli
		.amdhsa_group_segment_fixed_size 4096
		.amdhsa_private_segment_fixed_size 0
		.amdhsa_kernarg_size 140
		.amdhsa_user_sgpr_count 6
		.amdhsa_user_sgpr_private_segment_buffer 1
		.amdhsa_user_sgpr_dispatch_ptr 0
		.amdhsa_user_sgpr_queue_ptr 0
		.amdhsa_user_sgpr_kernarg_segment_ptr 1
		.amdhsa_user_sgpr_dispatch_id 0
		.amdhsa_user_sgpr_flat_scratch_init 0
		.amdhsa_user_sgpr_private_segment_size 0
		.amdhsa_wavefront_size32 1
		.amdhsa_uses_dynamic_stack 0
		.amdhsa_system_sgpr_private_segment_wavefront_offset 0
		.amdhsa_system_sgpr_workgroup_id_x 1
		.amdhsa_system_sgpr_workgroup_id_y 1
		.amdhsa_system_sgpr_workgroup_id_z 1
		.amdhsa_system_sgpr_workgroup_info 0
		.amdhsa_system_vgpr_workitem_id 1
		.amdhsa_next_free_vgpr 44
		.amdhsa_next_free_sgpr 52
		.amdhsa_reserve_vcc 1
		.amdhsa_reserve_flat_scratch 0
		.amdhsa_float_round_mode_32 0
		.amdhsa_float_round_mode_16_64 0
		.amdhsa_float_denorm_mode_32 3
		.amdhsa_float_denorm_mode_16_64 3
		.amdhsa_dx10_clamp 1
		.amdhsa_ieee_mode 1
		.amdhsa_fp16_overflow 0
		.amdhsa_workgroup_processor_mode 1
		.amdhsa_memory_ordered 1
		.amdhsa_forward_progress 1
		.amdhsa_shared_vgpr_count 0
		.amdhsa_exception_fp_ieee_invalid_op 0
		.amdhsa_exception_fp_denorm_src 0
		.amdhsa_exception_fp_ieee_div_zero 0
		.amdhsa_exception_fp_ieee_overflow 0
		.amdhsa_exception_fp_ieee_underflow 0
		.amdhsa_exception_fp_ieee_inexact 0
		.amdhsa_exception_int_div_zero 0
	.end_amdhsa_kernel
	.section	.text._ZN12_GLOBAL__N_135rocblas_gemm_batched_general_kernelIdLi16ELi16ELi32ELi32ELi8ELi32ELi8ELi8ELi32ELc84ELc67EKPKdS3_KPdEEvlllT_PT11_llS8_llS6_PT12_llPT13_lli,"axG",@progbits,_ZN12_GLOBAL__N_135rocblas_gemm_batched_general_kernelIdLi16ELi16ELi32ELi32ELi8ELi32ELi8ELi8ELi32ELc84ELc67EKPKdS3_KPdEEvlllT_PT11_llS8_llS6_PT12_llPT13_lli,comdat
.Lfunc_end27:
	.size	_ZN12_GLOBAL__N_135rocblas_gemm_batched_general_kernelIdLi16ELi16ELi32ELi32ELi8ELi32ELi8ELi8ELi32ELc84ELc67EKPKdS3_KPdEEvlllT_PT11_llS8_llS6_PT12_llPT13_lli, .Lfunc_end27-_ZN12_GLOBAL__N_135rocblas_gemm_batched_general_kernelIdLi16ELi16ELi32ELi32ELi8ELi32ELi8ELi8ELi32ELc84ELc67EKPKdS3_KPdEEvlllT_PT11_llS8_llS6_PT12_llPT13_lli
                                        ; -- End function
	.set _ZN12_GLOBAL__N_135rocblas_gemm_batched_general_kernelIdLi16ELi16ELi32ELi32ELi8ELi32ELi8ELi8ELi32ELc84ELc67EKPKdS3_KPdEEvlllT_PT11_llS8_llS6_PT12_llPT13_lli.num_vgpr, 44
	.set _ZN12_GLOBAL__N_135rocblas_gemm_batched_general_kernelIdLi16ELi16ELi32ELi32ELi8ELi32ELi8ELi8ELi32ELc84ELc67EKPKdS3_KPdEEvlllT_PT11_llS8_llS6_PT12_llPT13_lli.num_agpr, 0
	.set _ZN12_GLOBAL__N_135rocblas_gemm_batched_general_kernelIdLi16ELi16ELi32ELi32ELi8ELi32ELi8ELi8ELi32ELc84ELc67EKPKdS3_KPdEEvlllT_PT11_llS8_llS6_PT12_llPT13_lli.numbered_sgpr, 52
	.set _ZN12_GLOBAL__N_135rocblas_gemm_batched_general_kernelIdLi16ELi16ELi32ELi32ELi8ELi32ELi8ELi8ELi32ELc84ELc67EKPKdS3_KPdEEvlllT_PT11_llS8_llS6_PT12_llPT13_lli.num_named_barrier, 0
	.set _ZN12_GLOBAL__N_135rocblas_gemm_batched_general_kernelIdLi16ELi16ELi32ELi32ELi8ELi32ELi8ELi8ELi32ELc84ELc67EKPKdS3_KPdEEvlllT_PT11_llS8_llS6_PT12_llPT13_lli.private_seg_size, 0
	.set _ZN12_GLOBAL__N_135rocblas_gemm_batched_general_kernelIdLi16ELi16ELi32ELi32ELi8ELi32ELi8ELi8ELi32ELc84ELc67EKPKdS3_KPdEEvlllT_PT11_llS8_llS6_PT12_llPT13_lli.uses_vcc, 1
	.set _ZN12_GLOBAL__N_135rocblas_gemm_batched_general_kernelIdLi16ELi16ELi32ELi32ELi8ELi32ELi8ELi8ELi32ELc84ELc67EKPKdS3_KPdEEvlllT_PT11_llS8_llS6_PT12_llPT13_lli.uses_flat_scratch, 0
	.set _ZN12_GLOBAL__N_135rocblas_gemm_batched_general_kernelIdLi16ELi16ELi32ELi32ELi8ELi32ELi8ELi8ELi32ELc84ELc67EKPKdS3_KPdEEvlllT_PT11_llS8_llS6_PT12_llPT13_lli.has_dyn_sized_stack, 0
	.set _ZN12_GLOBAL__N_135rocblas_gemm_batched_general_kernelIdLi16ELi16ELi32ELi32ELi8ELi32ELi8ELi8ELi32ELc84ELc67EKPKdS3_KPdEEvlllT_PT11_llS8_llS6_PT12_llPT13_lli.has_recursion, 0
	.set _ZN12_GLOBAL__N_135rocblas_gemm_batched_general_kernelIdLi16ELi16ELi32ELi32ELi8ELi32ELi8ELi8ELi32ELc84ELc67EKPKdS3_KPdEEvlllT_PT11_llS8_llS6_PT12_llPT13_lli.has_indirect_call, 0
	.section	.AMDGPU.csdata,"",@progbits
; Kernel info:
; codeLenInByte = 2120
; TotalNumSgprs: 54
; NumVgprs: 44
; ScratchSize: 0
; MemoryBound: 0
; FloatMode: 240
; IeeeMode: 1
; LDSByteSize: 4096 bytes/workgroup (compile time only)
; SGPRBlocks: 0
; VGPRBlocks: 5
; NumSGPRsForWavesPerEU: 54
; NumVGPRsForWavesPerEU: 44
; Occupancy: 16
; WaveLimiterHint : 1
; COMPUTE_PGM_RSRC2:SCRATCH_EN: 0
; COMPUTE_PGM_RSRC2:USER_SGPR: 6
; COMPUTE_PGM_RSRC2:TRAP_HANDLER: 0
; COMPUTE_PGM_RSRC2:TGID_X_EN: 1
; COMPUTE_PGM_RSRC2:TGID_Y_EN: 1
; COMPUTE_PGM_RSRC2:TGID_Z_EN: 1
; COMPUTE_PGM_RSRC2:TIDIG_COMP_CNT: 1
	.section	.text._ZN12_GLOBAL__N_120gemm_ex_scale_kernelILi32ELi32EfPKPKfPKPfEEviiT1_T2_lllT3_llli,"axG",@progbits,_ZN12_GLOBAL__N_120gemm_ex_scale_kernelILi32ELi32EfPKPKfPKPfEEviiT1_T2_lllT3_llli,comdat
	.globl	_ZN12_GLOBAL__N_120gemm_ex_scale_kernelILi32ELi32EfPKPKfPKPfEEviiT1_T2_lllT3_llli ; -- Begin function _ZN12_GLOBAL__N_120gemm_ex_scale_kernelILi32ELi32EfPKPKfPKPfEEviiT1_T2_lllT3_llli
	.p2align	8
	.type	_ZN12_GLOBAL__N_120gemm_ex_scale_kernelILi32ELi32EfPKPKfPKPfEEviiT1_T2_lllT3_llli,@function
_ZN12_GLOBAL__N_120gemm_ex_scale_kernelILi32ELi32EfPKPKfPKPfEEviiT1_T2_lllT3_llli: ; @_ZN12_GLOBAL__N_120gemm_ex_scale_kernelILi32ELi32EfPKPKfPKPfEEviiT1_T2_lllT3_llli
; %bb.0:
	s_clause 0x1
	s_load_dwordx8 s[12:19], s[4:5], 0x0
	s_load_dwordx2 s[10:11], s[4:5], 0x20
	s_mov_b32 s9, 0
	s_waitcnt lgkmcnt(0)
	v_cmp_eq_f32_e64 s15, s14, 0
	s_and_b32 vcc_lo, exec_lo, s15
	s_cbranch_vccnz .LBB28_2
; %bb.1:
	s_lshl_b64 s[0:1], s[8:9], 3
	s_add_u32 s0, s16, s0
	s_addc_u32 s1, s17, s1
	s_lshl_b64 s[2:3], s[18:19], 2
	s_load_dwordx2 s[0:1], s[0:1], 0x0
	s_waitcnt lgkmcnt(0)
	s_add_u32 s16, s0, s2
	s_addc_u32 s17, s1, s3
	s_branch .LBB28_3
.LBB28_2:
	s_mov_b64 s[16:17], 0
.LBB28_3:
	v_lshl_add_u32 v0, s6, 5, v0
	v_lshl_add_u32 v4, s7, 5, v1
	v_cmp_gt_u32_e32 vcc_lo, s12, v0
	v_cmp_gt_u32_e64 s0, s13, v4
	s_and_b32 s0, vcc_lo, s0
	s_and_saveexec_b32 s1, s0
	s_cbranch_execz .LBB28_9
; %bb.4:
	s_load_dwordx4 s[0:3], s[4:5], 0x30
	s_lshl_b64 s[6:7], s[8:9], 3
	s_load_dwordx2 s[4:5], s[4:5], 0x40
	v_mov_b32_e32 v1, 0
	s_waitcnt lgkmcnt(0)
	s_add_u32 s0, s0, s6
	s_addc_u32 s1, s1, s7
	s_andn2_b32 vcc_lo, exec_lo, s15
	s_load_dwordx2 s[0:1], s[0:1], 0x0
	s_cbranch_vccnz .LBB28_6
; %bb.5:
	v_mov_b32_e32 v3, 0
	v_mov_b32_e32 v2, v0
	s_cbranch_execz .LBB28_7
	s_branch .LBB28_8
.LBB28_6:
	v_mov_b32_e32 v3, v1
	v_mov_b32_e32 v2, v0
.LBB28_7:
	v_mad_u64_u32 v[5:6], null, s10, v4, 0
	v_lshlrev_b64 v[0:1], 2, v[0:1]
	v_mad_u64_u32 v[6:7], null, s11, v4, v[6:7]
	v_lshlrev_b64 v[5:6], 2, v[5:6]
	v_add_co_u32 v5, vcc_lo, s16, v5
	v_add_co_ci_u32_e64 v6, null, s17, v6, vcc_lo
	v_add_co_u32 v0, vcc_lo, v5, v0
	v_add_co_ci_u32_e64 v1, null, v6, v1, vcc_lo
	flat_load_dword v0, v[0:1]
	s_waitcnt vmcnt(0) lgkmcnt(0)
	v_mul_f32_e32 v1, s14, v0
.LBB28_8:
	v_mad_u64_u32 v[5:6], null, s4, v4, 0
	s_lshl_b64 s[2:3], s[2:3], 2
	v_lshlrev_b64 v[2:3], 2, v[2:3]
	s_waitcnt lgkmcnt(0)
	s_add_u32 s0, s0, s2
	s_addc_u32 s1, s1, s3
	v_mov_b32_e32 v0, v6
	v_mad_u64_u32 v[6:7], null, s5, v4, v[0:1]
	v_lshlrev_b64 v[4:5], 2, v[5:6]
	v_add_co_u32 v0, vcc_lo, s0, v4
	v_add_co_ci_u32_e64 v4, null, s1, v5, vcc_lo
	v_add_co_u32 v2, vcc_lo, v0, v2
	v_add_co_ci_u32_e64 v3, null, v4, v3, vcc_lo
	flat_store_dword v[2:3], v1
.LBB28_9:
	s_endpgm
	.section	.rodata,"a",@progbits
	.p2align	6, 0x0
	.amdhsa_kernel _ZN12_GLOBAL__N_120gemm_ex_scale_kernelILi32ELi32EfPKPKfPKPfEEviiT1_T2_lllT3_llli
		.amdhsa_group_segment_fixed_size 0
		.amdhsa_private_segment_fixed_size 0
		.amdhsa_kernarg_size 84
		.amdhsa_user_sgpr_count 6
		.amdhsa_user_sgpr_private_segment_buffer 1
		.amdhsa_user_sgpr_dispatch_ptr 0
		.amdhsa_user_sgpr_queue_ptr 0
		.amdhsa_user_sgpr_kernarg_segment_ptr 1
		.amdhsa_user_sgpr_dispatch_id 0
		.amdhsa_user_sgpr_flat_scratch_init 0
		.amdhsa_user_sgpr_private_segment_size 0
		.amdhsa_wavefront_size32 1
		.amdhsa_uses_dynamic_stack 0
		.amdhsa_system_sgpr_private_segment_wavefront_offset 0
		.amdhsa_system_sgpr_workgroup_id_x 1
		.amdhsa_system_sgpr_workgroup_id_y 1
		.amdhsa_system_sgpr_workgroup_id_z 1
		.amdhsa_system_sgpr_workgroup_info 0
		.amdhsa_system_vgpr_workitem_id 1
		.amdhsa_next_free_vgpr 8
		.amdhsa_next_free_sgpr 20
		.amdhsa_reserve_vcc 1
		.amdhsa_reserve_flat_scratch 0
		.amdhsa_float_round_mode_32 0
		.amdhsa_float_round_mode_16_64 0
		.amdhsa_float_denorm_mode_32 3
		.amdhsa_float_denorm_mode_16_64 3
		.amdhsa_dx10_clamp 1
		.amdhsa_ieee_mode 1
		.amdhsa_fp16_overflow 0
		.amdhsa_workgroup_processor_mode 1
		.amdhsa_memory_ordered 1
		.amdhsa_forward_progress 1
		.amdhsa_shared_vgpr_count 0
		.amdhsa_exception_fp_ieee_invalid_op 0
		.amdhsa_exception_fp_denorm_src 0
		.amdhsa_exception_fp_ieee_div_zero 0
		.amdhsa_exception_fp_ieee_overflow 0
		.amdhsa_exception_fp_ieee_underflow 0
		.amdhsa_exception_fp_ieee_inexact 0
		.amdhsa_exception_int_div_zero 0
	.end_amdhsa_kernel
	.section	.text._ZN12_GLOBAL__N_120gemm_ex_scale_kernelILi32ELi32EfPKPKfPKPfEEviiT1_T2_lllT3_llli,"axG",@progbits,_ZN12_GLOBAL__N_120gemm_ex_scale_kernelILi32ELi32EfPKPKfPKPfEEviiT1_T2_lllT3_llli,comdat
.Lfunc_end28:
	.size	_ZN12_GLOBAL__N_120gemm_ex_scale_kernelILi32ELi32EfPKPKfPKPfEEviiT1_T2_lllT3_llli, .Lfunc_end28-_ZN12_GLOBAL__N_120gemm_ex_scale_kernelILi32ELi32EfPKPKfPKPfEEviiT1_T2_lllT3_llli
                                        ; -- End function
	.set _ZN12_GLOBAL__N_120gemm_ex_scale_kernelILi32ELi32EfPKPKfPKPfEEviiT1_T2_lllT3_llli.num_vgpr, 8
	.set _ZN12_GLOBAL__N_120gemm_ex_scale_kernelILi32ELi32EfPKPKfPKPfEEviiT1_T2_lllT3_llli.num_agpr, 0
	.set _ZN12_GLOBAL__N_120gemm_ex_scale_kernelILi32ELi32EfPKPKfPKPfEEviiT1_T2_lllT3_llli.numbered_sgpr, 20
	.set _ZN12_GLOBAL__N_120gemm_ex_scale_kernelILi32ELi32EfPKPKfPKPfEEviiT1_T2_lllT3_llli.num_named_barrier, 0
	.set _ZN12_GLOBAL__N_120gemm_ex_scale_kernelILi32ELi32EfPKPKfPKPfEEviiT1_T2_lllT3_llli.private_seg_size, 0
	.set _ZN12_GLOBAL__N_120gemm_ex_scale_kernelILi32ELi32EfPKPKfPKPfEEviiT1_T2_lllT3_llli.uses_vcc, 1
	.set _ZN12_GLOBAL__N_120gemm_ex_scale_kernelILi32ELi32EfPKPKfPKPfEEviiT1_T2_lllT3_llli.uses_flat_scratch, 0
	.set _ZN12_GLOBAL__N_120gemm_ex_scale_kernelILi32ELi32EfPKPKfPKPfEEviiT1_T2_lllT3_llli.has_dyn_sized_stack, 0
	.set _ZN12_GLOBAL__N_120gemm_ex_scale_kernelILi32ELi32EfPKPKfPKPfEEviiT1_T2_lllT3_llli.has_recursion, 0
	.set _ZN12_GLOBAL__N_120gemm_ex_scale_kernelILi32ELi32EfPKPKfPKPfEEviiT1_T2_lllT3_llli.has_indirect_call, 0
	.section	.AMDGPU.csdata,"",@progbits
; Kernel info:
; codeLenInByte = 380
; TotalNumSgprs: 22
; NumVgprs: 8
; ScratchSize: 0
; MemoryBound: 0
; FloatMode: 240
; IeeeMode: 1
; LDSByteSize: 0 bytes/workgroup (compile time only)
; SGPRBlocks: 0
; VGPRBlocks: 0
; NumSGPRsForWavesPerEU: 22
; NumVGPRsForWavesPerEU: 8
; Occupancy: 16
; WaveLimiterHint : 1
; COMPUTE_PGM_RSRC2:SCRATCH_EN: 0
; COMPUTE_PGM_RSRC2:USER_SGPR: 6
; COMPUTE_PGM_RSRC2:TRAP_HANDLER: 0
; COMPUTE_PGM_RSRC2:TGID_X_EN: 1
; COMPUTE_PGM_RSRC2:TGID_Y_EN: 1
; COMPUTE_PGM_RSRC2:TGID_Z_EN: 1
; COMPUTE_PGM_RSRC2:TIDIG_COMP_CNT: 1
	.section	.text._ZN12_GLOBAL__N_127rocblas_gemm_batched_kernelIfLi16ELi16ELi64ELi64ELi4ELi64ELi4ELi4ELi64ELc78ELc78EKPKfS3_KPfEEvlllT_PT11_llS8_llS6_PT12_llPT13_lli,"axG",@progbits,_ZN12_GLOBAL__N_127rocblas_gemm_batched_kernelIfLi16ELi16ELi64ELi64ELi4ELi64ELi4ELi4ELi64ELc78ELc78EKPKfS3_KPfEEvlllT_PT11_llS8_llS6_PT12_llPT13_lli,comdat
	.globl	_ZN12_GLOBAL__N_127rocblas_gemm_batched_kernelIfLi16ELi16ELi64ELi64ELi4ELi64ELi4ELi4ELi64ELc78ELc78EKPKfS3_KPfEEvlllT_PT11_llS8_llS6_PT12_llPT13_lli ; -- Begin function _ZN12_GLOBAL__N_127rocblas_gemm_batched_kernelIfLi16ELi16ELi64ELi64ELi4ELi64ELi4ELi4ELi64ELc78ELc78EKPKfS3_KPfEEvlllT_PT11_llS8_llS6_PT12_llPT13_lli
	.p2align	8
	.type	_ZN12_GLOBAL__N_127rocblas_gemm_batched_kernelIfLi16ELi16ELi64ELi64ELi4ELi64ELi4ELi4ELi64ELc78ELc78EKPKfS3_KPfEEvlllT_PT11_llS8_llS6_PT12_llPT13_lli,@function
_ZN12_GLOBAL__N_127rocblas_gemm_batched_kernelIfLi16ELi16ELi64ELi64ELi4ELi64ELi4ELi4ELi64ELc78ELc78EKPKfS3_KPfEEvlllT_PT11_llS8_llS6_PT12_llPT13_lli: ; @_ZN12_GLOBAL__N_127rocblas_gemm_batched_kernelIfLi16ELi16ELi64ELi64ELi4ELi64ELi4ELi4ELi64ELc78ELc78EKPKfS3_KPfEEvlllT_PT11_llS8_llS6_PT12_llPT13_lli
; %bb.0:
	s_clause 0x1
	s_load_dwordx8 s[12:19], s[4:5], 0x58
	s_load_dwordx2 s[28:29], s[4:5], 0x10
	s_mov_b32 s9, 0
	s_mov_b32 s0, s7
	s_lshl_b64 s[34:35], s[8:9], 3
	s_load_dwordx4 s[8:11], s[4:5], 0x78
	v_mov_b32_e32 v18, 0
	v_mov_b32_e32 v21, 0
	;; [unrolled: 1-line block ×14, first 2 shown]
	s_waitcnt lgkmcnt(0)
	s_add_u32 s2, s12, s34
	s_addc_u32 s3, s13, s35
	s_add_u32 s18, s18, s34
	s_addc_u32 s19, s19, s35
	s_load_dwordx2 s[12:13], s[2:3], 0x0
	s_load_dwordx2 s[18:19], s[18:19], 0x0
	v_cmp_lt_i64_e64 s20, s[28:29], 1
	v_mov_b32_e32 v7, 0
	v_mov_b32_e32 v6, 0
	s_ashr_i32 s7, s6, 31
	s_ashr_i32 s1, s0, 31
	s_lshl_b64 s[6:7], s[6:7], 6
	s_and_b32 vcc_lo, exec_lo, s20
	s_lshl_b64 s[30:31], s[0:1], 6
	s_cbranch_vccnz .LBB29_3
; %bb.1:
	v_lshlrev_b32_e32 v2, 4, v1
	s_clause 0x1
	s_load_dwordx4 s[0:3], s[4:5], 0x40
	s_load_dwordx8 s[20:27], s[4:5], 0x20
	v_and_b32_e32 v4, 3, v0
	v_mov_b32_e32 v6, 0
	v_add_nc_u32_e32 v3, v2, v0
	v_add_nc_u32_e32 v23, 0x400, v2
	v_lshlrev_b32_e32 v22, 2, v0
	v_lshlrev_b32_e32 v9, 2, v4
	v_mov_b32_e32 v14, 0
	v_lshrrev_b32_e32 v5, 2, v3
	v_and_b32_e32 v10, 63, v3
	v_lshrrev_b32_e32 v8, 6, v3
	v_mov_b32_e32 v15, 0
	v_mov_b32_e32 v16, 0
	v_add_co_u32 v4, s33, v5, s30
	v_add_co_ci_u32_e64 v7, null, 0, s31, s33
	v_lshl_or_b32 v13, v5, 4, v9
	v_lshlrev_b32_e32 v11, 2, v10
	s_waitcnt lgkmcnt(0)
	v_mul_lo_u32 v12, s1, v4
	v_mul_lo_u32 v7, s0, v7
	v_mad_u64_u32 v[2:3], null, s0, v4, 0
	s_add_u32 s0, s20, s34
	v_mad_u64_u32 v[4:5], null, s22, v8, s[6:7]
	s_addc_u32 s1, s21, s35
	s_add_u32 s20, s26, s34
	s_addc_u32 s21, s27, s35
	v_add3_u32 v3, v3, v7, v12
	s_load_dwordx2 s[20:21], s[20:21], 0x0
	s_load_dwordx2 s[0:1], s[0:1], 0x0
	v_lshl_or_b32 v24, v8, 8, v11
	v_mad_u64_u32 v[7:8], null, s23, v8, v[5:6]
	v_lshlrev_b64 v[2:3], 2, v[2:3]
	s_lshl_b64 s[2:3], s[2:3], 2
	v_add_nc_u32_e32 v25, 0x400, v13
	v_mov_b32_e32 v11, 0
	v_mov_b32_e32 v12, 0
	;; [unrolled: 1-line block ×3, first 2 shown]
	v_add_co_u32 v5, vcc_lo, v2, s2
	v_add_co_ci_u32_e64 v8, null, s3, v3, vcc_lo
	v_add_co_u32 v2, vcc_lo, v4, v10
	v_add_co_ci_u32_e64 v3, null, 0, v7, vcc_lo
	;; [unrolled: 2-line block ×3, first 2 shown]
	v_lshlrev_b64 v[4:5], 2, v[2:3]
	s_lshl_b64 s[2:3], s[24:25], 2
	s_waitcnt lgkmcnt(0)
	v_add_co_u32 v2, vcc_lo, s20, v7
	s_add_u32 s0, s0, s2
	v_add_co_ci_u32_e64 v3, null, s21, v8, vcc_lo
	s_addc_u32 s1, s1, s3
	v_add_co_u32 v4, vcc_lo, s0, v4
	v_add_co_ci_u32_e64 v5, null, s1, v5, vcc_lo
	v_mov_b32_e32 v7, 0
	v_mov_b32_e32 v8, 0
	;; [unrolled: 1-line block ×9, first 2 shown]
	s_lshl_b64 s[2:3], s[22:23], 4
	s_mov_b64 s[20:21], 0
.LBB29_2:                               ; =>This Inner Loop Header: Depth=1
	flat_load_dword v26, v[4:5]
	s_add_u32 s20, s20, 4
	s_addc_u32 s21, s21, 0
	v_add_co_u32 v4, vcc_lo, v4, s2
	v_cmp_lt_i64_e64 s0, s[20:21], s[28:29]
	v_add_co_ci_u32_e64 v5, null, s3, v5, vcc_lo
	s_and_b32 vcc_lo, exec_lo, s0
	s_waitcnt vmcnt(0) lgkmcnt(0)
	ds_write_b32 v24, v26
	flat_load_dword v26, v[2:3]
	v_add_co_u32 v2, s0, v2, 16
	v_add_co_ci_u32_e64 v3, null, 0, v3, s0
	s_waitcnt vmcnt(0) lgkmcnt(0)
	ds_write_b32 v25, v26
	s_waitcnt lgkmcnt(0)
	s_barrier
	buffer_gl0_inv
	ds_read_b128 v[26:29], v23
	ds_read2_b32 v[42:43], v22 offset1:16
	ds_read2_b32 v[44:45], v22 offset0:32 offset1:48
	ds_read_b128 v[30:33], v23 offset:256
	ds_read_b128 v[34:37], v23 offset:512
	;; [unrolled: 1-line block ×3, first 2 shown]
	ds_read2_b32 v[46:47], v22 offset0:64 offset1:80
	ds_read2_b32 v[48:49], v22 offset0:96 offset1:112
	;; [unrolled: 1-line block ×6, first 2 shown]
	s_waitcnt lgkmcnt(0)
	s_barrier
	buffer_gl0_inv
	v_fmac_f32_e32 v18, v42, v26
	v_fmac_f32_e32 v21, v43, v26
	;; [unrolled: 1-line block ×64, first 2 shown]
	s_cbranch_vccnz .LBB29_2
.LBB29_3:
	s_clause 0x1
	s_load_dword s0, s[4:5], 0x50
	s_load_dword s1, s[4:5], 0x18
	v_add_co_u32 v2, s4, s30, v1
	v_add_co_ci_u32_e64 v5, null, s31, 0, s4
	v_add_co_u32 v0, s4, s6, v0
	v_add_co_ci_u32_e64 v1, null, s7, 0, s4
	v_mul_lo_u32 v3, v5, s8
	v_mul_lo_u32 v4, v2, s9
	s_lshl_b64 s[2:3], s[10:11], 2
	v_lshlrev_b64 v[0:1], 2, v[0:1]
	s_waitcnt lgkmcnt(0)
	s_add_u32 s2, s18, s2
	s_addc_u32 s3, s19, s3
	v_cmp_neq_f32_e64 s4, s0, 0
	s_and_b32 vcc_lo, exec_lo, s4
	s_mov_b32 s4, 0
	s_cbranch_vccnz .LBB29_7
; %bb.4:
	v_mad_u64_u32 v[22:23], null, v2, s8, 0
	s_lshl_b64 s[6:7], s[8:9], 6
	v_mul_f32_e32 v26, s1, v18
	v_mul_f32_e32 v27, s1, v21
	;; [unrolled: 1-line block ×5, first 2 shown]
	v_add3_u32 v23, v23, v4, v3
	v_mul_f32_e32 v31, s1, v16
	v_mul_f32_e32 v32, s1, v15
	;; [unrolled: 1-line block ×3, first 2 shown]
	v_lshlrev_b64 v[22:23], 2, v[22:23]
	v_add_co_u32 v22, vcc_lo, s2, v22
	v_add_co_ci_u32_e64 v23, null, s3, v23, vcc_lo
	v_add_co_u32 v34, vcc_lo, v22, s6
	v_add_co_ci_u32_e64 v35, null, s7, v23, vcc_lo
	;; [unrolled: 2-line block ×4, first 2 shown]
	flat_store_dword v[22:23], v26
	flat_store_dword v[22:23], v27 offset:64
	flat_store_dword v[22:23], v28 offset:128
	flat_store_dword v[22:23], v29 offset:192
	flat_store_dword v[24:25], v30
	flat_store_dword v[24:25], v31 offset:64
	v_add_co_u32 v26, vcc_lo, v34, s6
	v_add_co_ci_u32_e64 v27, null, s7, v35, vcc_lo
	v_mul_f32_e32 v28, s1, v13
	v_add_co_u32 v22, vcc_lo, v26, v0
	v_add_co_ci_u32_e64 v23, null, v27, v1, vcc_lo
	v_mul_f32_e32 v29, s1, v12
	v_mul_f32_e32 v30, s1, v11
	flat_store_dword v[24:25], v32 offset:128
	flat_store_dword v[24:25], v33 offset:192
	flat_store_dword v[22:23], v28
	flat_store_dword v[22:23], v29 offset:64
	flat_store_dword v[22:23], v30 offset:128
	v_add_co_u32 v24, vcc_lo, v26, s6
	v_add_co_ci_u32_e64 v25, null, s7, v27, vcc_lo
	v_mul_f32_e32 v28, s1, v10
	v_add_co_u32 v24, vcc_lo, v24, v0
	v_mul_f32_e32 v26, s1, v9
	v_add_co_ci_u32_e64 v25, null, v25, v1, vcc_lo
	v_mul_f32_e32 v27, s1, v8
	v_mul_f32_e32 v29, s1, v7
	;; [unrolled: 1-line block ×3, first 2 shown]
	flat_store_dword v[22:23], v28 offset:192
	flat_store_dword v[24:25], v26
	flat_store_dword v[24:25], v27 offset:64
	flat_store_dword v[24:25], v29 offset:128
	;; [unrolled: 1-line block ×3, first 2 shown]
	s_andn2_b32 vcc_lo, exec_lo, s4
	s_cbranch_vccnz .LBB29_6
.LBB29_5:
	v_mul_lo_u32 v5, v5, s14
	v_mul_lo_u32 v24, v2, s15
	v_mad_u64_u32 v[22:23], null, v2, s14, 0
	s_lshl_b64 s[4:5], s[16:17], 2
	s_add_u32 s4, s12, s4
	s_addc_u32 s5, s13, s5
	v_add3_u32 v23, v23, v24, v5
	v_mad_u64_u32 v[24:25], null, v2, s8, 0
	v_lshlrev_b64 v[22:23], 2, v[22:23]
	v_add3_u32 v25, v25, v4, v3
	v_add_co_u32 v5, vcc_lo, s4, v22
	v_add_co_ci_u32_e64 v26, null, s5, v23, vcc_lo
	v_lshlrev_b64 v[2:3], 2, v[24:25]
	v_add_co_u32 v22, vcc_lo, v5, v0
	v_add_co_ci_u32_e64 v23, null, v26, v1, vcc_lo
	s_lshl_b64 s[4:5], s[8:9], 6
	v_add_co_u32 v24, vcc_lo, s2, v2
	flat_load_dword v27, v[22:23]
	v_add_co_ci_u32_e64 v25, null, s3, v3, vcc_lo
	v_add_co_u32 v2, vcc_lo, v24, v0
	s_lshl_b64 s[2:3], s[14:15], 6
	v_add_co_ci_u32_e64 v3, null, v25, v1, vcc_lo
	s_waitcnt vmcnt(0) lgkmcnt(0)
	v_mul_f32_e32 v4, s0, v27
	v_fmac_f32_e32 v4, s1, v18
	flat_store_dword v[2:3], v4
	flat_load_dword v4, v[22:23] offset:64
	s_waitcnt vmcnt(0) lgkmcnt(0)
	v_mul_f32_e32 v4, s0, v4
	v_fmac_f32_e32 v4, s1, v21
	flat_store_dword v[2:3], v4 offset:64
	flat_load_dword v4, v[22:23] offset:128
	s_waitcnt vmcnt(0) lgkmcnt(0)
	v_mul_f32_e32 v4, s0, v4
	v_fmac_f32_e32 v4, s1, v20
	v_add_co_u32 v20, vcc_lo, v5, s2
	v_add_co_ci_u32_e64 v21, null, s3, v26, vcc_lo
	flat_store_dword v[2:3], v4 offset:128
	flat_load_dword v4, v[22:23] offset:192
	s_waitcnt vmcnt(0) lgkmcnt(0)
	v_mul_f32_e32 v18, s0, v4
	v_add_co_u32 v4, vcc_lo, v20, v0
	v_add_co_ci_u32_e64 v5, null, v21, v1, vcc_lo
	v_fmac_f32_e32 v18, s1, v19
	flat_store_dword v[2:3], v18 offset:192
	flat_load_dword v2, v[4:5]
	v_add_co_u32 v18, vcc_lo, v24, s4
	v_add_co_ci_u32_e64 v19, null, s5, v25, vcc_lo
	s_waitcnt vmcnt(0) lgkmcnt(0)
	v_mul_f32_e32 v22, s0, v2
	v_add_co_u32 v2, vcc_lo, v18, v0
	v_add_co_ci_u32_e64 v3, null, v19, v1, vcc_lo
	v_fmac_f32_e32 v22, s1, v17
	flat_store_dword v[2:3], v22
	flat_load_dword v17, v[4:5] offset:64
	s_waitcnt vmcnt(0) lgkmcnt(0)
	v_mul_f32_e32 v17, s0, v17
	v_fmac_f32_e32 v17, s1, v16
	flat_store_dword v[2:3], v17 offset:64
	flat_load_dword v16, v[4:5] offset:128
	s_waitcnt vmcnt(0) lgkmcnt(0)
	v_mul_f32_e32 v16, s0, v16
	v_fmac_f32_e32 v16, s1, v15
	flat_store_dword v[2:3], v16 offset:128
	flat_load_dword v4, v[4:5] offset:192
	v_add_co_u32 v16, vcc_lo, v20, s2
	v_add_co_ci_u32_e64 v17, null, s3, v21, vcc_lo
	s_waitcnt vmcnt(0) lgkmcnt(0)
	v_mul_f32_e32 v15, s0, v4
	v_add_co_u32 v4, vcc_lo, v16, v0
	v_add_co_ci_u32_e64 v5, null, v17, v1, vcc_lo
	v_fmac_f32_e32 v15, s1, v14
	v_add_co_u32 v14, vcc_lo, v18, s4
	flat_store_dword v[2:3], v15 offset:192
	flat_load_dword v2, v[4:5]
	v_add_co_ci_u32_e64 v15, null, s5, v19, vcc_lo
	s_waitcnt vmcnt(0) lgkmcnt(0)
	v_mul_f32_e32 v18, s0, v2
	v_add_co_u32 v2, vcc_lo, v14, v0
	v_add_co_ci_u32_e64 v3, null, v15, v1, vcc_lo
	v_fmac_f32_e32 v18, s1, v13
	flat_store_dword v[2:3], v18
	flat_load_dword v13, v[4:5] offset:64
	s_waitcnt vmcnt(0) lgkmcnt(0)
	v_mul_f32_e32 v13, s0, v13
	v_fmac_f32_e32 v13, s1, v12
	flat_store_dword v[2:3], v13 offset:64
	flat_load_dword v12, v[4:5] offset:128
	s_waitcnt vmcnt(0) lgkmcnt(0)
	v_mul_f32_e32 v12, s0, v12
	v_fmac_f32_e32 v12, s1, v11
	flat_store_dword v[2:3], v12 offset:128
	flat_load_dword v4, v[4:5] offset:192
	s_waitcnt vmcnt(0) lgkmcnt(0)
	v_mul_f32_e32 v11, s0, v4
	v_add_co_u32 v4, vcc_lo, v16, s2
	v_add_co_ci_u32_e64 v5, null, s3, v17, vcc_lo
	v_fmac_f32_e32 v11, s1, v10
	v_add_co_u32 v4, vcc_lo, v4, v0
	v_add_co_ci_u32_e64 v5, null, v5, v1, vcc_lo
	flat_store_dword v[2:3], v11 offset:192
	v_add_co_u32 v3, vcc_lo, v14, s4
	flat_load_dword v2, v[4:5]
	v_add_co_ci_u32_e64 v10, null, s5, v15, vcc_lo
	v_add_co_u32 v0, vcc_lo, v3, v0
	v_add_co_ci_u32_e64 v1, null, v10, v1, vcc_lo
	s_waitcnt vmcnt(0) lgkmcnt(0)
	v_mul_f32_e32 v2, s0, v2
	v_fmac_f32_e32 v2, s1, v9
	flat_store_dword v[0:1], v2
	flat_load_dword v2, v[4:5] offset:64
	s_waitcnt vmcnt(0) lgkmcnt(0)
	v_mul_f32_e32 v2, s0, v2
	v_fmac_f32_e32 v2, s1, v8
	flat_store_dword v[0:1], v2 offset:64
	flat_load_dword v2, v[4:5] offset:128
	s_waitcnt vmcnt(0) lgkmcnt(0)
	v_mul_f32_e32 v2, s0, v2
	v_fmac_f32_e32 v2, s1, v7
	flat_store_dword v[0:1], v2 offset:128
	;; [unrolled: 5-line block ×3, first 2 shown]
.LBB29_6:
	s_endpgm
.LBB29_7:
	s_branch .LBB29_5
	.section	.rodata,"a",@progbits
	.p2align	6, 0x0
	.amdhsa_kernel _ZN12_GLOBAL__N_127rocblas_gemm_batched_kernelIfLi16ELi16ELi64ELi64ELi4ELi64ELi4ELi4ELi64ELc78ELc78EKPKfS3_KPfEEvlllT_PT11_llS8_llS6_PT12_llPT13_lli
		.amdhsa_group_segment_fixed_size 2048
		.amdhsa_private_segment_fixed_size 0
		.amdhsa_kernarg_size 140
		.amdhsa_user_sgpr_count 6
		.amdhsa_user_sgpr_private_segment_buffer 1
		.amdhsa_user_sgpr_dispatch_ptr 0
		.amdhsa_user_sgpr_queue_ptr 0
		.amdhsa_user_sgpr_kernarg_segment_ptr 1
		.amdhsa_user_sgpr_dispatch_id 0
		.amdhsa_user_sgpr_flat_scratch_init 0
		.amdhsa_user_sgpr_private_segment_size 0
		.amdhsa_wavefront_size32 1
		.amdhsa_uses_dynamic_stack 0
		.amdhsa_system_sgpr_private_segment_wavefront_offset 0
		.amdhsa_system_sgpr_workgroup_id_x 1
		.amdhsa_system_sgpr_workgroup_id_y 1
		.amdhsa_system_sgpr_workgroup_id_z 1
		.amdhsa_system_sgpr_workgroup_info 0
		.amdhsa_system_vgpr_workitem_id 1
		.amdhsa_next_free_vgpr 58
		.amdhsa_next_free_sgpr 36
		.amdhsa_reserve_vcc 1
		.amdhsa_reserve_flat_scratch 0
		.amdhsa_float_round_mode_32 0
		.amdhsa_float_round_mode_16_64 0
		.amdhsa_float_denorm_mode_32 3
		.amdhsa_float_denorm_mode_16_64 3
		.amdhsa_dx10_clamp 1
		.amdhsa_ieee_mode 1
		.amdhsa_fp16_overflow 0
		.amdhsa_workgroup_processor_mode 1
		.amdhsa_memory_ordered 1
		.amdhsa_forward_progress 1
		.amdhsa_shared_vgpr_count 0
		.amdhsa_exception_fp_ieee_invalid_op 0
		.amdhsa_exception_fp_denorm_src 0
		.amdhsa_exception_fp_ieee_div_zero 0
		.amdhsa_exception_fp_ieee_overflow 0
		.amdhsa_exception_fp_ieee_underflow 0
		.amdhsa_exception_fp_ieee_inexact 0
		.amdhsa_exception_int_div_zero 0
	.end_amdhsa_kernel
	.section	.text._ZN12_GLOBAL__N_127rocblas_gemm_batched_kernelIfLi16ELi16ELi64ELi64ELi4ELi64ELi4ELi4ELi64ELc78ELc78EKPKfS3_KPfEEvlllT_PT11_llS8_llS6_PT12_llPT13_lli,"axG",@progbits,_ZN12_GLOBAL__N_127rocblas_gemm_batched_kernelIfLi16ELi16ELi64ELi64ELi4ELi64ELi4ELi4ELi64ELc78ELc78EKPKfS3_KPfEEvlllT_PT11_llS8_llS6_PT12_llPT13_lli,comdat
.Lfunc_end29:
	.size	_ZN12_GLOBAL__N_127rocblas_gemm_batched_kernelIfLi16ELi16ELi64ELi64ELi4ELi64ELi4ELi4ELi64ELc78ELc78EKPKfS3_KPfEEvlllT_PT11_llS8_llS6_PT12_llPT13_lli, .Lfunc_end29-_ZN12_GLOBAL__N_127rocblas_gemm_batched_kernelIfLi16ELi16ELi64ELi64ELi4ELi64ELi4ELi4ELi64ELc78ELc78EKPKfS3_KPfEEvlllT_PT11_llS8_llS6_PT12_llPT13_lli
                                        ; -- End function
	.set _ZN12_GLOBAL__N_127rocblas_gemm_batched_kernelIfLi16ELi16ELi64ELi64ELi4ELi64ELi4ELi4ELi64ELc78ELc78EKPKfS3_KPfEEvlllT_PT11_llS8_llS6_PT12_llPT13_lli.num_vgpr, 58
	.set _ZN12_GLOBAL__N_127rocblas_gemm_batched_kernelIfLi16ELi16ELi64ELi64ELi4ELi64ELi4ELi4ELi64ELc78ELc78EKPKfS3_KPfEEvlllT_PT11_llS8_llS6_PT12_llPT13_lli.num_agpr, 0
	.set _ZN12_GLOBAL__N_127rocblas_gemm_batched_kernelIfLi16ELi16ELi64ELi64ELi4ELi64ELi4ELi4ELi64ELc78ELc78EKPKfS3_KPfEEvlllT_PT11_llS8_llS6_PT12_llPT13_lli.numbered_sgpr, 36
	.set _ZN12_GLOBAL__N_127rocblas_gemm_batched_kernelIfLi16ELi16ELi64ELi64ELi4ELi64ELi4ELi4ELi64ELc78ELc78EKPKfS3_KPfEEvlllT_PT11_llS8_llS6_PT12_llPT13_lli.num_named_barrier, 0
	.set _ZN12_GLOBAL__N_127rocblas_gemm_batched_kernelIfLi16ELi16ELi64ELi64ELi4ELi64ELi4ELi4ELi64ELc78ELc78EKPKfS3_KPfEEvlllT_PT11_llS8_llS6_PT12_llPT13_lli.private_seg_size, 0
	.set _ZN12_GLOBAL__N_127rocblas_gemm_batched_kernelIfLi16ELi16ELi64ELi64ELi4ELi64ELi4ELi4ELi64ELc78ELc78EKPKfS3_KPfEEvlllT_PT11_llS8_llS6_PT12_llPT13_lli.uses_vcc, 1
	.set _ZN12_GLOBAL__N_127rocblas_gemm_batched_kernelIfLi16ELi16ELi64ELi64ELi4ELi64ELi4ELi4ELi64ELc78ELc78EKPKfS3_KPfEEvlllT_PT11_llS8_llS6_PT12_llPT13_lli.uses_flat_scratch, 0
	.set _ZN12_GLOBAL__N_127rocblas_gemm_batched_kernelIfLi16ELi16ELi64ELi64ELi4ELi64ELi4ELi4ELi64ELc78ELc78EKPKfS3_KPfEEvlllT_PT11_llS8_llS6_PT12_llPT13_lli.has_dyn_sized_stack, 0
	.set _ZN12_GLOBAL__N_127rocblas_gemm_batched_kernelIfLi16ELi16ELi64ELi64ELi4ELi64ELi4ELi4ELi64ELc78ELc78EKPKfS3_KPfEEvlllT_PT11_llS8_llS6_PT12_llPT13_lli.has_recursion, 0
	.set _ZN12_GLOBAL__N_127rocblas_gemm_batched_kernelIfLi16ELi16ELi64ELi64ELi4ELi64ELi4ELi4ELi64ELc78ELc78EKPKfS3_KPfEEvlllT_PT11_llS8_llS6_PT12_llPT13_lli.has_indirect_call, 0
	.section	.AMDGPU.csdata,"",@progbits
; Kernel info:
; codeLenInByte = 2292
; TotalNumSgprs: 38
; NumVgprs: 58
; ScratchSize: 0
; MemoryBound: 0
; FloatMode: 240
; IeeeMode: 1
; LDSByteSize: 2048 bytes/workgroup (compile time only)
; SGPRBlocks: 0
; VGPRBlocks: 7
; NumSGPRsForWavesPerEU: 38
; NumVGPRsForWavesPerEU: 58
; Occupancy: 16
; WaveLimiterHint : 1
; COMPUTE_PGM_RSRC2:SCRATCH_EN: 0
; COMPUTE_PGM_RSRC2:USER_SGPR: 6
; COMPUTE_PGM_RSRC2:TRAP_HANDLER: 0
; COMPUTE_PGM_RSRC2:TGID_X_EN: 1
; COMPUTE_PGM_RSRC2:TGID_Y_EN: 1
; COMPUTE_PGM_RSRC2:TGID_Z_EN: 1
; COMPUTE_PGM_RSRC2:TIDIG_COMP_CNT: 1
	.section	.text._ZN12_GLOBAL__N_127rocblas_gemm_batched_kernelIfLi16ELi16ELi64ELi64ELi4ELi64ELi4ELi4ELi64ELc84ELc78EKPKfS3_KPfEEvlllT_PT11_llS8_llS6_PT12_llPT13_lli,"axG",@progbits,_ZN12_GLOBAL__N_127rocblas_gemm_batched_kernelIfLi16ELi16ELi64ELi64ELi4ELi64ELi4ELi4ELi64ELc84ELc78EKPKfS3_KPfEEvlllT_PT11_llS8_llS6_PT12_llPT13_lli,comdat
	.globl	_ZN12_GLOBAL__N_127rocblas_gemm_batched_kernelIfLi16ELi16ELi64ELi64ELi4ELi64ELi4ELi4ELi64ELc84ELc78EKPKfS3_KPfEEvlllT_PT11_llS8_llS6_PT12_llPT13_lli ; -- Begin function _ZN12_GLOBAL__N_127rocblas_gemm_batched_kernelIfLi16ELi16ELi64ELi64ELi4ELi64ELi4ELi4ELi64ELc84ELc78EKPKfS3_KPfEEvlllT_PT11_llS8_llS6_PT12_llPT13_lli
	.p2align	8
	.type	_ZN12_GLOBAL__N_127rocblas_gemm_batched_kernelIfLi16ELi16ELi64ELi64ELi4ELi64ELi4ELi4ELi64ELc84ELc78EKPKfS3_KPfEEvlllT_PT11_llS8_llS6_PT12_llPT13_lli,@function
_ZN12_GLOBAL__N_127rocblas_gemm_batched_kernelIfLi16ELi16ELi64ELi64ELi4ELi64ELi4ELi4ELi64ELc84ELc78EKPKfS3_KPfEEvlllT_PT11_llS8_llS6_PT12_llPT13_lli: ; @_ZN12_GLOBAL__N_127rocblas_gemm_batched_kernelIfLi16ELi16ELi64ELi64ELi4ELi64ELi4ELi4ELi64ELc84ELc78EKPKfS3_KPfEEvlllT_PT11_llS8_llS6_PT12_llPT13_lli
; %bb.0:
	s_clause 0x1
	s_load_dwordx8 s[12:19], s[4:5], 0x58
	s_load_dwordx2 s[28:29], s[4:5], 0x10
	s_mov_b32 s9, 0
	s_mov_b32 s0, s7
	s_lshl_b64 s[34:35], s[8:9], 3
	s_load_dwordx4 s[8:11], s[4:5], 0x78
	v_mov_b32_e32 v18, 0
	v_mov_b32_e32 v21, 0
	;; [unrolled: 1-line block ×14, first 2 shown]
	s_waitcnt lgkmcnt(0)
	s_add_u32 s2, s12, s34
	s_addc_u32 s3, s13, s35
	s_add_u32 s18, s18, s34
	s_addc_u32 s19, s19, s35
	s_load_dwordx2 s[12:13], s[2:3], 0x0
	s_load_dwordx2 s[18:19], s[18:19], 0x0
	v_cmp_lt_i64_e64 s20, s[28:29], 1
	v_mov_b32_e32 v7, 0
	v_mov_b32_e32 v6, 0
	s_ashr_i32 s7, s6, 31
	s_ashr_i32 s1, s0, 31
	s_lshl_b64 s[6:7], s[6:7], 6
	s_and_b32 vcc_lo, exec_lo, s20
	s_lshl_b64 s[30:31], s[0:1], 6
	s_cbranch_vccnz .LBB30_3
; %bb.1:
	v_lshlrev_b32_e32 v7, 4, v1
	s_clause 0x1
	s_load_dwordx8 s[20:27], s[4:5], 0x20
	s_load_dwordx4 s[0:3], s[4:5], 0x40
	v_and_b32_e32 v3, 3, v0
	v_lshlrev_b32_e32 v24, 2, v0
	v_mov_b32_e32 v16, 0
	v_add_nc_u32_e32 v2, v7, v0
	v_add_nc_u32_e32 v25, 0x400, v7
	v_lshlrev_b32_e32 v8, 2, v3
	v_mov_b32_e32 v17, 0
	v_mov_b32_e32 v19, 0
	v_lshrrev_b32_e32 v6, 2, v2
	v_and_b32_e32 v9, 63, v2
	v_lshrrev_b32_e32 v10, 6, v2
	v_mov_b32_e32 v20, 0
	v_mov_b32_e32 v21, 0
	v_add_co_u32 v2, s33, v6, s30
	v_add_co_ci_u32_e64 v3, null, 0, s31, s33
	v_add_co_u32 v4, s33, s6, v9
	v_add_co_ci_u32_e64 v5, null, s7, 0, s33
	s_waitcnt lgkmcnt(0)
	v_mul_lo_u32 v11, s1, v2
	v_mul_lo_u32 v12, s0, v3
	v_mad_u64_u32 v[2:3], null, s0, v2, 0
	v_mul_lo_u32 v13, s23, v4
	v_mul_lo_u32 v14, s22, v5
	v_mad_u64_u32 v[4:5], null, s22, v4, 0
	s_add_u32 s20, s20, s34
	s_addc_u32 s21, s21, s35
	s_add_u32 s26, s26, s34
	v_add3_u32 v3, v3, v12, v11
	s_addc_u32 s27, s27, s35
	s_load_dwordx2 s[20:21], s[20:21], 0x0
	s_load_dwordx2 s[0:1], s[26:27], 0x0
	v_add3_u32 v5, v5, v14, v13
	v_lshlrev_b64 v[2:3], 2, v[2:3]
	s_lshl_b64 s[2:3], s[2:3], 2
	v_lshlrev_b32_e32 v7, 2, v10
	v_lshlrev_b32_e32 v9, 2, v9
	v_lshlrev_b64 v[4:5], 2, v[4:5]
	v_lshl_or_b32 v15, v6, 4, v8
	v_add_co_u32 v2, vcc_lo, v2, s2
	v_add_co_ci_u32_e64 v3, null, s3, v3, vcc_lo
	s_lshl_b64 s[2:3], s[24:25], 2
	v_mov_b32_e32 v6, 0
	v_add_co_u32 v4, vcc_lo, v4, s2
	v_add_co_ci_u32_e64 v5, null, s3, v5, vcc_lo
	v_add_co_u32 v2, vcc_lo, v2, v8
	v_add_co_ci_u32_e64 v3, null, 0, v3, vcc_lo
	;; [unrolled: 2-line block ×3, first 2 shown]
	s_waitcnt lgkmcnt(0)
	v_add_co_u32 v2, vcc_lo, s0, v2
	v_add_co_ci_u32_e64 v3, null, s1, v3, vcc_lo
	v_add_co_u32 v4, vcc_lo, s20, v4
	v_lshl_or_b32 v22, v10, 8, v9
	v_add_nc_u32_e32 v23, 0x400, v15
	v_add_co_ci_u32_e64 v5, null, s21, v5, vcc_lo
	v_mov_b32_e32 v7, 0
	v_mov_b32_e32 v8, 0
	;; [unrolled: 1-line block ×10, first 2 shown]
	s_mov_b64 s[2:3], 0
.LBB30_2:                               ; =>This Inner Loop Header: Depth=1
	flat_load_dword v26, v[4:5]
	s_add_u32 s2, s2, 4
	s_addc_u32 s3, s3, 0
	v_add_co_u32 v4, vcc_lo, v4, 16
	v_cmp_lt_i64_e64 s0, s[2:3], s[28:29]
	v_add_co_ci_u32_e64 v5, null, 0, v5, vcc_lo
	s_and_b32 vcc_lo, exec_lo, s0
	s_waitcnt vmcnt(0) lgkmcnt(0)
	ds_write_b32 v22, v26
	flat_load_dword v26, v[2:3]
	v_add_co_u32 v2, s0, v2, 16
	v_add_co_ci_u32_e64 v3, null, 0, v3, s0
	s_waitcnt vmcnt(0) lgkmcnt(0)
	ds_write_b32 v23, v26
	s_waitcnt lgkmcnt(0)
	s_barrier
	buffer_gl0_inv
	ds_read_b128 v[26:29], v25
	ds_read2_b32 v[42:43], v24 offset1:16
	ds_read2_b32 v[44:45], v24 offset0:32 offset1:48
	ds_read_b128 v[30:33], v25 offset:256
	ds_read_b128 v[34:37], v25 offset:512
	;; [unrolled: 1-line block ×3, first 2 shown]
	ds_read2_b32 v[46:47], v24 offset0:64 offset1:80
	ds_read2_b32 v[48:49], v24 offset0:96 offset1:112
	;; [unrolled: 1-line block ×6, first 2 shown]
	s_waitcnt lgkmcnt(0)
	s_barrier
	buffer_gl0_inv
	v_fmac_f32_e32 v18, v42, v26
	v_fmac_f32_e32 v21, v43, v26
	;; [unrolled: 1-line block ×64, first 2 shown]
	s_cbranch_vccnz .LBB30_2
.LBB30_3:
	s_clause 0x1
	s_load_dword s0, s[4:5], 0x50
	s_load_dword s1, s[4:5], 0x18
	v_add_co_u32 v2, s4, s30, v1
	v_add_co_ci_u32_e64 v5, null, s31, 0, s4
	v_add_co_u32 v0, s4, s6, v0
	v_add_co_ci_u32_e64 v1, null, s7, 0, s4
	v_mul_lo_u32 v3, v5, s8
	v_mul_lo_u32 v4, v2, s9
	s_lshl_b64 s[2:3], s[10:11], 2
	v_lshlrev_b64 v[0:1], 2, v[0:1]
	s_waitcnt lgkmcnt(0)
	s_add_u32 s2, s18, s2
	s_addc_u32 s3, s19, s3
	v_cmp_neq_f32_e64 s4, s0, 0
	s_and_b32 vcc_lo, exec_lo, s4
	s_mov_b32 s4, 0
	s_cbranch_vccnz .LBB30_7
; %bb.4:
	v_mad_u64_u32 v[22:23], null, v2, s8, 0
	s_lshl_b64 s[6:7], s[8:9], 6
	v_mul_f32_e32 v26, s1, v18
	v_mul_f32_e32 v27, s1, v21
	;; [unrolled: 1-line block ×5, first 2 shown]
	v_add3_u32 v23, v23, v4, v3
	v_mul_f32_e32 v31, s1, v16
	v_mul_f32_e32 v32, s1, v15
	v_mul_f32_e32 v33, s1, v14
	v_lshlrev_b64 v[22:23], 2, v[22:23]
	v_add_co_u32 v22, vcc_lo, s2, v22
	v_add_co_ci_u32_e64 v23, null, s3, v23, vcc_lo
	v_add_co_u32 v34, vcc_lo, v22, s6
	v_add_co_ci_u32_e64 v35, null, s7, v23, vcc_lo
	;; [unrolled: 2-line block ×4, first 2 shown]
	flat_store_dword v[22:23], v26
	flat_store_dword v[22:23], v27 offset:64
	flat_store_dword v[22:23], v28 offset:128
	;; [unrolled: 1-line block ×3, first 2 shown]
	flat_store_dword v[24:25], v30
	flat_store_dword v[24:25], v31 offset:64
	v_add_co_u32 v26, vcc_lo, v34, s6
	v_add_co_ci_u32_e64 v27, null, s7, v35, vcc_lo
	v_mul_f32_e32 v28, s1, v13
	v_add_co_u32 v22, vcc_lo, v26, v0
	v_add_co_ci_u32_e64 v23, null, v27, v1, vcc_lo
	v_mul_f32_e32 v29, s1, v12
	v_mul_f32_e32 v30, s1, v11
	flat_store_dword v[24:25], v32 offset:128
	flat_store_dword v[24:25], v33 offset:192
	flat_store_dword v[22:23], v28
	flat_store_dword v[22:23], v29 offset:64
	flat_store_dword v[22:23], v30 offset:128
	v_add_co_u32 v24, vcc_lo, v26, s6
	v_add_co_ci_u32_e64 v25, null, s7, v27, vcc_lo
	v_mul_f32_e32 v28, s1, v10
	v_add_co_u32 v24, vcc_lo, v24, v0
	v_mul_f32_e32 v26, s1, v9
	v_add_co_ci_u32_e64 v25, null, v25, v1, vcc_lo
	v_mul_f32_e32 v27, s1, v8
	v_mul_f32_e32 v29, s1, v7
	;; [unrolled: 1-line block ×3, first 2 shown]
	flat_store_dword v[22:23], v28 offset:192
	flat_store_dword v[24:25], v26
	flat_store_dword v[24:25], v27 offset:64
	flat_store_dword v[24:25], v29 offset:128
	;; [unrolled: 1-line block ×3, first 2 shown]
	s_andn2_b32 vcc_lo, exec_lo, s4
	s_cbranch_vccnz .LBB30_6
.LBB30_5:
	v_mul_lo_u32 v5, v5, s14
	v_mul_lo_u32 v24, v2, s15
	v_mad_u64_u32 v[22:23], null, v2, s14, 0
	s_lshl_b64 s[4:5], s[16:17], 2
	s_add_u32 s4, s12, s4
	s_addc_u32 s5, s13, s5
	v_add3_u32 v23, v23, v24, v5
	v_mad_u64_u32 v[24:25], null, v2, s8, 0
	v_lshlrev_b64 v[22:23], 2, v[22:23]
	v_add3_u32 v25, v25, v4, v3
	v_add_co_u32 v5, vcc_lo, s4, v22
	v_add_co_ci_u32_e64 v26, null, s5, v23, vcc_lo
	v_lshlrev_b64 v[2:3], 2, v[24:25]
	v_add_co_u32 v22, vcc_lo, v5, v0
	v_add_co_ci_u32_e64 v23, null, v26, v1, vcc_lo
	s_lshl_b64 s[4:5], s[8:9], 6
	v_add_co_u32 v24, vcc_lo, s2, v2
	flat_load_dword v27, v[22:23]
	v_add_co_ci_u32_e64 v25, null, s3, v3, vcc_lo
	v_add_co_u32 v2, vcc_lo, v24, v0
	s_lshl_b64 s[2:3], s[14:15], 6
	v_add_co_ci_u32_e64 v3, null, v25, v1, vcc_lo
	s_waitcnt vmcnt(0) lgkmcnt(0)
	v_mul_f32_e32 v4, s0, v27
	v_fmac_f32_e32 v4, s1, v18
	flat_store_dword v[2:3], v4
	flat_load_dword v4, v[22:23] offset:64
	s_waitcnt vmcnt(0) lgkmcnt(0)
	v_mul_f32_e32 v4, s0, v4
	v_fmac_f32_e32 v4, s1, v21
	flat_store_dword v[2:3], v4 offset:64
	flat_load_dword v4, v[22:23] offset:128
	s_waitcnt vmcnt(0) lgkmcnt(0)
	v_mul_f32_e32 v4, s0, v4
	v_fmac_f32_e32 v4, s1, v20
	v_add_co_u32 v20, vcc_lo, v5, s2
	v_add_co_ci_u32_e64 v21, null, s3, v26, vcc_lo
	flat_store_dword v[2:3], v4 offset:128
	flat_load_dword v4, v[22:23] offset:192
	s_waitcnt vmcnt(0) lgkmcnt(0)
	v_mul_f32_e32 v18, s0, v4
	v_add_co_u32 v4, vcc_lo, v20, v0
	v_add_co_ci_u32_e64 v5, null, v21, v1, vcc_lo
	v_fmac_f32_e32 v18, s1, v19
	flat_store_dword v[2:3], v18 offset:192
	flat_load_dword v2, v[4:5]
	v_add_co_u32 v18, vcc_lo, v24, s4
	v_add_co_ci_u32_e64 v19, null, s5, v25, vcc_lo
	s_waitcnt vmcnt(0) lgkmcnt(0)
	v_mul_f32_e32 v22, s0, v2
	v_add_co_u32 v2, vcc_lo, v18, v0
	v_add_co_ci_u32_e64 v3, null, v19, v1, vcc_lo
	v_fmac_f32_e32 v22, s1, v17
	flat_store_dword v[2:3], v22
	flat_load_dword v17, v[4:5] offset:64
	s_waitcnt vmcnt(0) lgkmcnt(0)
	v_mul_f32_e32 v17, s0, v17
	v_fmac_f32_e32 v17, s1, v16
	flat_store_dword v[2:3], v17 offset:64
	flat_load_dword v16, v[4:5] offset:128
	s_waitcnt vmcnt(0) lgkmcnt(0)
	v_mul_f32_e32 v16, s0, v16
	v_fmac_f32_e32 v16, s1, v15
	flat_store_dword v[2:3], v16 offset:128
	flat_load_dword v4, v[4:5] offset:192
	v_add_co_u32 v16, vcc_lo, v20, s2
	v_add_co_ci_u32_e64 v17, null, s3, v21, vcc_lo
	s_waitcnt vmcnt(0) lgkmcnt(0)
	v_mul_f32_e32 v15, s0, v4
	v_add_co_u32 v4, vcc_lo, v16, v0
	v_add_co_ci_u32_e64 v5, null, v17, v1, vcc_lo
	v_fmac_f32_e32 v15, s1, v14
	v_add_co_u32 v14, vcc_lo, v18, s4
	flat_store_dword v[2:3], v15 offset:192
	flat_load_dword v2, v[4:5]
	v_add_co_ci_u32_e64 v15, null, s5, v19, vcc_lo
	s_waitcnt vmcnt(0) lgkmcnt(0)
	v_mul_f32_e32 v18, s0, v2
	v_add_co_u32 v2, vcc_lo, v14, v0
	v_add_co_ci_u32_e64 v3, null, v15, v1, vcc_lo
	v_fmac_f32_e32 v18, s1, v13
	flat_store_dword v[2:3], v18
	flat_load_dword v13, v[4:5] offset:64
	s_waitcnt vmcnt(0) lgkmcnt(0)
	v_mul_f32_e32 v13, s0, v13
	v_fmac_f32_e32 v13, s1, v12
	flat_store_dword v[2:3], v13 offset:64
	flat_load_dword v12, v[4:5] offset:128
	s_waitcnt vmcnt(0) lgkmcnt(0)
	v_mul_f32_e32 v12, s0, v12
	v_fmac_f32_e32 v12, s1, v11
	flat_store_dword v[2:3], v12 offset:128
	flat_load_dword v4, v[4:5] offset:192
	s_waitcnt vmcnt(0) lgkmcnt(0)
	v_mul_f32_e32 v11, s0, v4
	v_add_co_u32 v4, vcc_lo, v16, s2
	v_add_co_ci_u32_e64 v5, null, s3, v17, vcc_lo
	v_fmac_f32_e32 v11, s1, v10
	v_add_co_u32 v4, vcc_lo, v4, v0
	v_add_co_ci_u32_e64 v5, null, v5, v1, vcc_lo
	flat_store_dword v[2:3], v11 offset:192
	v_add_co_u32 v3, vcc_lo, v14, s4
	flat_load_dword v2, v[4:5]
	v_add_co_ci_u32_e64 v10, null, s5, v15, vcc_lo
	v_add_co_u32 v0, vcc_lo, v3, v0
	v_add_co_ci_u32_e64 v1, null, v10, v1, vcc_lo
	s_waitcnt vmcnt(0) lgkmcnt(0)
	v_mul_f32_e32 v2, s0, v2
	v_fmac_f32_e32 v2, s1, v9
	flat_store_dword v[0:1], v2
	flat_load_dword v2, v[4:5] offset:64
	s_waitcnt vmcnt(0) lgkmcnt(0)
	v_mul_f32_e32 v2, s0, v2
	v_fmac_f32_e32 v2, s1, v8
	flat_store_dword v[0:1], v2 offset:64
	flat_load_dword v2, v[4:5] offset:128
	s_waitcnt vmcnt(0) lgkmcnt(0)
	v_mul_f32_e32 v2, s0, v2
	v_fmac_f32_e32 v2, s1, v7
	flat_store_dword v[0:1], v2 offset:128
	;; [unrolled: 5-line block ×3, first 2 shown]
.LBB30_6:
	s_endpgm
.LBB30_7:
	s_branch .LBB30_5
	.section	.rodata,"a",@progbits
	.p2align	6, 0x0
	.amdhsa_kernel _ZN12_GLOBAL__N_127rocblas_gemm_batched_kernelIfLi16ELi16ELi64ELi64ELi4ELi64ELi4ELi4ELi64ELc84ELc78EKPKfS3_KPfEEvlllT_PT11_llS8_llS6_PT12_llPT13_lli
		.amdhsa_group_segment_fixed_size 2048
		.amdhsa_private_segment_fixed_size 0
		.amdhsa_kernarg_size 140
		.amdhsa_user_sgpr_count 6
		.amdhsa_user_sgpr_private_segment_buffer 1
		.amdhsa_user_sgpr_dispatch_ptr 0
		.amdhsa_user_sgpr_queue_ptr 0
		.amdhsa_user_sgpr_kernarg_segment_ptr 1
		.amdhsa_user_sgpr_dispatch_id 0
		.amdhsa_user_sgpr_flat_scratch_init 0
		.amdhsa_user_sgpr_private_segment_size 0
		.amdhsa_wavefront_size32 1
		.amdhsa_uses_dynamic_stack 0
		.amdhsa_system_sgpr_private_segment_wavefront_offset 0
		.amdhsa_system_sgpr_workgroup_id_x 1
		.amdhsa_system_sgpr_workgroup_id_y 1
		.amdhsa_system_sgpr_workgroup_id_z 1
		.amdhsa_system_sgpr_workgroup_info 0
		.amdhsa_system_vgpr_workitem_id 1
		.amdhsa_next_free_vgpr 58
		.amdhsa_next_free_sgpr 36
		.amdhsa_reserve_vcc 1
		.amdhsa_reserve_flat_scratch 0
		.amdhsa_float_round_mode_32 0
		.amdhsa_float_round_mode_16_64 0
		.amdhsa_float_denorm_mode_32 3
		.amdhsa_float_denorm_mode_16_64 3
		.amdhsa_dx10_clamp 1
		.amdhsa_ieee_mode 1
		.amdhsa_fp16_overflow 0
		.amdhsa_workgroup_processor_mode 1
		.amdhsa_memory_ordered 1
		.amdhsa_forward_progress 1
		.amdhsa_shared_vgpr_count 0
		.amdhsa_exception_fp_ieee_invalid_op 0
		.amdhsa_exception_fp_denorm_src 0
		.amdhsa_exception_fp_ieee_div_zero 0
		.amdhsa_exception_fp_ieee_overflow 0
		.amdhsa_exception_fp_ieee_underflow 0
		.amdhsa_exception_fp_ieee_inexact 0
		.amdhsa_exception_int_div_zero 0
	.end_amdhsa_kernel
	.section	.text._ZN12_GLOBAL__N_127rocblas_gemm_batched_kernelIfLi16ELi16ELi64ELi64ELi4ELi64ELi4ELi4ELi64ELc84ELc78EKPKfS3_KPfEEvlllT_PT11_llS8_llS6_PT12_llPT13_lli,"axG",@progbits,_ZN12_GLOBAL__N_127rocblas_gemm_batched_kernelIfLi16ELi16ELi64ELi64ELi4ELi64ELi4ELi4ELi64ELc84ELc78EKPKfS3_KPfEEvlllT_PT11_llS8_llS6_PT12_llPT13_lli,comdat
.Lfunc_end30:
	.size	_ZN12_GLOBAL__N_127rocblas_gemm_batched_kernelIfLi16ELi16ELi64ELi64ELi4ELi64ELi4ELi4ELi64ELc84ELc78EKPKfS3_KPfEEvlllT_PT11_llS8_llS6_PT12_llPT13_lli, .Lfunc_end30-_ZN12_GLOBAL__N_127rocblas_gemm_batched_kernelIfLi16ELi16ELi64ELi64ELi4ELi64ELi4ELi4ELi64ELc84ELc78EKPKfS3_KPfEEvlllT_PT11_llS8_llS6_PT12_llPT13_lli
                                        ; -- End function
	.set _ZN12_GLOBAL__N_127rocblas_gemm_batched_kernelIfLi16ELi16ELi64ELi64ELi4ELi64ELi4ELi4ELi64ELc84ELc78EKPKfS3_KPfEEvlllT_PT11_llS8_llS6_PT12_llPT13_lli.num_vgpr, 58
	.set _ZN12_GLOBAL__N_127rocblas_gemm_batched_kernelIfLi16ELi16ELi64ELi64ELi4ELi64ELi4ELi4ELi64ELc84ELc78EKPKfS3_KPfEEvlllT_PT11_llS8_llS6_PT12_llPT13_lli.num_agpr, 0
	.set _ZN12_GLOBAL__N_127rocblas_gemm_batched_kernelIfLi16ELi16ELi64ELi64ELi4ELi64ELi4ELi4ELi64ELc84ELc78EKPKfS3_KPfEEvlllT_PT11_llS8_llS6_PT12_llPT13_lli.numbered_sgpr, 36
	.set _ZN12_GLOBAL__N_127rocblas_gemm_batched_kernelIfLi16ELi16ELi64ELi64ELi4ELi64ELi4ELi4ELi64ELc84ELc78EKPKfS3_KPfEEvlllT_PT11_llS8_llS6_PT12_llPT13_lli.num_named_barrier, 0
	.set _ZN12_GLOBAL__N_127rocblas_gemm_batched_kernelIfLi16ELi16ELi64ELi64ELi4ELi64ELi4ELi4ELi64ELc84ELc78EKPKfS3_KPfEEvlllT_PT11_llS8_llS6_PT12_llPT13_lli.private_seg_size, 0
	.set _ZN12_GLOBAL__N_127rocblas_gemm_batched_kernelIfLi16ELi16ELi64ELi64ELi4ELi64ELi4ELi4ELi64ELc84ELc78EKPKfS3_KPfEEvlllT_PT11_llS8_llS6_PT12_llPT13_lli.uses_vcc, 1
	.set _ZN12_GLOBAL__N_127rocblas_gemm_batched_kernelIfLi16ELi16ELi64ELi64ELi4ELi64ELi4ELi4ELi64ELc84ELc78EKPKfS3_KPfEEvlllT_PT11_llS8_llS6_PT12_llPT13_lli.uses_flat_scratch, 0
	.set _ZN12_GLOBAL__N_127rocblas_gemm_batched_kernelIfLi16ELi16ELi64ELi64ELi4ELi64ELi4ELi4ELi64ELc84ELc78EKPKfS3_KPfEEvlllT_PT11_llS8_llS6_PT12_llPT13_lli.has_dyn_sized_stack, 0
	.set _ZN12_GLOBAL__N_127rocblas_gemm_batched_kernelIfLi16ELi16ELi64ELi64ELi4ELi64ELi4ELi4ELi64ELc84ELc78EKPKfS3_KPfEEvlllT_PT11_llS8_llS6_PT12_llPT13_lli.has_recursion, 0
	.set _ZN12_GLOBAL__N_127rocblas_gemm_batched_kernelIfLi16ELi16ELi64ELi64ELi4ELi64ELi4ELi4ELi64ELc84ELc78EKPKfS3_KPfEEvlllT_PT11_llS8_llS6_PT12_llPT13_lli.has_indirect_call, 0
	.section	.AMDGPU.csdata,"",@progbits
; Kernel info:
; codeLenInByte = 2332
; TotalNumSgprs: 38
; NumVgprs: 58
; ScratchSize: 0
; MemoryBound: 0
; FloatMode: 240
; IeeeMode: 1
; LDSByteSize: 2048 bytes/workgroup (compile time only)
; SGPRBlocks: 0
; VGPRBlocks: 7
; NumSGPRsForWavesPerEU: 38
; NumVGPRsForWavesPerEU: 58
; Occupancy: 16
; WaveLimiterHint : 1
; COMPUTE_PGM_RSRC2:SCRATCH_EN: 0
; COMPUTE_PGM_RSRC2:USER_SGPR: 6
; COMPUTE_PGM_RSRC2:TRAP_HANDLER: 0
; COMPUTE_PGM_RSRC2:TGID_X_EN: 1
; COMPUTE_PGM_RSRC2:TGID_Y_EN: 1
; COMPUTE_PGM_RSRC2:TGID_Z_EN: 1
; COMPUTE_PGM_RSRC2:TIDIG_COMP_CNT: 1
	.section	.text._ZN12_GLOBAL__N_127rocblas_gemm_batched_kernelIfLi16ELi16ELi64ELi64ELi4ELi64ELi4ELi4ELi64ELc78ELc84EKPKfS3_KPfEEvlllT_PT11_llS8_llS6_PT12_llPT13_lli,"axG",@progbits,_ZN12_GLOBAL__N_127rocblas_gemm_batched_kernelIfLi16ELi16ELi64ELi64ELi4ELi64ELi4ELi4ELi64ELc78ELc84EKPKfS3_KPfEEvlllT_PT11_llS8_llS6_PT12_llPT13_lli,comdat
	.globl	_ZN12_GLOBAL__N_127rocblas_gemm_batched_kernelIfLi16ELi16ELi64ELi64ELi4ELi64ELi4ELi4ELi64ELc78ELc84EKPKfS3_KPfEEvlllT_PT11_llS8_llS6_PT12_llPT13_lli ; -- Begin function _ZN12_GLOBAL__N_127rocblas_gemm_batched_kernelIfLi16ELi16ELi64ELi64ELi4ELi64ELi4ELi4ELi64ELc78ELc84EKPKfS3_KPfEEvlllT_PT11_llS8_llS6_PT12_llPT13_lli
	.p2align	8
	.type	_ZN12_GLOBAL__N_127rocblas_gemm_batched_kernelIfLi16ELi16ELi64ELi64ELi4ELi64ELi4ELi4ELi64ELc78ELc84EKPKfS3_KPfEEvlllT_PT11_llS8_llS6_PT12_llPT13_lli,@function
_ZN12_GLOBAL__N_127rocblas_gemm_batched_kernelIfLi16ELi16ELi64ELi64ELi4ELi64ELi4ELi4ELi64ELc78ELc84EKPKfS3_KPfEEvlllT_PT11_llS8_llS6_PT12_llPT13_lli: ; @_ZN12_GLOBAL__N_127rocblas_gemm_batched_kernelIfLi16ELi16ELi64ELi64ELi4ELi64ELi4ELi4ELi64ELc78ELc84EKPKfS3_KPfEEvlllT_PT11_llS8_llS6_PT12_llPT13_lli
; %bb.0:
	s_clause 0x1
	s_load_dwordx8 s[12:19], s[4:5], 0x58
	s_load_dwordx2 s[28:29], s[4:5], 0x10
	s_mov_b32 s9, 0
	s_mov_b32 s0, s7
	s_lshl_b64 s[34:35], s[8:9], 3
	s_load_dwordx4 s[8:11], s[4:5], 0x78
	v_mov_b32_e32 v18, 0
	v_mov_b32_e32 v21, 0
	;; [unrolled: 1-line block ×14, first 2 shown]
	s_waitcnt lgkmcnt(0)
	s_add_u32 s2, s12, s34
	s_addc_u32 s3, s13, s35
	s_add_u32 s18, s18, s34
	s_addc_u32 s19, s19, s35
	s_load_dwordx2 s[12:13], s[2:3], 0x0
	s_load_dwordx2 s[18:19], s[18:19], 0x0
	v_cmp_lt_i64_e64 s20, s[28:29], 1
	v_mov_b32_e32 v2, 0
	v_mov_b32_e32 v3, 0
	s_ashr_i32 s7, s6, 31
	s_ashr_i32 s1, s0, 31
	s_lshl_b64 s[6:7], s[6:7], 6
	s_and_b32 vcc_lo, exec_lo, s20
	s_lshl_b64 s[30:31], s[0:1], 6
	s_cbranch_vccnz .LBB31_3
; %bb.1:
	s_clause 0x1
	s_load_dwordx8 s[20:27], s[4:5], 0x20
	s_load_dwordx4 s[0:3], s[4:5], 0x40
	v_lshlrev_b32_e32 v8, 4, v1
	v_and_b32_e32 v9, 3, v0
	v_mov_b32_e32 v3, 0
	v_lshlrev_b32_e32 v22, 2, v0
	v_add_nc_u32_e32 v4, v8, v0
	v_lshlrev_b32_e32 v11, 2, v9
	v_add_nc_u32_e32 v23, 0x400, v8
	v_mov_b32_e32 v14, v3
	v_mov_b32_e32 v15, v3
	v_lshrrev_b32_e32 v2, 2, v4
	v_lshrrev_b32_e32 v12, 6, v4
	v_and_b32_e32 v10, 63, v4
	v_mov_b32_e32 v16, v3
	v_mov_b32_e32 v17, v3
	v_lshl_or_b32 v11, v2, 4, v11
	v_mov_b32_e32 v19, v3
	v_lshlrev_b32_e32 v13, 2, v10
	s_waitcnt lgkmcnt(0)
	v_mad_u64_u32 v[6:7], null, s22, v12, s[6:7]
	v_mad_u64_u32 v[4:5], null, s0, v9, v[2:3]
	s_add_u32 s20, s20, s34
	s_addc_u32 s21, s21, s35
	s_add_u32 s26, s26, s34
	s_addc_u32 s27, s27, s35
	s_load_dwordx2 s[20:21], s[20:21], 0x0
	s_load_dwordx2 s[26:27], s[26:27], 0x0
	v_mov_b32_e32 v2, v5
	v_mov_b32_e32 v5, v7
	v_add_co_u32 v4, vcc_lo, v4, s30
	s_lshl_b64 s[2:3], s[2:3], 2
	v_mad_u64_u32 v[7:8], null, s1, v9, v[2:3]
	v_mad_u64_u32 v[8:9], null, s23, v12, v[5:6]
	v_lshl_or_b32 v24, v12, 8, v13
	v_add_nc_u32_e32 v25, 0x400, v11
	v_mov_b32_e32 v2, v3
	v_mov_b32_e32 v9, v3
	v_add_co_ci_u32_e64 v5, null, s31, v7, vcc_lo
	v_add_co_u32 v6, vcc_lo, v6, v10
	v_add_co_ci_u32_e64 v7, null, 0, v8, vcc_lo
	v_lshlrev_b64 v[4:5], 2, v[4:5]
	s_waitcnt lgkmcnt(0)
	s_add_u32 s26, s26, s2
	s_addc_u32 s27, s27, s3
	v_lshlrev_b64 v[6:7], 2, v[6:7]
	s_lshl_b64 s[2:3], s[0:1], 4
	s_lshl_b64 s[0:1], s[24:25], 2
	v_add_co_u32 v4, vcc_lo, s26, v4
	s_add_u32 s0, s20, s0
	s_addc_u32 s1, s21, s1
	v_add_co_ci_u32_e64 v5, null, s27, v5, vcc_lo
	v_add_co_u32 v6, vcc_lo, s0, v6
	v_add_co_ci_u32_e64 v7, null, s1, v7, vcc_lo
	v_mov_b32_e32 v8, v3
	v_mov_b32_e32 v10, v3
	v_mov_b32_e32 v11, v3
	v_mov_b32_e32 v12, v3
	v_mov_b32_e32 v13, v3
	v_mov_b32_e32 v20, v3
	v_mov_b32_e32 v21, v3
	v_mov_b32_e32 v18, v3
	s_lshl_b64 s[20:21], s[22:23], 4
	s_mov_b64 s[22:23], 0
.LBB31_2:                               ; =>This Inner Loop Header: Depth=1
	flat_load_dword v26, v[6:7]
	s_add_u32 s22, s22, 4
	s_addc_u32 s23, s23, 0
	v_add_co_u32 v6, vcc_lo, v6, s20
	v_cmp_lt_i64_e64 s0, s[22:23], s[28:29]
	v_add_co_ci_u32_e64 v7, null, s21, v7, vcc_lo
	s_and_b32 vcc_lo, exec_lo, s0
	s_waitcnt vmcnt(0) lgkmcnt(0)
	ds_write_b32 v24, v26
	flat_load_dword v26, v[4:5]
	v_add_co_u32 v4, s0, v4, s2
	v_add_co_ci_u32_e64 v5, null, s3, v5, s0
	s_waitcnt vmcnt(0) lgkmcnt(0)
	ds_write_b32 v25, v26
	s_waitcnt lgkmcnt(0)
	s_barrier
	buffer_gl0_inv
	ds_read_b128 v[26:29], v23
	ds_read2_b32 v[42:43], v22 offset1:16
	ds_read2_b32 v[44:45], v22 offset0:32 offset1:48
	ds_read_b128 v[30:33], v23 offset:256
	ds_read_b128 v[34:37], v23 offset:512
	;; [unrolled: 1-line block ×3, first 2 shown]
	ds_read2_b32 v[46:47], v22 offset0:64 offset1:80
	ds_read2_b32 v[48:49], v22 offset0:96 offset1:112
	ds_read2_b32 v[50:51], v22 offset0:128 offset1:144
	ds_read2_b32 v[52:53], v22 offset0:160 offset1:176
	ds_read2_b32 v[54:55], v22 offset0:192 offset1:208
	ds_read2_b32 v[56:57], v22 offset0:224 offset1:240
	s_waitcnt lgkmcnt(0)
	s_barrier
	buffer_gl0_inv
	v_fmac_f32_e32 v18, v42, v26
	v_fmac_f32_e32 v21, v43, v26
	;; [unrolled: 1-line block ×64, first 2 shown]
	s_cbranch_vccnz .LBB31_2
.LBB31_3:
	s_clause 0x1
	s_load_dword s0, s[4:5], 0x50
	s_load_dword s1, s[4:5], 0x18
	v_add_co_u32 v4, s4, s30, v1
	v_add_co_ci_u32_e64 v7, null, s31, 0, s4
	v_add_co_u32 v0, s4, s6, v0
	v_add_co_ci_u32_e64 v1, null, s7, 0, s4
	v_mul_lo_u32 v5, v7, s8
	v_mul_lo_u32 v6, v4, s9
	s_lshl_b64 s[2:3], s[10:11], 2
	v_lshlrev_b64 v[0:1], 2, v[0:1]
	s_waitcnt lgkmcnt(0)
	s_add_u32 s2, s18, s2
	s_addc_u32 s3, s19, s3
	v_cmp_neq_f32_e64 s4, s0, 0
	s_and_b32 vcc_lo, exec_lo, s4
	s_mov_b32 s4, 0
	s_cbranch_vccnz .LBB31_7
; %bb.4:
	v_mad_u64_u32 v[22:23], null, v4, s8, 0
	s_lshl_b64 s[6:7], s[8:9], 6
	v_mul_f32_e32 v26, s1, v18
	v_mul_f32_e32 v27, s1, v21
	;; [unrolled: 1-line block ×5, first 2 shown]
	v_add3_u32 v23, v23, v6, v5
	v_mul_f32_e32 v31, s1, v16
	v_mul_f32_e32 v32, s1, v15
	;; [unrolled: 1-line block ×3, first 2 shown]
	v_lshlrev_b64 v[22:23], 2, v[22:23]
	v_add_co_u32 v22, vcc_lo, s2, v22
	v_add_co_ci_u32_e64 v23, null, s3, v23, vcc_lo
	v_add_co_u32 v34, vcc_lo, v22, s6
	v_add_co_ci_u32_e64 v35, null, s7, v23, vcc_lo
	;; [unrolled: 2-line block ×4, first 2 shown]
	flat_store_dword v[22:23], v26
	flat_store_dword v[22:23], v27 offset:64
	flat_store_dword v[22:23], v28 offset:128
	;; [unrolled: 1-line block ×3, first 2 shown]
	flat_store_dword v[24:25], v30
	flat_store_dword v[24:25], v31 offset:64
	v_add_co_u32 v26, vcc_lo, v34, s6
	v_add_co_ci_u32_e64 v27, null, s7, v35, vcc_lo
	v_mul_f32_e32 v28, s1, v13
	v_add_co_u32 v22, vcc_lo, v26, v0
	v_add_co_ci_u32_e64 v23, null, v27, v1, vcc_lo
	v_mul_f32_e32 v29, s1, v12
	v_mul_f32_e32 v30, s1, v11
	flat_store_dword v[24:25], v32 offset:128
	flat_store_dword v[24:25], v33 offset:192
	flat_store_dword v[22:23], v28
	flat_store_dword v[22:23], v29 offset:64
	flat_store_dword v[22:23], v30 offset:128
	v_add_co_u32 v24, vcc_lo, v26, s6
	v_add_co_ci_u32_e64 v25, null, s7, v27, vcc_lo
	v_mul_f32_e32 v28, s1, v10
	v_add_co_u32 v24, vcc_lo, v24, v0
	v_mul_f32_e32 v26, s1, v9
	v_add_co_ci_u32_e64 v25, null, v25, v1, vcc_lo
	v_mul_f32_e32 v27, s1, v8
	v_mul_f32_e32 v29, s1, v2
	;; [unrolled: 1-line block ×3, first 2 shown]
	flat_store_dword v[22:23], v28 offset:192
	flat_store_dword v[24:25], v26
	flat_store_dword v[24:25], v27 offset:64
	flat_store_dword v[24:25], v29 offset:128
	;; [unrolled: 1-line block ×3, first 2 shown]
	s_andn2_b32 vcc_lo, exec_lo, s4
	s_cbranch_vccnz .LBB31_6
.LBB31_5:
	v_mul_lo_u32 v7, v7, s14
	v_mul_lo_u32 v24, v4, s15
	v_mad_u64_u32 v[22:23], null, v4, s14, 0
	s_lshl_b64 s[4:5], s[16:17], 2
	s_add_u32 s4, s12, s4
	s_addc_u32 s5, s13, s5
	v_add3_u32 v23, v23, v24, v7
	v_mad_u64_u32 v[24:25], null, v4, s8, 0
	v_lshlrev_b64 v[22:23], 2, v[22:23]
	v_add3_u32 v25, v25, v6, v5
	v_add_co_u32 v7, vcc_lo, s4, v22
	v_add_co_ci_u32_e64 v26, null, s5, v23, vcc_lo
	v_lshlrev_b64 v[4:5], 2, v[24:25]
	v_add_co_u32 v22, vcc_lo, v7, v0
	v_add_co_ci_u32_e64 v23, null, v26, v1, vcc_lo
	s_lshl_b64 s[4:5], s[8:9], 6
	v_add_co_u32 v24, vcc_lo, s2, v4
	flat_load_dword v27, v[22:23]
	v_add_co_ci_u32_e64 v25, null, s3, v5, vcc_lo
	v_add_co_u32 v4, vcc_lo, v24, v0
	s_lshl_b64 s[2:3], s[14:15], 6
	v_add_co_ci_u32_e64 v5, null, v25, v1, vcc_lo
	s_waitcnt vmcnt(0) lgkmcnt(0)
	v_mul_f32_e32 v6, s0, v27
	v_fmac_f32_e32 v6, s1, v18
	flat_store_dword v[4:5], v6
	flat_load_dword v6, v[22:23] offset:64
	s_waitcnt vmcnt(0) lgkmcnt(0)
	v_mul_f32_e32 v6, s0, v6
	v_fmac_f32_e32 v6, s1, v21
	flat_store_dword v[4:5], v6 offset:64
	flat_load_dword v6, v[22:23] offset:128
	s_waitcnt vmcnt(0) lgkmcnt(0)
	v_mul_f32_e32 v6, s0, v6
	v_fmac_f32_e32 v6, s1, v20
	v_add_co_u32 v20, vcc_lo, v7, s2
	v_add_co_ci_u32_e64 v21, null, s3, v26, vcc_lo
	flat_store_dword v[4:5], v6 offset:128
	flat_load_dword v6, v[22:23] offset:192
	s_waitcnt vmcnt(0) lgkmcnt(0)
	v_mul_f32_e32 v18, s0, v6
	v_add_co_u32 v6, vcc_lo, v20, v0
	v_add_co_ci_u32_e64 v7, null, v21, v1, vcc_lo
	v_fmac_f32_e32 v18, s1, v19
	flat_store_dword v[4:5], v18 offset:192
	flat_load_dword v4, v[6:7]
	v_add_co_u32 v18, vcc_lo, v24, s4
	v_add_co_ci_u32_e64 v19, null, s5, v25, vcc_lo
	s_waitcnt vmcnt(0) lgkmcnt(0)
	v_mul_f32_e32 v22, s0, v4
	v_add_co_u32 v4, vcc_lo, v18, v0
	v_add_co_ci_u32_e64 v5, null, v19, v1, vcc_lo
	v_fmac_f32_e32 v22, s1, v17
	flat_store_dword v[4:5], v22
	flat_load_dword v17, v[6:7] offset:64
	s_waitcnt vmcnt(0) lgkmcnt(0)
	v_mul_f32_e32 v17, s0, v17
	v_fmac_f32_e32 v17, s1, v16
	flat_store_dword v[4:5], v17 offset:64
	flat_load_dword v16, v[6:7] offset:128
	s_waitcnt vmcnt(0) lgkmcnt(0)
	v_mul_f32_e32 v16, s0, v16
	v_fmac_f32_e32 v16, s1, v15
	flat_store_dword v[4:5], v16 offset:128
	flat_load_dword v6, v[6:7] offset:192
	v_add_co_u32 v16, vcc_lo, v20, s2
	v_add_co_ci_u32_e64 v17, null, s3, v21, vcc_lo
	s_waitcnt vmcnt(0) lgkmcnt(0)
	v_mul_f32_e32 v15, s0, v6
	v_add_co_u32 v6, vcc_lo, v16, v0
	v_add_co_ci_u32_e64 v7, null, v17, v1, vcc_lo
	v_fmac_f32_e32 v15, s1, v14
	v_add_co_u32 v14, vcc_lo, v18, s4
	flat_store_dword v[4:5], v15 offset:192
	flat_load_dword v4, v[6:7]
	v_add_co_ci_u32_e64 v15, null, s5, v19, vcc_lo
	s_waitcnt vmcnt(0) lgkmcnt(0)
	v_mul_f32_e32 v18, s0, v4
	v_add_co_u32 v4, vcc_lo, v14, v0
	v_add_co_ci_u32_e64 v5, null, v15, v1, vcc_lo
	v_fmac_f32_e32 v18, s1, v13
	flat_store_dword v[4:5], v18
	flat_load_dword v13, v[6:7] offset:64
	s_waitcnt vmcnt(0) lgkmcnt(0)
	v_mul_f32_e32 v13, s0, v13
	v_fmac_f32_e32 v13, s1, v12
	flat_store_dword v[4:5], v13 offset:64
	flat_load_dword v12, v[6:7] offset:128
	s_waitcnt vmcnt(0) lgkmcnt(0)
	v_mul_f32_e32 v12, s0, v12
	v_fmac_f32_e32 v12, s1, v11
	flat_store_dword v[4:5], v12 offset:128
	flat_load_dword v6, v[6:7] offset:192
	s_waitcnt vmcnt(0) lgkmcnt(0)
	v_mul_f32_e32 v11, s0, v6
	v_add_co_u32 v6, vcc_lo, v16, s2
	v_add_co_ci_u32_e64 v7, null, s3, v17, vcc_lo
	v_fmac_f32_e32 v11, s1, v10
	v_add_co_u32 v6, vcc_lo, v6, v0
	v_add_co_ci_u32_e64 v7, null, v7, v1, vcc_lo
	flat_store_dword v[4:5], v11 offset:192
	v_add_co_u32 v5, vcc_lo, v14, s4
	flat_load_dword v4, v[6:7]
	v_add_co_ci_u32_e64 v10, null, s5, v15, vcc_lo
	v_add_co_u32 v0, vcc_lo, v5, v0
	v_add_co_ci_u32_e64 v1, null, v10, v1, vcc_lo
	s_waitcnt vmcnt(0) lgkmcnt(0)
	v_mul_f32_e32 v4, s0, v4
	v_fmac_f32_e32 v4, s1, v9
	flat_store_dword v[0:1], v4
	flat_load_dword v4, v[6:7] offset:64
	s_waitcnt vmcnt(0) lgkmcnt(0)
	v_mul_f32_e32 v4, s0, v4
	v_fmac_f32_e32 v4, s1, v8
	flat_store_dword v[0:1], v4 offset:64
	flat_load_dword v4, v[6:7] offset:128
	s_waitcnt vmcnt(0) lgkmcnt(0)
	v_mul_f32_e32 v4, s0, v4
	v_fmac_f32_e32 v4, s1, v2
	flat_store_dword v[0:1], v4 offset:128
	;; [unrolled: 5-line block ×3, first 2 shown]
.LBB31_6:
	s_endpgm
.LBB31_7:
	s_branch .LBB31_5
	.section	.rodata,"a",@progbits
	.p2align	6, 0x0
	.amdhsa_kernel _ZN12_GLOBAL__N_127rocblas_gemm_batched_kernelIfLi16ELi16ELi64ELi64ELi4ELi64ELi4ELi4ELi64ELc78ELc84EKPKfS3_KPfEEvlllT_PT11_llS8_llS6_PT12_llPT13_lli
		.amdhsa_group_segment_fixed_size 2048
		.amdhsa_private_segment_fixed_size 0
		.amdhsa_kernarg_size 140
		.amdhsa_user_sgpr_count 6
		.amdhsa_user_sgpr_private_segment_buffer 1
		.amdhsa_user_sgpr_dispatch_ptr 0
		.amdhsa_user_sgpr_queue_ptr 0
		.amdhsa_user_sgpr_kernarg_segment_ptr 1
		.amdhsa_user_sgpr_dispatch_id 0
		.amdhsa_user_sgpr_flat_scratch_init 0
		.amdhsa_user_sgpr_private_segment_size 0
		.amdhsa_wavefront_size32 1
		.amdhsa_uses_dynamic_stack 0
		.amdhsa_system_sgpr_private_segment_wavefront_offset 0
		.amdhsa_system_sgpr_workgroup_id_x 1
		.amdhsa_system_sgpr_workgroup_id_y 1
		.amdhsa_system_sgpr_workgroup_id_z 1
		.amdhsa_system_sgpr_workgroup_info 0
		.amdhsa_system_vgpr_workitem_id 1
		.amdhsa_next_free_vgpr 58
		.amdhsa_next_free_sgpr 36
		.amdhsa_reserve_vcc 1
		.amdhsa_reserve_flat_scratch 0
		.amdhsa_float_round_mode_32 0
		.amdhsa_float_round_mode_16_64 0
		.amdhsa_float_denorm_mode_32 3
		.amdhsa_float_denorm_mode_16_64 3
		.amdhsa_dx10_clamp 1
		.amdhsa_ieee_mode 1
		.amdhsa_fp16_overflow 0
		.amdhsa_workgroup_processor_mode 1
		.amdhsa_memory_ordered 1
		.amdhsa_forward_progress 1
		.amdhsa_shared_vgpr_count 0
		.amdhsa_exception_fp_ieee_invalid_op 0
		.amdhsa_exception_fp_denorm_src 0
		.amdhsa_exception_fp_ieee_div_zero 0
		.amdhsa_exception_fp_ieee_overflow 0
		.amdhsa_exception_fp_ieee_underflow 0
		.amdhsa_exception_fp_ieee_inexact 0
		.amdhsa_exception_int_div_zero 0
	.end_amdhsa_kernel
	.section	.text._ZN12_GLOBAL__N_127rocblas_gemm_batched_kernelIfLi16ELi16ELi64ELi64ELi4ELi64ELi4ELi4ELi64ELc78ELc84EKPKfS3_KPfEEvlllT_PT11_llS8_llS6_PT12_llPT13_lli,"axG",@progbits,_ZN12_GLOBAL__N_127rocblas_gemm_batched_kernelIfLi16ELi16ELi64ELi64ELi4ELi64ELi4ELi4ELi64ELc78ELc84EKPKfS3_KPfEEvlllT_PT11_llS8_llS6_PT12_llPT13_lli,comdat
.Lfunc_end31:
	.size	_ZN12_GLOBAL__N_127rocblas_gemm_batched_kernelIfLi16ELi16ELi64ELi64ELi4ELi64ELi4ELi4ELi64ELc78ELc84EKPKfS3_KPfEEvlllT_PT11_llS8_llS6_PT12_llPT13_lli, .Lfunc_end31-_ZN12_GLOBAL__N_127rocblas_gemm_batched_kernelIfLi16ELi16ELi64ELi64ELi4ELi64ELi4ELi4ELi64ELc78ELc84EKPKfS3_KPfEEvlllT_PT11_llS8_llS6_PT12_llPT13_lli
                                        ; -- End function
	.set _ZN12_GLOBAL__N_127rocblas_gemm_batched_kernelIfLi16ELi16ELi64ELi64ELi4ELi64ELi4ELi4ELi64ELc78ELc84EKPKfS3_KPfEEvlllT_PT11_llS8_llS6_PT12_llPT13_lli.num_vgpr, 58
	.set _ZN12_GLOBAL__N_127rocblas_gemm_batched_kernelIfLi16ELi16ELi64ELi64ELi4ELi64ELi4ELi4ELi64ELc78ELc84EKPKfS3_KPfEEvlllT_PT11_llS8_llS6_PT12_llPT13_lli.num_agpr, 0
	.set _ZN12_GLOBAL__N_127rocblas_gemm_batched_kernelIfLi16ELi16ELi64ELi64ELi4ELi64ELi4ELi4ELi64ELc78ELc84EKPKfS3_KPfEEvlllT_PT11_llS8_llS6_PT12_llPT13_lli.numbered_sgpr, 36
	.set _ZN12_GLOBAL__N_127rocblas_gemm_batched_kernelIfLi16ELi16ELi64ELi64ELi4ELi64ELi4ELi4ELi64ELc78ELc84EKPKfS3_KPfEEvlllT_PT11_llS8_llS6_PT12_llPT13_lli.num_named_barrier, 0
	.set _ZN12_GLOBAL__N_127rocblas_gemm_batched_kernelIfLi16ELi16ELi64ELi64ELi4ELi64ELi4ELi4ELi64ELc78ELc84EKPKfS3_KPfEEvlllT_PT11_llS8_llS6_PT12_llPT13_lli.private_seg_size, 0
	.set _ZN12_GLOBAL__N_127rocblas_gemm_batched_kernelIfLi16ELi16ELi64ELi64ELi4ELi64ELi4ELi4ELi64ELc78ELc84EKPKfS3_KPfEEvlllT_PT11_llS8_llS6_PT12_llPT13_lli.uses_vcc, 1
	.set _ZN12_GLOBAL__N_127rocblas_gemm_batched_kernelIfLi16ELi16ELi64ELi64ELi4ELi64ELi4ELi4ELi64ELc78ELc84EKPKfS3_KPfEEvlllT_PT11_llS8_llS6_PT12_llPT13_lli.uses_flat_scratch, 0
	.set _ZN12_GLOBAL__N_127rocblas_gemm_batched_kernelIfLi16ELi16ELi64ELi64ELi4ELi64ELi4ELi4ELi64ELc78ELc84EKPKfS3_KPfEEvlllT_PT11_llS8_llS6_PT12_llPT13_lli.has_dyn_sized_stack, 0
	.set _ZN12_GLOBAL__N_127rocblas_gemm_batched_kernelIfLi16ELi16ELi64ELi64ELi4ELi64ELi4ELi4ELi64ELc78ELc84EKPKfS3_KPfEEvlllT_PT11_llS8_llS6_PT12_llPT13_lli.has_recursion, 0
	.set _ZN12_GLOBAL__N_127rocblas_gemm_batched_kernelIfLi16ELi16ELi64ELi64ELi4ELi64ELi4ELi4ELi64ELc78ELc84EKPKfS3_KPfEEvlllT_PT11_llS8_llS6_PT12_llPT13_lli.has_indirect_call, 0
	.section	.AMDGPU.csdata,"",@progbits
; Kernel info:
; codeLenInByte = 2264
; TotalNumSgprs: 38
; NumVgprs: 58
; ScratchSize: 0
; MemoryBound: 0
; FloatMode: 240
; IeeeMode: 1
; LDSByteSize: 2048 bytes/workgroup (compile time only)
; SGPRBlocks: 0
; VGPRBlocks: 7
; NumSGPRsForWavesPerEU: 38
; NumVGPRsForWavesPerEU: 58
; Occupancy: 16
; WaveLimiterHint : 1
; COMPUTE_PGM_RSRC2:SCRATCH_EN: 0
; COMPUTE_PGM_RSRC2:USER_SGPR: 6
; COMPUTE_PGM_RSRC2:TRAP_HANDLER: 0
; COMPUTE_PGM_RSRC2:TGID_X_EN: 1
; COMPUTE_PGM_RSRC2:TGID_Y_EN: 1
; COMPUTE_PGM_RSRC2:TGID_Z_EN: 1
; COMPUTE_PGM_RSRC2:TIDIG_COMP_CNT: 1
	.section	.text._ZN12_GLOBAL__N_127rocblas_gemm_batched_kernelIfLi16ELi16ELi64ELi64ELi4ELi64ELi4ELi4ELi64ELc84ELc84EKPKfS3_KPfEEvlllT_PT11_llS8_llS6_PT12_llPT13_lli,"axG",@progbits,_ZN12_GLOBAL__N_127rocblas_gemm_batched_kernelIfLi16ELi16ELi64ELi64ELi4ELi64ELi4ELi4ELi64ELc84ELc84EKPKfS3_KPfEEvlllT_PT11_llS8_llS6_PT12_llPT13_lli,comdat
	.globl	_ZN12_GLOBAL__N_127rocblas_gemm_batched_kernelIfLi16ELi16ELi64ELi64ELi4ELi64ELi4ELi4ELi64ELc84ELc84EKPKfS3_KPfEEvlllT_PT11_llS8_llS6_PT12_llPT13_lli ; -- Begin function _ZN12_GLOBAL__N_127rocblas_gemm_batched_kernelIfLi16ELi16ELi64ELi64ELi4ELi64ELi4ELi4ELi64ELc84ELc84EKPKfS3_KPfEEvlllT_PT11_llS8_llS6_PT12_llPT13_lli
	.p2align	8
	.type	_ZN12_GLOBAL__N_127rocblas_gemm_batched_kernelIfLi16ELi16ELi64ELi64ELi4ELi64ELi4ELi4ELi64ELc84ELc84EKPKfS3_KPfEEvlllT_PT11_llS8_llS6_PT12_llPT13_lli,@function
_ZN12_GLOBAL__N_127rocblas_gemm_batched_kernelIfLi16ELi16ELi64ELi64ELi4ELi64ELi4ELi4ELi64ELc84ELc84EKPKfS3_KPfEEvlllT_PT11_llS8_llS6_PT12_llPT13_lli: ; @_ZN12_GLOBAL__N_127rocblas_gemm_batched_kernelIfLi16ELi16ELi64ELi64ELi4ELi64ELi4ELi4ELi64ELc84ELc84EKPKfS3_KPfEEvlllT_PT11_llS8_llS6_PT12_llPT13_lli
; %bb.0:
	s_clause 0x1
	s_load_dwordx8 s[12:19], s[4:5], 0x58
	s_load_dwordx2 s[28:29], s[4:5], 0x10
	s_mov_b32 s9, 0
	s_mov_b32 s0, s7
	s_lshl_b64 s[34:35], s[8:9], 3
	s_load_dwordx4 s[8:11], s[4:5], 0x78
	v_mov_b32_e32 v18, 0
	v_mov_b32_e32 v21, 0
	;; [unrolled: 1-line block ×14, first 2 shown]
	s_waitcnt lgkmcnt(0)
	s_add_u32 s2, s12, s34
	s_addc_u32 s3, s13, s35
	s_add_u32 s18, s18, s34
	s_addc_u32 s19, s19, s35
	s_load_dwordx2 s[12:13], s[2:3], 0x0
	s_load_dwordx2 s[18:19], s[18:19], 0x0
	v_cmp_lt_i64_e64 s20, s[28:29], 1
	v_mov_b32_e32 v2, 0
	v_mov_b32_e32 v3, 0
	s_ashr_i32 s7, s6, 31
	s_ashr_i32 s1, s0, 31
	s_lshl_b64 s[6:7], s[6:7], 6
	s_and_b32 vcc_lo, exec_lo, s20
	s_lshl_b64 s[30:31], s[0:1], 6
	s_cbranch_vccnz .LBB32_3
; %bb.1:
	s_clause 0x1
	s_load_dwordx8 s[20:27], s[4:5], 0x20
	s_load_dwordx4 s[0:3], s[4:5], 0x40
	v_lshlrev_b32_e32 v8, 4, v1
	v_and_b32_e32 v10, 3, v0
	v_mov_b32_e32 v3, 0
	v_lshlrev_b32_e32 v22, 2, v0
	v_add_nc_u32_e32 v9, v8, v0
	v_lshlrev_b32_e32 v12, 2, v10
	v_add_nc_u32_e32 v23, 0x400, v8
	v_mov_b32_e32 v16, v3
	v_mov_b32_e32 v17, v3
	v_and_b32_e32 v11, 63, v9
	v_lshrrev_b32_e32 v2, 2, v9
	v_lshrrev_b32_e32 v9, 6, v9
	v_mov_b32_e32 v19, v3
	v_mov_b32_e32 v20, v3
	v_add_co_u32 v6, s33, s6, v11
	v_add_co_ci_u32_e64 v7, null, s7, 0, s33
	s_waitcnt lgkmcnt(0)
	s_add_u32 s20, s20, s34
	s_addc_u32 s21, s21, s35
	s_add_u32 s26, s26, s34
	s_addc_u32 s27, s27, s35
	v_mad_u64_u32 v[4:5], null, s0, v10, v[2:3]
	s_load_dwordx2 s[26:27], s[26:27], 0x0
	v_mul_lo_u32 v13, s23, v6
	v_mul_lo_u32 v14, s22, v7
	v_mad_u64_u32 v[6:7], null, s22, v6, 0
	v_lshlrev_b32_e32 v11, 2, v11
	v_lshl_or_b32 v12, v2, 4, v12
	v_mov_b32_e32 v2, v5
	v_lshlrev_b32_e32 v15, 2, v9
	s_load_dwordx2 s[20:21], s[20:21], 0x0
	v_lshl_or_b32 v24, v9, 8, v11
	v_add3_u32 v7, v7, v14, v13
	v_mad_u64_u32 v[8:9], null, s1, v10, v[2:3]
	s_lshl_b64 s[2:3], s[2:3], 2
	v_add_nc_u32_e32 v25, 0x400, v12
	v_lshlrev_b64 v[5:6], 2, v[6:7]
	v_add_co_u32 v7, vcc_lo, v4, s30
	v_mov_b32_e32 v9, v3
	v_add_co_ci_u32_e64 v8, null, s31, v8, vcc_lo
	s_waitcnt lgkmcnt(0)
	s_add_u32 s22, s26, s2
	s_addc_u32 s23, s27, s3
	s_lshl_b64 s[2:3], s[24:25], 2
	v_mov_b32_e32 v10, v3
	v_add_co_u32 v2, vcc_lo, v5, s2
	v_add_co_ci_u32_e64 v6, null, s3, v6, vcc_lo
	v_lshlrev_b64 v[4:5], 2, v[7:8]
	v_add_co_u32 v2, vcc_lo, v2, v15
	v_add_co_ci_u32_e64 v7, null, 0, v6, vcc_lo
	v_mov_b32_e32 v8, v3
	v_add_co_u32 v4, vcc_lo, s22, v4
	v_add_co_ci_u32_e64 v5, null, s23, v5, vcc_lo
	v_add_co_u32 v6, vcc_lo, s20, v2
	v_add_co_ci_u32_e64 v7, null, s21, v7, vcc_lo
	v_mov_b32_e32 v2, v3
	v_mov_b32_e32 v11, v3
	;; [unrolled: 1-line block ×8, first 2 shown]
	s_lshl_b64 s[2:3], s[0:1], 4
	s_mov_b64 s[20:21], 0
.LBB32_2:                               ; =>This Inner Loop Header: Depth=1
	flat_load_dword v26, v[6:7]
	s_add_u32 s20, s20, 4
	s_addc_u32 s21, s21, 0
	v_add_co_u32 v6, vcc_lo, v6, 16
	v_cmp_lt_i64_e64 s0, s[20:21], s[28:29]
	v_add_co_ci_u32_e64 v7, null, 0, v7, vcc_lo
	s_and_b32 vcc_lo, exec_lo, s0
	s_waitcnt vmcnt(0) lgkmcnt(0)
	ds_write_b32 v24, v26
	flat_load_dword v26, v[4:5]
	v_add_co_u32 v4, s0, v4, s2
	v_add_co_ci_u32_e64 v5, null, s3, v5, s0
	s_waitcnt vmcnt(0) lgkmcnt(0)
	ds_write_b32 v25, v26
	s_waitcnt lgkmcnt(0)
	s_barrier
	buffer_gl0_inv
	ds_read_b128 v[26:29], v23
	ds_read2_b32 v[42:43], v22 offset1:16
	ds_read2_b32 v[44:45], v22 offset0:32 offset1:48
	ds_read_b128 v[30:33], v23 offset:256
	ds_read_b128 v[34:37], v23 offset:512
	;; [unrolled: 1-line block ×3, first 2 shown]
	ds_read2_b32 v[46:47], v22 offset0:64 offset1:80
	ds_read2_b32 v[48:49], v22 offset0:96 offset1:112
	;; [unrolled: 1-line block ×6, first 2 shown]
	s_waitcnt lgkmcnt(0)
	s_barrier
	buffer_gl0_inv
	v_fmac_f32_e32 v18, v42, v26
	v_fmac_f32_e32 v21, v43, v26
	;; [unrolled: 1-line block ×64, first 2 shown]
	s_cbranch_vccnz .LBB32_2
.LBB32_3:
	s_clause 0x1
	s_load_dword s0, s[4:5], 0x50
	s_load_dword s1, s[4:5], 0x18
	v_add_co_u32 v4, s4, s30, v1
	v_add_co_ci_u32_e64 v7, null, s31, 0, s4
	v_add_co_u32 v0, s4, s6, v0
	v_add_co_ci_u32_e64 v1, null, s7, 0, s4
	v_mul_lo_u32 v5, v7, s8
	v_mul_lo_u32 v6, v4, s9
	s_lshl_b64 s[2:3], s[10:11], 2
	v_lshlrev_b64 v[0:1], 2, v[0:1]
	s_waitcnt lgkmcnt(0)
	s_add_u32 s2, s18, s2
	s_addc_u32 s3, s19, s3
	v_cmp_neq_f32_e64 s4, s0, 0
	s_and_b32 vcc_lo, exec_lo, s4
	s_mov_b32 s4, 0
	s_cbranch_vccnz .LBB32_7
; %bb.4:
	v_mad_u64_u32 v[22:23], null, v4, s8, 0
	s_lshl_b64 s[6:7], s[8:9], 6
	v_mul_f32_e32 v26, s1, v18
	v_mul_f32_e32 v27, s1, v21
	;; [unrolled: 1-line block ×5, first 2 shown]
	v_add3_u32 v23, v23, v6, v5
	v_mul_f32_e32 v31, s1, v16
	v_mul_f32_e32 v32, s1, v15
	;; [unrolled: 1-line block ×3, first 2 shown]
	v_lshlrev_b64 v[22:23], 2, v[22:23]
	v_add_co_u32 v22, vcc_lo, s2, v22
	v_add_co_ci_u32_e64 v23, null, s3, v23, vcc_lo
	v_add_co_u32 v34, vcc_lo, v22, s6
	v_add_co_ci_u32_e64 v35, null, s7, v23, vcc_lo
	;; [unrolled: 2-line block ×4, first 2 shown]
	flat_store_dword v[22:23], v26
	flat_store_dword v[22:23], v27 offset:64
	flat_store_dword v[22:23], v28 offset:128
	;; [unrolled: 1-line block ×3, first 2 shown]
	flat_store_dword v[24:25], v30
	flat_store_dword v[24:25], v31 offset:64
	v_add_co_u32 v26, vcc_lo, v34, s6
	v_add_co_ci_u32_e64 v27, null, s7, v35, vcc_lo
	v_mul_f32_e32 v28, s1, v13
	v_add_co_u32 v22, vcc_lo, v26, v0
	v_add_co_ci_u32_e64 v23, null, v27, v1, vcc_lo
	v_mul_f32_e32 v29, s1, v12
	v_mul_f32_e32 v30, s1, v11
	flat_store_dword v[24:25], v32 offset:128
	flat_store_dword v[24:25], v33 offset:192
	flat_store_dword v[22:23], v28
	flat_store_dword v[22:23], v29 offset:64
	flat_store_dword v[22:23], v30 offset:128
	v_add_co_u32 v24, vcc_lo, v26, s6
	v_add_co_ci_u32_e64 v25, null, s7, v27, vcc_lo
	v_mul_f32_e32 v28, s1, v10
	v_add_co_u32 v24, vcc_lo, v24, v0
	v_mul_f32_e32 v26, s1, v9
	v_add_co_ci_u32_e64 v25, null, v25, v1, vcc_lo
	v_mul_f32_e32 v27, s1, v8
	v_mul_f32_e32 v29, s1, v2
	;; [unrolled: 1-line block ×3, first 2 shown]
	flat_store_dword v[22:23], v28 offset:192
	flat_store_dword v[24:25], v26
	flat_store_dword v[24:25], v27 offset:64
	flat_store_dword v[24:25], v29 offset:128
	;; [unrolled: 1-line block ×3, first 2 shown]
	s_andn2_b32 vcc_lo, exec_lo, s4
	s_cbranch_vccnz .LBB32_6
.LBB32_5:
	v_mul_lo_u32 v7, v7, s14
	v_mul_lo_u32 v24, v4, s15
	v_mad_u64_u32 v[22:23], null, v4, s14, 0
	s_lshl_b64 s[4:5], s[16:17], 2
	s_add_u32 s4, s12, s4
	s_addc_u32 s5, s13, s5
	v_add3_u32 v23, v23, v24, v7
	v_mad_u64_u32 v[24:25], null, v4, s8, 0
	v_lshlrev_b64 v[22:23], 2, v[22:23]
	v_add3_u32 v25, v25, v6, v5
	v_add_co_u32 v7, vcc_lo, s4, v22
	v_add_co_ci_u32_e64 v26, null, s5, v23, vcc_lo
	v_lshlrev_b64 v[4:5], 2, v[24:25]
	v_add_co_u32 v22, vcc_lo, v7, v0
	v_add_co_ci_u32_e64 v23, null, v26, v1, vcc_lo
	s_lshl_b64 s[4:5], s[8:9], 6
	v_add_co_u32 v24, vcc_lo, s2, v4
	flat_load_dword v27, v[22:23]
	v_add_co_ci_u32_e64 v25, null, s3, v5, vcc_lo
	v_add_co_u32 v4, vcc_lo, v24, v0
	s_lshl_b64 s[2:3], s[14:15], 6
	v_add_co_ci_u32_e64 v5, null, v25, v1, vcc_lo
	s_waitcnt vmcnt(0) lgkmcnt(0)
	v_mul_f32_e32 v6, s0, v27
	v_fmac_f32_e32 v6, s1, v18
	flat_store_dword v[4:5], v6
	flat_load_dword v6, v[22:23] offset:64
	s_waitcnt vmcnt(0) lgkmcnt(0)
	v_mul_f32_e32 v6, s0, v6
	v_fmac_f32_e32 v6, s1, v21
	flat_store_dword v[4:5], v6 offset:64
	flat_load_dword v6, v[22:23] offset:128
	s_waitcnt vmcnt(0) lgkmcnt(0)
	v_mul_f32_e32 v6, s0, v6
	v_fmac_f32_e32 v6, s1, v20
	v_add_co_u32 v20, vcc_lo, v7, s2
	v_add_co_ci_u32_e64 v21, null, s3, v26, vcc_lo
	flat_store_dword v[4:5], v6 offset:128
	flat_load_dword v6, v[22:23] offset:192
	s_waitcnt vmcnt(0) lgkmcnt(0)
	v_mul_f32_e32 v18, s0, v6
	v_add_co_u32 v6, vcc_lo, v20, v0
	v_add_co_ci_u32_e64 v7, null, v21, v1, vcc_lo
	v_fmac_f32_e32 v18, s1, v19
	flat_store_dword v[4:5], v18 offset:192
	flat_load_dword v4, v[6:7]
	v_add_co_u32 v18, vcc_lo, v24, s4
	v_add_co_ci_u32_e64 v19, null, s5, v25, vcc_lo
	s_waitcnt vmcnt(0) lgkmcnt(0)
	v_mul_f32_e32 v22, s0, v4
	v_add_co_u32 v4, vcc_lo, v18, v0
	v_add_co_ci_u32_e64 v5, null, v19, v1, vcc_lo
	v_fmac_f32_e32 v22, s1, v17
	flat_store_dword v[4:5], v22
	flat_load_dword v17, v[6:7] offset:64
	s_waitcnt vmcnt(0) lgkmcnt(0)
	v_mul_f32_e32 v17, s0, v17
	v_fmac_f32_e32 v17, s1, v16
	flat_store_dword v[4:5], v17 offset:64
	flat_load_dword v16, v[6:7] offset:128
	s_waitcnt vmcnt(0) lgkmcnt(0)
	v_mul_f32_e32 v16, s0, v16
	v_fmac_f32_e32 v16, s1, v15
	flat_store_dword v[4:5], v16 offset:128
	flat_load_dword v6, v[6:7] offset:192
	v_add_co_u32 v16, vcc_lo, v20, s2
	v_add_co_ci_u32_e64 v17, null, s3, v21, vcc_lo
	s_waitcnt vmcnt(0) lgkmcnt(0)
	v_mul_f32_e32 v15, s0, v6
	v_add_co_u32 v6, vcc_lo, v16, v0
	v_add_co_ci_u32_e64 v7, null, v17, v1, vcc_lo
	v_fmac_f32_e32 v15, s1, v14
	v_add_co_u32 v14, vcc_lo, v18, s4
	flat_store_dword v[4:5], v15 offset:192
	flat_load_dword v4, v[6:7]
	v_add_co_ci_u32_e64 v15, null, s5, v19, vcc_lo
	s_waitcnt vmcnt(0) lgkmcnt(0)
	v_mul_f32_e32 v18, s0, v4
	v_add_co_u32 v4, vcc_lo, v14, v0
	v_add_co_ci_u32_e64 v5, null, v15, v1, vcc_lo
	v_fmac_f32_e32 v18, s1, v13
	flat_store_dword v[4:5], v18
	flat_load_dword v13, v[6:7] offset:64
	s_waitcnt vmcnt(0) lgkmcnt(0)
	v_mul_f32_e32 v13, s0, v13
	v_fmac_f32_e32 v13, s1, v12
	flat_store_dword v[4:5], v13 offset:64
	flat_load_dword v12, v[6:7] offset:128
	s_waitcnt vmcnt(0) lgkmcnt(0)
	v_mul_f32_e32 v12, s0, v12
	v_fmac_f32_e32 v12, s1, v11
	flat_store_dword v[4:5], v12 offset:128
	flat_load_dword v6, v[6:7] offset:192
	s_waitcnt vmcnt(0) lgkmcnt(0)
	v_mul_f32_e32 v11, s0, v6
	v_add_co_u32 v6, vcc_lo, v16, s2
	v_add_co_ci_u32_e64 v7, null, s3, v17, vcc_lo
	v_fmac_f32_e32 v11, s1, v10
	v_add_co_u32 v6, vcc_lo, v6, v0
	v_add_co_ci_u32_e64 v7, null, v7, v1, vcc_lo
	flat_store_dword v[4:5], v11 offset:192
	v_add_co_u32 v5, vcc_lo, v14, s4
	flat_load_dword v4, v[6:7]
	v_add_co_ci_u32_e64 v10, null, s5, v15, vcc_lo
	v_add_co_u32 v0, vcc_lo, v5, v0
	v_add_co_ci_u32_e64 v1, null, v10, v1, vcc_lo
	s_waitcnt vmcnt(0) lgkmcnt(0)
	v_mul_f32_e32 v4, s0, v4
	v_fmac_f32_e32 v4, s1, v9
	flat_store_dword v[0:1], v4
	flat_load_dword v4, v[6:7] offset:64
	s_waitcnt vmcnt(0) lgkmcnt(0)
	v_mul_f32_e32 v4, s0, v4
	v_fmac_f32_e32 v4, s1, v8
	flat_store_dword v[0:1], v4 offset:64
	flat_load_dword v4, v[6:7] offset:128
	s_waitcnt vmcnt(0) lgkmcnt(0)
	v_mul_f32_e32 v4, s0, v4
	v_fmac_f32_e32 v4, s1, v2
	flat_store_dword v[0:1], v4 offset:128
	;; [unrolled: 5-line block ×3, first 2 shown]
.LBB32_6:
	s_endpgm
.LBB32_7:
	s_branch .LBB32_5
	.section	.rodata,"a",@progbits
	.p2align	6, 0x0
	.amdhsa_kernel _ZN12_GLOBAL__N_127rocblas_gemm_batched_kernelIfLi16ELi16ELi64ELi64ELi4ELi64ELi4ELi4ELi64ELc84ELc84EKPKfS3_KPfEEvlllT_PT11_llS8_llS6_PT12_llPT13_lli
		.amdhsa_group_segment_fixed_size 2048
		.amdhsa_private_segment_fixed_size 0
		.amdhsa_kernarg_size 140
		.amdhsa_user_sgpr_count 6
		.amdhsa_user_sgpr_private_segment_buffer 1
		.amdhsa_user_sgpr_dispatch_ptr 0
		.amdhsa_user_sgpr_queue_ptr 0
		.amdhsa_user_sgpr_kernarg_segment_ptr 1
		.amdhsa_user_sgpr_dispatch_id 0
		.amdhsa_user_sgpr_flat_scratch_init 0
		.amdhsa_user_sgpr_private_segment_size 0
		.amdhsa_wavefront_size32 1
		.amdhsa_uses_dynamic_stack 0
		.amdhsa_system_sgpr_private_segment_wavefront_offset 0
		.amdhsa_system_sgpr_workgroup_id_x 1
		.amdhsa_system_sgpr_workgroup_id_y 1
		.amdhsa_system_sgpr_workgroup_id_z 1
		.amdhsa_system_sgpr_workgroup_info 0
		.amdhsa_system_vgpr_workitem_id 1
		.amdhsa_next_free_vgpr 58
		.amdhsa_next_free_sgpr 36
		.amdhsa_reserve_vcc 1
		.amdhsa_reserve_flat_scratch 0
		.amdhsa_float_round_mode_32 0
		.amdhsa_float_round_mode_16_64 0
		.amdhsa_float_denorm_mode_32 3
		.amdhsa_float_denorm_mode_16_64 3
		.amdhsa_dx10_clamp 1
		.amdhsa_ieee_mode 1
		.amdhsa_fp16_overflow 0
		.amdhsa_workgroup_processor_mode 1
		.amdhsa_memory_ordered 1
		.amdhsa_forward_progress 1
		.amdhsa_shared_vgpr_count 0
		.amdhsa_exception_fp_ieee_invalid_op 0
		.amdhsa_exception_fp_denorm_src 0
		.amdhsa_exception_fp_ieee_div_zero 0
		.amdhsa_exception_fp_ieee_overflow 0
		.amdhsa_exception_fp_ieee_underflow 0
		.amdhsa_exception_fp_ieee_inexact 0
		.amdhsa_exception_int_div_zero 0
	.end_amdhsa_kernel
	.section	.text._ZN12_GLOBAL__N_127rocblas_gemm_batched_kernelIfLi16ELi16ELi64ELi64ELi4ELi64ELi4ELi4ELi64ELc84ELc84EKPKfS3_KPfEEvlllT_PT11_llS8_llS6_PT12_llPT13_lli,"axG",@progbits,_ZN12_GLOBAL__N_127rocblas_gemm_batched_kernelIfLi16ELi16ELi64ELi64ELi4ELi64ELi4ELi4ELi64ELc84ELc84EKPKfS3_KPfEEvlllT_PT11_llS8_llS6_PT12_llPT13_lli,comdat
.Lfunc_end32:
	.size	_ZN12_GLOBAL__N_127rocblas_gemm_batched_kernelIfLi16ELi16ELi64ELi64ELi4ELi64ELi4ELi4ELi64ELc84ELc84EKPKfS3_KPfEEvlllT_PT11_llS8_llS6_PT12_llPT13_lli, .Lfunc_end32-_ZN12_GLOBAL__N_127rocblas_gemm_batched_kernelIfLi16ELi16ELi64ELi64ELi4ELi64ELi4ELi4ELi64ELc84ELc84EKPKfS3_KPfEEvlllT_PT11_llS8_llS6_PT12_llPT13_lli
                                        ; -- End function
	.set _ZN12_GLOBAL__N_127rocblas_gemm_batched_kernelIfLi16ELi16ELi64ELi64ELi4ELi64ELi4ELi4ELi64ELc84ELc84EKPKfS3_KPfEEvlllT_PT11_llS8_llS6_PT12_llPT13_lli.num_vgpr, 58
	.set _ZN12_GLOBAL__N_127rocblas_gemm_batched_kernelIfLi16ELi16ELi64ELi64ELi4ELi64ELi4ELi4ELi64ELc84ELc84EKPKfS3_KPfEEvlllT_PT11_llS8_llS6_PT12_llPT13_lli.num_agpr, 0
	.set _ZN12_GLOBAL__N_127rocblas_gemm_batched_kernelIfLi16ELi16ELi64ELi64ELi4ELi64ELi4ELi4ELi64ELc84ELc84EKPKfS3_KPfEEvlllT_PT11_llS8_llS6_PT12_llPT13_lli.numbered_sgpr, 36
	.set _ZN12_GLOBAL__N_127rocblas_gemm_batched_kernelIfLi16ELi16ELi64ELi64ELi4ELi64ELi4ELi4ELi64ELc84ELc84EKPKfS3_KPfEEvlllT_PT11_llS8_llS6_PT12_llPT13_lli.num_named_barrier, 0
	.set _ZN12_GLOBAL__N_127rocblas_gemm_batched_kernelIfLi16ELi16ELi64ELi64ELi4ELi64ELi4ELi4ELi64ELc84ELc84EKPKfS3_KPfEEvlllT_PT11_llS8_llS6_PT12_llPT13_lli.private_seg_size, 0
	.set _ZN12_GLOBAL__N_127rocblas_gemm_batched_kernelIfLi16ELi16ELi64ELi64ELi4ELi64ELi4ELi4ELi64ELc84ELc84EKPKfS3_KPfEEvlllT_PT11_llS8_llS6_PT12_llPT13_lli.uses_vcc, 1
	.set _ZN12_GLOBAL__N_127rocblas_gemm_batched_kernelIfLi16ELi16ELi64ELi64ELi4ELi64ELi4ELi4ELi64ELc84ELc84EKPKfS3_KPfEEvlllT_PT11_llS8_llS6_PT12_llPT13_lli.uses_flat_scratch, 0
	.set _ZN12_GLOBAL__N_127rocblas_gemm_batched_kernelIfLi16ELi16ELi64ELi64ELi4ELi64ELi4ELi4ELi64ELc84ELc84EKPKfS3_KPfEEvlllT_PT11_llS8_llS6_PT12_llPT13_lli.has_dyn_sized_stack, 0
	.set _ZN12_GLOBAL__N_127rocblas_gemm_batched_kernelIfLi16ELi16ELi64ELi64ELi4ELi64ELi4ELi4ELi64ELc84ELc84EKPKfS3_KPfEEvlllT_PT11_llS8_llS6_PT12_llPT13_lli.has_recursion, 0
	.set _ZN12_GLOBAL__N_127rocblas_gemm_batched_kernelIfLi16ELi16ELi64ELi64ELi4ELi64ELi4ELi4ELi64ELc84ELc84EKPKfS3_KPfEEvlllT_PT11_llS8_llS6_PT12_llPT13_lli.has_indirect_call, 0
	.section	.AMDGPU.csdata,"",@progbits
; Kernel info:
; codeLenInByte = 2300
; TotalNumSgprs: 38
; NumVgprs: 58
; ScratchSize: 0
; MemoryBound: 0
; FloatMode: 240
; IeeeMode: 1
; LDSByteSize: 2048 bytes/workgroup (compile time only)
; SGPRBlocks: 0
; VGPRBlocks: 7
; NumSGPRsForWavesPerEU: 38
; NumVGPRsForWavesPerEU: 58
; Occupancy: 16
; WaveLimiterHint : 1
; COMPUTE_PGM_RSRC2:SCRATCH_EN: 0
; COMPUTE_PGM_RSRC2:USER_SGPR: 6
; COMPUTE_PGM_RSRC2:TRAP_HANDLER: 0
; COMPUTE_PGM_RSRC2:TGID_X_EN: 1
; COMPUTE_PGM_RSRC2:TGID_Y_EN: 1
; COMPUTE_PGM_RSRC2:TGID_Z_EN: 1
; COMPUTE_PGM_RSRC2:TIDIG_COMP_CNT: 1
	.section	.text._ZN12_GLOBAL__N_127rocblas_gemm_batched_kernelIfLi16ELi16ELi64ELi64ELi4ELi64ELi4ELi4ELi64ELc67ELc67EKPKfS3_KPfEEvlllT_PT11_llS8_llS6_PT12_llPT13_lli,"axG",@progbits,_ZN12_GLOBAL__N_127rocblas_gemm_batched_kernelIfLi16ELi16ELi64ELi64ELi4ELi64ELi4ELi4ELi64ELc67ELc67EKPKfS3_KPfEEvlllT_PT11_llS8_llS6_PT12_llPT13_lli,comdat
	.globl	_ZN12_GLOBAL__N_127rocblas_gemm_batched_kernelIfLi16ELi16ELi64ELi64ELi4ELi64ELi4ELi4ELi64ELc67ELc67EKPKfS3_KPfEEvlllT_PT11_llS8_llS6_PT12_llPT13_lli ; -- Begin function _ZN12_GLOBAL__N_127rocblas_gemm_batched_kernelIfLi16ELi16ELi64ELi64ELi4ELi64ELi4ELi4ELi64ELc67ELc67EKPKfS3_KPfEEvlllT_PT11_llS8_llS6_PT12_llPT13_lli
	.p2align	8
	.type	_ZN12_GLOBAL__N_127rocblas_gemm_batched_kernelIfLi16ELi16ELi64ELi64ELi4ELi64ELi4ELi4ELi64ELc67ELc67EKPKfS3_KPfEEvlllT_PT11_llS8_llS6_PT12_llPT13_lli,@function
_ZN12_GLOBAL__N_127rocblas_gemm_batched_kernelIfLi16ELi16ELi64ELi64ELi4ELi64ELi4ELi4ELi64ELc67ELc67EKPKfS3_KPfEEvlllT_PT11_llS8_llS6_PT12_llPT13_lli: ; @_ZN12_GLOBAL__N_127rocblas_gemm_batched_kernelIfLi16ELi16ELi64ELi64ELi4ELi64ELi4ELi4ELi64ELc67ELc67EKPKfS3_KPfEEvlllT_PT11_llS8_llS6_PT12_llPT13_lli
; %bb.0:
	s_clause 0x1
	s_load_dwordx8 s[12:19], s[4:5], 0x58
	s_load_dwordx2 s[28:29], s[4:5], 0x10
	s_mov_b32 s9, 0
	s_mov_b32 s0, s7
	s_lshl_b64 s[34:35], s[8:9], 3
	s_load_dwordx4 s[8:11], s[4:5], 0x78
	v_mov_b32_e32 v18, 0
	v_mov_b32_e32 v21, 0
	v_mov_b32_e32 v20, 0
	v_mov_b32_e32 v19, 0
	v_mov_b32_e32 v17, 0
	v_mov_b32_e32 v16, 0
	v_mov_b32_e32 v15, 0
	v_mov_b32_e32 v14, 0
	v_mov_b32_e32 v13, 0
	v_mov_b32_e32 v12, 0
	v_mov_b32_e32 v11, 0
	v_mov_b32_e32 v10, 0
	v_mov_b32_e32 v9, 0
	v_mov_b32_e32 v8, 0
	s_waitcnt lgkmcnt(0)
	s_add_u32 s2, s12, s34
	s_addc_u32 s3, s13, s35
	s_add_u32 s18, s18, s34
	s_addc_u32 s19, s19, s35
	s_load_dwordx2 s[12:13], s[2:3], 0x0
	s_load_dwordx2 s[18:19], s[18:19], 0x0
	v_cmp_lt_i64_e64 s20, s[28:29], 1
	v_mov_b32_e32 v2, 0
	v_mov_b32_e32 v3, 0
	s_ashr_i32 s7, s6, 31
	s_ashr_i32 s1, s0, 31
	s_lshl_b64 s[6:7], s[6:7], 6
	s_and_b32 vcc_lo, exec_lo, s20
	s_lshl_b64 s[30:31], s[0:1], 6
	s_cbranch_vccnz .LBB33_3
; %bb.1:
	s_clause 0x1
	s_load_dwordx8 s[20:27], s[4:5], 0x20
	s_load_dwordx4 s[0:3], s[4:5], 0x40
	v_lshlrev_b32_e32 v8, 4, v1
	v_and_b32_e32 v10, 3, v0
	v_mov_b32_e32 v3, 0
	v_lshlrev_b32_e32 v22, 2, v0
	v_add_nc_u32_e32 v9, v8, v0
	v_lshlrev_b32_e32 v12, 2, v10
	v_add_nc_u32_e32 v23, 0x400, v8
	v_mov_b32_e32 v16, v3
	v_mov_b32_e32 v17, v3
	v_and_b32_e32 v11, 63, v9
	v_lshrrev_b32_e32 v2, 2, v9
	v_lshrrev_b32_e32 v9, 6, v9
	v_mov_b32_e32 v19, v3
	v_mov_b32_e32 v20, v3
	v_add_co_u32 v6, s33, s6, v11
	v_add_co_ci_u32_e64 v7, null, s7, 0, s33
	s_waitcnt lgkmcnt(0)
	s_add_u32 s20, s20, s34
	s_addc_u32 s21, s21, s35
	s_add_u32 s26, s26, s34
	s_addc_u32 s27, s27, s35
	v_mad_u64_u32 v[4:5], null, s0, v10, v[2:3]
	s_load_dwordx2 s[26:27], s[26:27], 0x0
	v_mul_lo_u32 v13, s23, v6
	v_mul_lo_u32 v14, s22, v7
	v_mad_u64_u32 v[6:7], null, s22, v6, 0
	v_lshlrev_b32_e32 v11, 2, v11
	v_lshl_or_b32 v12, v2, 4, v12
	v_mov_b32_e32 v2, v5
	v_lshlrev_b32_e32 v15, 2, v9
	s_load_dwordx2 s[20:21], s[20:21], 0x0
	v_lshl_or_b32 v24, v9, 8, v11
	v_add3_u32 v7, v7, v14, v13
	v_mad_u64_u32 v[8:9], null, s1, v10, v[2:3]
	s_lshl_b64 s[2:3], s[2:3], 2
	v_add_nc_u32_e32 v25, 0x400, v12
	v_lshlrev_b64 v[5:6], 2, v[6:7]
	v_add_co_u32 v7, vcc_lo, v4, s30
	v_mov_b32_e32 v9, v3
	v_add_co_ci_u32_e64 v8, null, s31, v8, vcc_lo
	s_waitcnt lgkmcnt(0)
	s_add_u32 s22, s26, s2
	s_addc_u32 s23, s27, s3
	s_lshl_b64 s[2:3], s[24:25], 2
	v_mov_b32_e32 v10, v3
	v_add_co_u32 v2, vcc_lo, v5, s2
	v_add_co_ci_u32_e64 v6, null, s3, v6, vcc_lo
	v_lshlrev_b64 v[4:5], 2, v[7:8]
	v_add_co_u32 v2, vcc_lo, v2, v15
	v_add_co_ci_u32_e64 v7, null, 0, v6, vcc_lo
	v_mov_b32_e32 v8, v3
	v_add_co_u32 v4, vcc_lo, s22, v4
	v_add_co_ci_u32_e64 v5, null, s23, v5, vcc_lo
	v_add_co_u32 v6, vcc_lo, s20, v2
	v_add_co_ci_u32_e64 v7, null, s21, v7, vcc_lo
	v_mov_b32_e32 v2, v3
	v_mov_b32_e32 v11, v3
	v_mov_b32_e32 v12, v3
	v_mov_b32_e32 v13, v3
	v_mov_b32_e32 v14, v3
	v_mov_b32_e32 v15, v3
	v_mov_b32_e32 v21, v3
	v_mov_b32_e32 v18, v3
	s_lshl_b64 s[2:3], s[0:1], 4
	s_mov_b64 s[20:21], 0
.LBB33_2:                               ; =>This Inner Loop Header: Depth=1
	flat_load_dword v26, v[6:7]
	s_add_u32 s20, s20, 4
	s_addc_u32 s21, s21, 0
	v_add_co_u32 v6, vcc_lo, v6, 16
	v_cmp_lt_i64_e64 s0, s[20:21], s[28:29]
	v_add_co_ci_u32_e64 v7, null, 0, v7, vcc_lo
	s_and_b32 vcc_lo, exec_lo, s0
	s_waitcnt vmcnt(0) lgkmcnt(0)
	ds_write_b32 v24, v26
	flat_load_dword v26, v[4:5]
	v_add_co_u32 v4, s0, v4, s2
	v_add_co_ci_u32_e64 v5, null, s3, v5, s0
	s_waitcnt vmcnt(0) lgkmcnt(0)
	ds_write_b32 v25, v26
	s_waitcnt lgkmcnt(0)
	s_barrier
	buffer_gl0_inv
	ds_read_b128 v[26:29], v23
	ds_read2_b32 v[42:43], v22 offset1:16
	ds_read2_b32 v[44:45], v22 offset0:32 offset1:48
	ds_read_b128 v[30:33], v23 offset:256
	ds_read_b128 v[34:37], v23 offset:512
	ds_read_b128 v[38:41], v23 offset:768
	ds_read2_b32 v[46:47], v22 offset0:64 offset1:80
	ds_read2_b32 v[48:49], v22 offset0:96 offset1:112
	;; [unrolled: 1-line block ×6, first 2 shown]
	s_waitcnt lgkmcnt(0)
	s_barrier
	buffer_gl0_inv
	v_fmac_f32_e32 v18, v42, v26
	v_fmac_f32_e32 v21, v43, v26
	;; [unrolled: 1-line block ×64, first 2 shown]
	s_cbranch_vccnz .LBB33_2
.LBB33_3:
	s_clause 0x1
	s_load_dword s0, s[4:5], 0x50
	s_load_dword s1, s[4:5], 0x18
	v_add_co_u32 v4, s4, s30, v1
	v_add_co_ci_u32_e64 v7, null, s31, 0, s4
	v_add_co_u32 v0, s4, s6, v0
	v_add_co_ci_u32_e64 v1, null, s7, 0, s4
	v_mul_lo_u32 v5, v7, s8
	v_mul_lo_u32 v6, v4, s9
	s_lshl_b64 s[2:3], s[10:11], 2
	v_lshlrev_b64 v[0:1], 2, v[0:1]
	s_waitcnt lgkmcnt(0)
	s_add_u32 s2, s18, s2
	s_addc_u32 s3, s19, s3
	v_cmp_neq_f32_e64 s4, s0, 0
	s_and_b32 vcc_lo, exec_lo, s4
	s_mov_b32 s4, 0
	s_cbranch_vccnz .LBB33_7
; %bb.4:
	v_mad_u64_u32 v[22:23], null, v4, s8, 0
	s_lshl_b64 s[6:7], s[8:9], 6
	v_mul_f32_e32 v26, s1, v18
	v_mul_f32_e32 v27, s1, v21
	;; [unrolled: 1-line block ×5, first 2 shown]
	v_add3_u32 v23, v23, v6, v5
	v_mul_f32_e32 v31, s1, v16
	v_mul_f32_e32 v32, s1, v15
	;; [unrolled: 1-line block ×3, first 2 shown]
	v_lshlrev_b64 v[22:23], 2, v[22:23]
	v_add_co_u32 v22, vcc_lo, s2, v22
	v_add_co_ci_u32_e64 v23, null, s3, v23, vcc_lo
	v_add_co_u32 v34, vcc_lo, v22, s6
	v_add_co_ci_u32_e64 v35, null, s7, v23, vcc_lo
	v_add_co_u32 v22, vcc_lo, v22, v0
	v_add_co_ci_u32_e64 v23, null, v23, v1, vcc_lo
	v_add_co_u32 v24, vcc_lo, v34, v0
	v_add_co_ci_u32_e64 v25, null, v35, v1, vcc_lo
	flat_store_dword v[22:23], v26
	flat_store_dword v[22:23], v27 offset:64
	flat_store_dword v[22:23], v28 offset:128
	;; [unrolled: 1-line block ×3, first 2 shown]
	flat_store_dword v[24:25], v30
	flat_store_dword v[24:25], v31 offset:64
	v_add_co_u32 v26, vcc_lo, v34, s6
	v_add_co_ci_u32_e64 v27, null, s7, v35, vcc_lo
	v_mul_f32_e32 v28, s1, v13
	v_add_co_u32 v22, vcc_lo, v26, v0
	v_add_co_ci_u32_e64 v23, null, v27, v1, vcc_lo
	v_mul_f32_e32 v29, s1, v12
	v_mul_f32_e32 v30, s1, v11
	flat_store_dword v[24:25], v32 offset:128
	flat_store_dword v[24:25], v33 offset:192
	flat_store_dword v[22:23], v28
	flat_store_dword v[22:23], v29 offset:64
	flat_store_dword v[22:23], v30 offset:128
	v_add_co_u32 v24, vcc_lo, v26, s6
	v_add_co_ci_u32_e64 v25, null, s7, v27, vcc_lo
	v_mul_f32_e32 v28, s1, v10
	v_add_co_u32 v24, vcc_lo, v24, v0
	v_mul_f32_e32 v26, s1, v9
	v_add_co_ci_u32_e64 v25, null, v25, v1, vcc_lo
	v_mul_f32_e32 v27, s1, v8
	v_mul_f32_e32 v29, s1, v2
	;; [unrolled: 1-line block ×3, first 2 shown]
	flat_store_dword v[22:23], v28 offset:192
	flat_store_dword v[24:25], v26
	flat_store_dword v[24:25], v27 offset:64
	flat_store_dword v[24:25], v29 offset:128
	;; [unrolled: 1-line block ×3, first 2 shown]
	s_andn2_b32 vcc_lo, exec_lo, s4
	s_cbranch_vccnz .LBB33_6
.LBB33_5:
	v_mul_lo_u32 v7, v7, s14
	v_mul_lo_u32 v24, v4, s15
	v_mad_u64_u32 v[22:23], null, v4, s14, 0
	s_lshl_b64 s[4:5], s[16:17], 2
	s_add_u32 s4, s12, s4
	s_addc_u32 s5, s13, s5
	v_add3_u32 v23, v23, v24, v7
	v_mad_u64_u32 v[24:25], null, v4, s8, 0
	v_lshlrev_b64 v[22:23], 2, v[22:23]
	v_add3_u32 v25, v25, v6, v5
	v_add_co_u32 v7, vcc_lo, s4, v22
	v_add_co_ci_u32_e64 v26, null, s5, v23, vcc_lo
	v_lshlrev_b64 v[4:5], 2, v[24:25]
	v_add_co_u32 v22, vcc_lo, v7, v0
	v_add_co_ci_u32_e64 v23, null, v26, v1, vcc_lo
	s_lshl_b64 s[4:5], s[8:9], 6
	v_add_co_u32 v24, vcc_lo, s2, v4
	flat_load_dword v27, v[22:23]
	v_add_co_ci_u32_e64 v25, null, s3, v5, vcc_lo
	v_add_co_u32 v4, vcc_lo, v24, v0
	s_lshl_b64 s[2:3], s[14:15], 6
	v_add_co_ci_u32_e64 v5, null, v25, v1, vcc_lo
	s_waitcnt vmcnt(0) lgkmcnt(0)
	v_mul_f32_e32 v6, s0, v27
	v_fmac_f32_e32 v6, s1, v18
	flat_store_dword v[4:5], v6
	flat_load_dword v6, v[22:23] offset:64
	s_waitcnt vmcnt(0) lgkmcnt(0)
	v_mul_f32_e32 v6, s0, v6
	v_fmac_f32_e32 v6, s1, v21
	flat_store_dword v[4:5], v6 offset:64
	flat_load_dword v6, v[22:23] offset:128
	s_waitcnt vmcnt(0) lgkmcnt(0)
	v_mul_f32_e32 v6, s0, v6
	v_fmac_f32_e32 v6, s1, v20
	v_add_co_u32 v20, vcc_lo, v7, s2
	v_add_co_ci_u32_e64 v21, null, s3, v26, vcc_lo
	flat_store_dword v[4:5], v6 offset:128
	flat_load_dword v6, v[22:23] offset:192
	s_waitcnt vmcnt(0) lgkmcnt(0)
	v_mul_f32_e32 v18, s0, v6
	v_add_co_u32 v6, vcc_lo, v20, v0
	v_add_co_ci_u32_e64 v7, null, v21, v1, vcc_lo
	v_fmac_f32_e32 v18, s1, v19
	flat_store_dword v[4:5], v18 offset:192
	flat_load_dword v4, v[6:7]
	v_add_co_u32 v18, vcc_lo, v24, s4
	v_add_co_ci_u32_e64 v19, null, s5, v25, vcc_lo
	s_waitcnt vmcnt(0) lgkmcnt(0)
	v_mul_f32_e32 v22, s0, v4
	v_add_co_u32 v4, vcc_lo, v18, v0
	v_add_co_ci_u32_e64 v5, null, v19, v1, vcc_lo
	v_fmac_f32_e32 v22, s1, v17
	flat_store_dword v[4:5], v22
	flat_load_dword v17, v[6:7] offset:64
	s_waitcnt vmcnt(0) lgkmcnt(0)
	v_mul_f32_e32 v17, s0, v17
	v_fmac_f32_e32 v17, s1, v16
	flat_store_dword v[4:5], v17 offset:64
	flat_load_dword v16, v[6:7] offset:128
	s_waitcnt vmcnt(0) lgkmcnt(0)
	v_mul_f32_e32 v16, s0, v16
	v_fmac_f32_e32 v16, s1, v15
	flat_store_dword v[4:5], v16 offset:128
	flat_load_dword v6, v[6:7] offset:192
	v_add_co_u32 v16, vcc_lo, v20, s2
	v_add_co_ci_u32_e64 v17, null, s3, v21, vcc_lo
	s_waitcnt vmcnt(0) lgkmcnt(0)
	v_mul_f32_e32 v15, s0, v6
	v_add_co_u32 v6, vcc_lo, v16, v0
	v_add_co_ci_u32_e64 v7, null, v17, v1, vcc_lo
	v_fmac_f32_e32 v15, s1, v14
	v_add_co_u32 v14, vcc_lo, v18, s4
	flat_store_dword v[4:5], v15 offset:192
	flat_load_dword v4, v[6:7]
	v_add_co_ci_u32_e64 v15, null, s5, v19, vcc_lo
	s_waitcnt vmcnt(0) lgkmcnt(0)
	v_mul_f32_e32 v18, s0, v4
	v_add_co_u32 v4, vcc_lo, v14, v0
	v_add_co_ci_u32_e64 v5, null, v15, v1, vcc_lo
	v_fmac_f32_e32 v18, s1, v13
	flat_store_dword v[4:5], v18
	flat_load_dword v13, v[6:7] offset:64
	s_waitcnt vmcnt(0) lgkmcnt(0)
	v_mul_f32_e32 v13, s0, v13
	v_fmac_f32_e32 v13, s1, v12
	flat_store_dword v[4:5], v13 offset:64
	flat_load_dword v12, v[6:7] offset:128
	s_waitcnt vmcnt(0) lgkmcnt(0)
	v_mul_f32_e32 v12, s0, v12
	v_fmac_f32_e32 v12, s1, v11
	flat_store_dword v[4:5], v12 offset:128
	flat_load_dword v6, v[6:7] offset:192
	s_waitcnt vmcnt(0) lgkmcnt(0)
	v_mul_f32_e32 v11, s0, v6
	v_add_co_u32 v6, vcc_lo, v16, s2
	v_add_co_ci_u32_e64 v7, null, s3, v17, vcc_lo
	v_fmac_f32_e32 v11, s1, v10
	v_add_co_u32 v6, vcc_lo, v6, v0
	v_add_co_ci_u32_e64 v7, null, v7, v1, vcc_lo
	flat_store_dword v[4:5], v11 offset:192
	v_add_co_u32 v5, vcc_lo, v14, s4
	flat_load_dword v4, v[6:7]
	v_add_co_ci_u32_e64 v10, null, s5, v15, vcc_lo
	v_add_co_u32 v0, vcc_lo, v5, v0
	v_add_co_ci_u32_e64 v1, null, v10, v1, vcc_lo
	s_waitcnt vmcnt(0) lgkmcnt(0)
	v_mul_f32_e32 v4, s0, v4
	v_fmac_f32_e32 v4, s1, v9
	flat_store_dword v[0:1], v4
	flat_load_dword v4, v[6:7] offset:64
	s_waitcnt vmcnt(0) lgkmcnt(0)
	v_mul_f32_e32 v4, s0, v4
	v_fmac_f32_e32 v4, s1, v8
	flat_store_dword v[0:1], v4 offset:64
	flat_load_dword v4, v[6:7] offset:128
	s_waitcnt vmcnt(0) lgkmcnt(0)
	v_mul_f32_e32 v4, s0, v4
	v_fmac_f32_e32 v4, s1, v2
	flat_store_dword v[0:1], v4 offset:128
	;; [unrolled: 5-line block ×3, first 2 shown]
.LBB33_6:
	s_endpgm
.LBB33_7:
	s_branch .LBB33_5
	.section	.rodata,"a",@progbits
	.p2align	6, 0x0
	.amdhsa_kernel _ZN12_GLOBAL__N_127rocblas_gemm_batched_kernelIfLi16ELi16ELi64ELi64ELi4ELi64ELi4ELi4ELi64ELc67ELc67EKPKfS3_KPfEEvlllT_PT11_llS8_llS6_PT12_llPT13_lli
		.amdhsa_group_segment_fixed_size 2048
		.amdhsa_private_segment_fixed_size 0
		.amdhsa_kernarg_size 140
		.amdhsa_user_sgpr_count 6
		.amdhsa_user_sgpr_private_segment_buffer 1
		.amdhsa_user_sgpr_dispatch_ptr 0
		.amdhsa_user_sgpr_queue_ptr 0
		.amdhsa_user_sgpr_kernarg_segment_ptr 1
		.amdhsa_user_sgpr_dispatch_id 0
		.amdhsa_user_sgpr_flat_scratch_init 0
		.amdhsa_user_sgpr_private_segment_size 0
		.amdhsa_wavefront_size32 1
		.amdhsa_uses_dynamic_stack 0
		.amdhsa_system_sgpr_private_segment_wavefront_offset 0
		.amdhsa_system_sgpr_workgroup_id_x 1
		.amdhsa_system_sgpr_workgroup_id_y 1
		.amdhsa_system_sgpr_workgroup_id_z 1
		.amdhsa_system_sgpr_workgroup_info 0
		.amdhsa_system_vgpr_workitem_id 1
		.amdhsa_next_free_vgpr 58
		.amdhsa_next_free_sgpr 36
		.amdhsa_reserve_vcc 1
		.amdhsa_reserve_flat_scratch 0
		.amdhsa_float_round_mode_32 0
		.amdhsa_float_round_mode_16_64 0
		.amdhsa_float_denorm_mode_32 3
		.amdhsa_float_denorm_mode_16_64 3
		.amdhsa_dx10_clamp 1
		.amdhsa_ieee_mode 1
		.amdhsa_fp16_overflow 0
		.amdhsa_workgroup_processor_mode 1
		.amdhsa_memory_ordered 1
		.amdhsa_forward_progress 1
		.amdhsa_shared_vgpr_count 0
		.amdhsa_exception_fp_ieee_invalid_op 0
		.amdhsa_exception_fp_denorm_src 0
		.amdhsa_exception_fp_ieee_div_zero 0
		.amdhsa_exception_fp_ieee_overflow 0
		.amdhsa_exception_fp_ieee_underflow 0
		.amdhsa_exception_fp_ieee_inexact 0
		.amdhsa_exception_int_div_zero 0
	.end_amdhsa_kernel
	.section	.text._ZN12_GLOBAL__N_127rocblas_gemm_batched_kernelIfLi16ELi16ELi64ELi64ELi4ELi64ELi4ELi4ELi64ELc67ELc67EKPKfS3_KPfEEvlllT_PT11_llS8_llS6_PT12_llPT13_lli,"axG",@progbits,_ZN12_GLOBAL__N_127rocblas_gemm_batched_kernelIfLi16ELi16ELi64ELi64ELi4ELi64ELi4ELi4ELi64ELc67ELc67EKPKfS3_KPfEEvlllT_PT11_llS8_llS6_PT12_llPT13_lli,comdat
.Lfunc_end33:
	.size	_ZN12_GLOBAL__N_127rocblas_gemm_batched_kernelIfLi16ELi16ELi64ELi64ELi4ELi64ELi4ELi4ELi64ELc67ELc67EKPKfS3_KPfEEvlllT_PT11_llS8_llS6_PT12_llPT13_lli, .Lfunc_end33-_ZN12_GLOBAL__N_127rocblas_gemm_batched_kernelIfLi16ELi16ELi64ELi64ELi4ELi64ELi4ELi4ELi64ELc67ELc67EKPKfS3_KPfEEvlllT_PT11_llS8_llS6_PT12_llPT13_lli
                                        ; -- End function
	.set _ZN12_GLOBAL__N_127rocblas_gemm_batched_kernelIfLi16ELi16ELi64ELi64ELi4ELi64ELi4ELi4ELi64ELc67ELc67EKPKfS3_KPfEEvlllT_PT11_llS8_llS6_PT12_llPT13_lli.num_vgpr, 58
	.set _ZN12_GLOBAL__N_127rocblas_gemm_batched_kernelIfLi16ELi16ELi64ELi64ELi4ELi64ELi4ELi4ELi64ELc67ELc67EKPKfS3_KPfEEvlllT_PT11_llS8_llS6_PT12_llPT13_lli.num_agpr, 0
	.set _ZN12_GLOBAL__N_127rocblas_gemm_batched_kernelIfLi16ELi16ELi64ELi64ELi4ELi64ELi4ELi4ELi64ELc67ELc67EKPKfS3_KPfEEvlllT_PT11_llS8_llS6_PT12_llPT13_lli.numbered_sgpr, 36
	.set _ZN12_GLOBAL__N_127rocblas_gemm_batched_kernelIfLi16ELi16ELi64ELi64ELi4ELi64ELi4ELi4ELi64ELc67ELc67EKPKfS3_KPfEEvlllT_PT11_llS8_llS6_PT12_llPT13_lli.num_named_barrier, 0
	.set _ZN12_GLOBAL__N_127rocblas_gemm_batched_kernelIfLi16ELi16ELi64ELi64ELi4ELi64ELi4ELi4ELi64ELc67ELc67EKPKfS3_KPfEEvlllT_PT11_llS8_llS6_PT12_llPT13_lli.private_seg_size, 0
	.set _ZN12_GLOBAL__N_127rocblas_gemm_batched_kernelIfLi16ELi16ELi64ELi64ELi4ELi64ELi4ELi4ELi64ELc67ELc67EKPKfS3_KPfEEvlllT_PT11_llS8_llS6_PT12_llPT13_lli.uses_vcc, 1
	.set _ZN12_GLOBAL__N_127rocblas_gemm_batched_kernelIfLi16ELi16ELi64ELi64ELi4ELi64ELi4ELi4ELi64ELc67ELc67EKPKfS3_KPfEEvlllT_PT11_llS8_llS6_PT12_llPT13_lli.uses_flat_scratch, 0
	.set _ZN12_GLOBAL__N_127rocblas_gemm_batched_kernelIfLi16ELi16ELi64ELi64ELi4ELi64ELi4ELi4ELi64ELc67ELc67EKPKfS3_KPfEEvlllT_PT11_llS8_llS6_PT12_llPT13_lli.has_dyn_sized_stack, 0
	.set _ZN12_GLOBAL__N_127rocblas_gemm_batched_kernelIfLi16ELi16ELi64ELi64ELi4ELi64ELi4ELi4ELi64ELc67ELc67EKPKfS3_KPfEEvlllT_PT11_llS8_llS6_PT12_llPT13_lli.has_recursion, 0
	.set _ZN12_GLOBAL__N_127rocblas_gemm_batched_kernelIfLi16ELi16ELi64ELi64ELi4ELi64ELi4ELi4ELi64ELc67ELc67EKPKfS3_KPfEEvlllT_PT11_llS8_llS6_PT12_llPT13_lli.has_indirect_call, 0
	.section	.AMDGPU.csdata,"",@progbits
; Kernel info:
; codeLenInByte = 2300
; TotalNumSgprs: 38
; NumVgprs: 58
; ScratchSize: 0
; MemoryBound: 0
; FloatMode: 240
; IeeeMode: 1
; LDSByteSize: 2048 bytes/workgroup (compile time only)
; SGPRBlocks: 0
; VGPRBlocks: 7
; NumSGPRsForWavesPerEU: 38
; NumVGPRsForWavesPerEU: 58
; Occupancy: 16
; WaveLimiterHint : 1
; COMPUTE_PGM_RSRC2:SCRATCH_EN: 0
; COMPUTE_PGM_RSRC2:USER_SGPR: 6
; COMPUTE_PGM_RSRC2:TRAP_HANDLER: 0
; COMPUTE_PGM_RSRC2:TGID_X_EN: 1
; COMPUTE_PGM_RSRC2:TGID_Y_EN: 1
; COMPUTE_PGM_RSRC2:TGID_Z_EN: 1
; COMPUTE_PGM_RSRC2:TIDIG_COMP_CNT: 1
	.section	.text._ZN12_GLOBAL__N_127rocblas_gemm_batched_kernelIfLi16ELi16ELi64ELi64ELi4ELi64ELi4ELi4ELi64ELc67ELc78EKPKfS3_KPfEEvlllT_PT11_llS8_llS6_PT12_llPT13_lli,"axG",@progbits,_ZN12_GLOBAL__N_127rocblas_gemm_batched_kernelIfLi16ELi16ELi64ELi64ELi4ELi64ELi4ELi4ELi64ELc67ELc78EKPKfS3_KPfEEvlllT_PT11_llS8_llS6_PT12_llPT13_lli,comdat
	.globl	_ZN12_GLOBAL__N_127rocblas_gemm_batched_kernelIfLi16ELi16ELi64ELi64ELi4ELi64ELi4ELi4ELi64ELc67ELc78EKPKfS3_KPfEEvlllT_PT11_llS8_llS6_PT12_llPT13_lli ; -- Begin function _ZN12_GLOBAL__N_127rocblas_gemm_batched_kernelIfLi16ELi16ELi64ELi64ELi4ELi64ELi4ELi4ELi64ELc67ELc78EKPKfS3_KPfEEvlllT_PT11_llS8_llS6_PT12_llPT13_lli
	.p2align	8
	.type	_ZN12_GLOBAL__N_127rocblas_gemm_batched_kernelIfLi16ELi16ELi64ELi64ELi4ELi64ELi4ELi4ELi64ELc67ELc78EKPKfS3_KPfEEvlllT_PT11_llS8_llS6_PT12_llPT13_lli,@function
_ZN12_GLOBAL__N_127rocblas_gemm_batched_kernelIfLi16ELi16ELi64ELi64ELi4ELi64ELi4ELi4ELi64ELc67ELc78EKPKfS3_KPfEEvlllT_PT11_llS8_llS6_PT12_llPT13_lli: ; @_ZN12_GLOBAL__N_127rocblas_gemm_batched_kernelIfLi16ELi16ELi64ELi64ELi4ELi64ELi4ELi4ELi64ELc67ELc78EKPKfS3_KPfEEvlllT_PT11_llS8_llS6_PT12_llPT13_lli
; %bb.0:
	s_clause 0x1
	s_load_dwordx8 s[12:19], s[4:5], 0x58
	s_load_dwordx2 s[28:29], s[4:5], 0x10
	s_mov_b32 s9, 0
	s_mov_b32 s0, s7
	s_lshl_b64 s[34:35], s[8:9], 3
	s_load_dwordx4 s[8:11], s[4:5], 0x78
	v_mov_b32_e32 v18, 0
	v_mov_b32_e32 v21, 0
	v_mov_b32_e32 v20, 0
	v_mov_b32_e32 v19, 0
	v_mov_b32_e32 v17, 0
	v_mov_b32_e32 v16, 0
	v_mov_b32_e32 v15, 0
	v_mov_b32_e32 v14, 0
	v_mov_b32_e32 v13, 0
	v_mov_b32_e32 v12, 0
	v_mov_b32_e32 v11, 0
	v_mov_b32_e32 v10, 0
	v_mov_b32_e32 v9, 0
	v_mov_b32_e32 v8, 0
	s_waitcnt lgkmcnt(0)
	s_add_u32 s2, s12, s34
	s_addc_u32 s3, s13, s35
	s_add_u32 s18, s18, s34
	s_addc_u32 s19, s19, s35
	s_load_dwordx2 s[12:13], s[2:3], 0x0
	s_load_dwordx2 s[18:19], s[18:19], 0x0
	v_cmp_lt_i64_e64 s20, s[28:29], 1
	v_mov_b32_e32 v7, 0
	v_mov_b32_e32 v6, 0
	s_ashr_i32 s7, s6, 31
	s_ashr_i32 s1, s0, 31
	s_lshl_b64 s[6:7], s[6:7], 6
	s_and_b32 vcc_lo, exec_lo, s20
	s_lshl_b64 s[30:31], s[0:1], 6
	s_cbranch_vccnz .LBB34_3
; %bb.1:
	v_lshlrev_b32_e32 v7, 4, v1
	s_clause 0x1
	s_load_dwordx8 s[20:27], s[4:5], 0x20
	s_load_dwordx4 s[0:3], s[4:5], 0x40
	v_and_b32_e32 v3, 3, v0
	v_lshlrev_b32_e32 v24, 2, v0
	v_mov_b32_e32 v16, 0
	v_add_nc_u32_e32 v2, v7, v0
	v_add_nc_u32_e32 v25, 0x400, v7
	v_lshlrev_b32_e32 v8, 2, v3
	v_mov_b32_e32 v17, 0
	v_mov_b32_e32 v19, 0
	v_lshrrev_b32_e32 v6, 2, v2
	v_and_b32_e32 v9, 63, v2
	v_lshrrev_b32_e32 v10, 6, v2
	v_mov_b32_e32 v20, 0
	v_mov_b32_e32 v21, 0
	v_add_co_u32 v2, s33, v6, s30
	v_add_co_ci_u32_e64 v3, null, 0, s31, s33
	v_add_co_u32 v4, s33, s6, v9
	v_add_co_ci_u32_e64 v5, null, s7, 0, s33
	s_waitcnt lgkmcnt(0)
	v_mul_lo_u32 v11, s1, v2
	v_mul_lo_u32 v12, s0, v3
	v_mad_u64_u32 v[2:3], null, s0, v2, 0
	v_mul_lo_u32 v13, s23, v4
	v_mul_lo_u32 v14, s22, v5
	v_mad_u64_u32 v[4:5], null, s22, v4, 0
	s_add_u32 s20, s20, s34
	s_addc_u32 s21, s21, s35
	s_add_u32 s26, s26, s34
	v_add3_u32 v3, v3, v12, v11
	s_addc_u32 s27, s27, s35
	s_load_dwordx2 s[20:21], s[20:21], 0x0
	s_load_dwordx2 s[0:1], s[26:27], 0x0
	v_add3_u32 v5, v5, v14, v13
	v_lshlrev_b64 v[2:3], 2, v[2:3]
	s_lshl_b64 s[2:3], s[2:3], 2
	v_lshlrev_b32_e32 v7, 2, v10
	v_lshlrev_b32_e32 v9, 2, v9
	v_lshlrev_b64 v[4:5], 2, v[4:5]
	v_lshl_or_b32 v15, v6, 4, v8
	v_add_co_u32 v2, vcc_lo, v2, s2
	v_add_co_ci_u32_e64 v3, null, s3, v3, vcc_lo
	s_lshl_b64 s[2:3], s[24:25], 2
	v_mov_b32_e32 v6, 0
	v_add_co_u32 v4, vcc_lo, v4, s2
	v_add_co_ci_u32_e64 v5, null, s3, v5, vcc_lo
	v_add_co_u32 v2, vcc_lo, v2, v8
	v_add_co_ci_u32_e64 v3, null, 0, v3, vcc_lo
	;; [unrolled: 2-line block ×3, first 2 shown]
	s_waitcnt lgkmcnt(0)
	v_add_co_u32 v2, vcc_lo, s0, v2
	v_add_co_ci_u32_e64 v3, null, s1, v3, vcc_lo
	v_add_co_u32 v4, vcc_lo, s20, v4
	v_lshl_or_b32 v22, v10, 8, v9
	v_add_nc_u32_e32 v23, 0x400, v15
	v_add_co_ci_u32_e64 v5, null, s21, v5, vcc_lo
	v_mov_b32_e32 v7, 0
	v_mov_b32_e32 v8, 0
	;; [unrolled: 1-line block ×10, first 2 shown]
	s_mov_b64 s[2:3], 0
.LBB34_2:                               ; =>This Inner Loop Header: Depth=1
	flat_load_dword v26, v[4:5]
	s_add_u32 s2, s2, 4
	s_addc_u32 s3, s3, 0
	v_add_co_u32 v4, vcc_lo, v4, 16
	v_cmp_lt_i64_e64 s0, s[2:3], s[28:29]
	v_add_co_ci_u32_e64 v5, null, 0, v5, vcc_lo
	s_and_b32 vcc_lo, exec_lo, s0
	s_waitcnt vmcnt(0) lgkmcnt(0)
	ds_write_b32 v22, v26
	flat_load_dword v26, v[2:3]
	v_add_co_u32 v2, s0, v2, 16
	v_add_co_ci_u32_e64 v3, null, 0, v3, s0
	s_waitcnt vmcnt(0) lgkmcnt(0)
	ds_write_b32 v23, v26
	s_waitcnt lgkmcnt(0)
	s_barrier
	buffer_gl0_inv
	ds_read_b128 v[26:29], v25
	ds_read2_b32 v[42:43], v24 offset1:16
	ds_read2_b32 v[44:45], v24 offset0:32 offset1:48
	ds_read_b128 v[30:33], v25 offset:256
	ds_read_b128 v[34:37], v25 offset:512
	;; [unrolled: 1-line block ×3, first 2 shown]
	ds_read2_b32 v[46:47], v24 offset0:64 offset1:80
	ds_read2_b32 v[48:49], v24 offset0:96 offset1:112
	;; [unrolled: 1-line block ×6, first 2 shown]
	s_waitcnt lgkmcnt(0)
	s_barrier
	buffer_gl0_inv
	v_fmac_f32_e32 v18, v42, v26
	v_fmac_f32_e32 v21, v43, v26
	;; [unrolled: 1-line block ×64, first 2 shown]
	s_cbranch_vccnz .LBB34_2
.LBB34_3:
	s_clause 0x1
	s_load_dword s0, s[4:5], 0x50
	s_load_dword s1, s[4:5], 0x18
	v_add_co_u32 v2, s4, s30, v1
	v_add_co_ci_u32_e64 v5, null, s31, 0, s4
	v_add_co_u32 v0, s4, s6, v0
	v_add_co_ci_u32_e64 v1, null, s7, 0, s4
	v_mul_lo_u32 v3, v5, s8
	v_mul_lo_u32 v4, v2, s9
	s_lshl_b64 s[2:3], s[10:11], 2
	v_lshlrev_b64 v[0:1], 2, v[0:1]
	s_waitcnt lgkmcnt(0)
	s_add_u32 s2, s18, s2
	s_addc_u32 s3, s19, s3
	v_cmp_neq_f32_e64 s4, s0, 0
	s_and_b32 vcc_lo, exec_lo, s4
	s_mov_b32 s4, 0
	s_cbranch_vccnz .LBB34_7
; %bb.4:
	v_mad_u64_u32 v[22:23], null, v2, s8, 0
	s_lshl_b64 s[6:7], s[8:9], 6
	v_mul_f32_e32 v26, s1, v18
	v_mul_f32_e32 v27, s1, v21
	v_mul_f32_e32 v28, s1, v20
	v_mul_f32_e32 v29, s1, v19
	v_mul_f32_e32 v30, s1, v17
	v_add3_u32 v23, v23, v4, v3
	v_mul_f32_e32 v31, s1, v16
	v_mul_f32_e32 v32, s1, v15
	v_mul_f32_e32 v33, s1, v14
	v_lshlrev_b64 v[22:23], 2, v[22:23]
	v_add_co_u32 v22, vcc_lo, s2, v22
	v_add_co_ci_u32_e64 v23, null, s3, v23, vcc_lo
	v_add_co_u32 v34, vcc_lo, v22, s6
	v_add_co_ci_u32_e64 v35, null, s7, v23, vcc_lo
	;; [unrolled: 2-line block ×4, first 2 shown]
	flat_store_dword v[22:23], v26
	flat_store_dword v[22:23], v27 offset:64
	flat_store_dword v[22:23], v28 offset:128
	;; [unrolled: 1-line block ×3, first 2 shown]
	flat_store_dword v[24:25], v30
	flat_store_dword v[24:25], v31 offset:64
	v_add_co_u32 v26, vcc_lo, v34, s6
	v_add_co_ci_u32_e64 v27, null, s7, v35, vcc_lo
	v_mul_f32_e32 v28, s1, v13
	v_add_co_u32 v22, vcc_lo, v26, v0
	v_add_co_ci_u32_e64 v23, null, v27, v1, vcc_lo
	v_mul_f32_e32 v29, s1, v12
	v_mul_f32_e32 v30, s1, v11
	flat_store_dword v[24:25], v32 offset:128
	flat_store_dword v[24:25], v33 offset:192
	flat_store_dword v[22:23], v28
	flat_store_dword v[22:23], v29 offset:64
	flat_store_dword v[22:23], v30 offset:128
	v_add_co_u32 v24, vcc_lo, v26, s6
	v_add_co_ci_u32_e64 v25, null, s7, v27, vcc_lo
	v_mul_f32_e32 v28, s1, v10
	v_add_co_u32 v24, vcc_lo, v24, v0
	v_mul_f32_e32 v26, s1, v9
	v_add_co_ci_u32_e64 v25, null, v25, v1, vcc_lo
	v_mul_f32_e32 v27, s1, v8
	v_mul_f32_e32 v29, s1, v7
	;; [unrolled: 1-line block ×3, first 2 shown]
	flat_store_dword v[22:23], v28 offset:192
	flat_store_dword v[24:25], v26
	flat_store_dword v[24:25], v27 offset:64
	flat_store_dword v[24:25], v29 offset:128
	;; [unrolled: 1-line block ×3, first 2 shown]
	s_andn2_b32 vcc_lo, exec_lo, s4
	s_cbranch_vccnz .LBB34_6
.LBB34_5:
	v_mul_lo_u32 v5, v5, s14
	v_mul_lo_u32 v24, v2, s15
	v_mad_u64_u32 v[22:23], null, v2, s14, 0
	s_lshl_b64 s[4:5], s[16:17], 2
	s_add_u32 s4, s12, s4
	s_addc_u32 s5, s13, s5
	v_add3_u32 v23, v23, v24, v5
	v_mad_u64_u32 v[24:25], null, v2, s8, 0
	v_lshlrev_b64 v[22:23], 2, v[22:23]
	v_add3_u32 v25, v25, v4, v3
	v_add_co_u32 v5, vcc_lo, s4, v22
	v_add_co_ci_u32_e64 v26, null, s5, v23, vcc_lo
	v_lshlrev_b64 v[2:3], 2, v[24:25]
	v_add_co_u32 v22, vcc_lo, v5, v0
	v_add_co_ci_u32_e64 v23, null, v26, v1, vcc_lo
	s_lshl_b64 s[4:5], s[8:9], 6
	v_add_co_u32 v24, vcc_lo, s2, v2
	flat_load_dword v27, v[22:23]
	v_add_co_ci_u32_e64 v25, null, s3, v3, vcc_lo
	v_add_co_u32 v2, vcc_lo, v24, v0
	s_lshl_b64 s[2:3], s[14:15], 6
	v_add_co_ci_u32_e64 v3, null, v25, v1, vcc_lo
	s_waitcnt vmcnt(0) lgkmcnt(0)
	v_mul_f32_e32 v4, s0, v27
	v_fmac_f32_e32 v4, s1, v18
	flat_store_dword v[2:3], v4
	flat_load_dword v4, v[22:23] offset:64
	s_waitcnt vmcnt(0) lgkmcnt(0)
	v_mul_f32_e32 v4, s0, v4
	v_fmac_f32_e32 v4, s1, v21
	flat_store_dword v[2:3], v4 offset:64
	flat_load_dword v4, v[22:23] offset:128
	s_waitcnt vmcnt(0) lgkmcnt(0)
	v_mul_f32_e32 v4, s0, v4
	v_fmac_f32_e32 v4, s1, v20
	v_add_co_u32 v20, vcc_lo, v5, s2
	v_add_co_ci_u32_e64 v21, null, s3, v26, vcc_lo
	flat_store_dword v[2:3], v4 offset:128
	flat_load_dword v4, v[22:23] offset:192
	s_waitcnt vmcnt(0) lgkmcnt(0)
	v_mul_f32_e32 v18, s0, v4
	v_add_co_u32 v4, vcc_lo, v20, v0
	v_add_co_ci_u32_e64 v5, null, v21, v1, vcc_lo
	v_fmac_f32_e32 v18, s1, v19
	flat_store_dword v[2:3], v18 offset:192
	flat_load_dword v2, v[4:5]
	v_add_co_u32 v18, vcc_lo, v24, s4
	v_add_co_ci_u32_e64 v19, null, s5, v25, vcc_lo
	s_waitcnt vmcnt(0) lgkmcnt(0)
	v_mul_f32_e32 v22, s0, v2
	v_add_co_u32 v2, vcc_lo, v18, v0
	v_add_co_ci_u32_e64 v3, null, v19, v1, vcc_lo
	v_fmac_f32_e32 v22, s1, v17
	flat_store_dword v[2:3], v22
	flat_load_dword v17, v[4:5] offset:64
	s_waitcnt vmcnt(0) lgkmcnt(0)
	v_mul_f32_e32 v17, s0, v17
	v_fmac_f32_e32 v17, s1, v16
	flat_store_dword v[2:3], v17 offset:64
	flat_load_dword v16, v[4:5] offset:128
	s_waitcnt vmcnt(0) lgkmcnt(0)
	v_mul_f32_e32 v16, s0, v16
	v_fmac_f32_e32 v16, s1, v15
	flat_store_dword v[2:3], v16 offset:128
	flat_load_dword v4, v[4:5] offset:192
	v_add_co_u32 v16, vcc_lo, v20, s2
	v_add_co_ci_u32_e64 v17, null, s3, v21, vcc_lo
	s_waitcnt vmcnt(0) lgkmcnt(0)
	v_mul_f32_e32 v15, s0, v4
	v_add_co_u32 v4, vcc_lo, v16, v0
	v_add_co_ci_u32_e64 v5, null, v17, v1, vcc_lo
	v_fmac_f32_e32 v15, s1, v14
	v_add_co_u32 v14, vcc_lo, v18, s4
	flat_store_dword v[2:3], v15 offset:192
	flat_load_dword v2, v[4:5]
	v_add_co_ci_u32_e64 v15, null, s5, v19, vcc_lo
	s_waitcnt vmcnt(0) lgkmcnt(0)
	v_mul_f32_e32 v18, s0, v2
	v_add_co_u32 v2, vcc_lo, v14, v0
	v_add_co_ci_u32_e64 v3, null, v15, v1, vcc_lo
	v_fmac_f32_e32 v18, s1, v13
	flat_store_dword v[2:3], v18
	flat_load_dword v13, v[4:5] offset:64
	s_waitcnt vmcnt(0) lgkmcnt(0)
	v_mul_f32_e32 v13, s0, v13
	v_fmac_f32_e32 v13, s1, v12
	flat_store_dword v[2:3], v13 offset:64
	flat_load_dword v12, v[4:5] offset:128
	s_waitcnt vmcnt(0) lgkmcnt(0)
	v_mul_f32_e32 v12, s0, v12
	v_fmac_f32_e32 v12, s1, v11
	flat_store_dword v[2:3], v12 offset:128
	flat_load_dword v4, v[4:5] offset:192
	s_waitcnt vmcnt(0) lgkmcnt(0)
	v_mul_f32_e32 v11, s0, v4
	v_add_co_u32 v4, vcc_lo, v16, s2
	v_add_co_ci_u32_e64 v5, null, s3, v17, vcc_lo
	v_fmac_f32_e32 v11, s1, v10
	v_add_co_u32 v4, vcc_lo, v4, v0
	v_add_co_ci_u32_e64 v5, null, v5, v1, vcc_lo
	flat_store_dword v[2:3], v11 offset:192
	v_add_co_u32 v3, vcc_lo, v14, s4
	flat_load_dword v2, v[4:5]
	v_add_co_ci_u32_e64 v10, null, s5, v15, vcc_lo
	v_add_co_u32 v0, vcc_lo, v3, v0
	v_add_co_ci_u32_e64 v1, null, v10, v1, vcc_lo
	s_waitcnt vmcnt(0) lgkmcnt(0)
	v_mul_f32_e32 v2, s0, v2
	v_fmac_f32_e32 v2, s1, v9
	flat_store_dword v[0:1], v2
	flat_load_dword v2, v[4:5] offset:64
	s_waitcnt vmcnt(0) lgkmcnt(0)
	v_mul_f32_e32 v2, s0, v2
	v_fmac_f32_e32 v2, s1, v8
	flat_store_dword v[0:1], v2 offset:64
	flat_load_dword v2, v[4:5] offset:128
	s_waitcnt vmcnt(0) lgkmcnt(0)
	v_mul_f32_e32 v2, s0, v2
	v_fmac_f32_e32 v2, s1, v7
	flat_store_dword v[0:1], v2 offset:128
	;; [unrolled: 5-line block ×3, first 2 shown]
.LBB34_6:
	s_endpgm
.LBB34_7:
	s_branch .LBB34_5
	.section	.rodata,"a",@progbits
	.p2align	6, 0x0
	.amdhsa_kernel _ZN12_GLOBAL__N_127rocblas_gemm_batched_kernelIfLi16ELi16ELi64ELi64ELi4ELi64ELi4ELi4ELi64ELc67ELc78EKPKfS3_KPfEEvlllT_PT11_llS8_llS6_PT12_llPT13_lli
		.amdhsa_group_segment_fixed_size 2048
		.amdhsa_private_segment_fixed_size 0
		.amdhsa_kernarg_size 140
		.amdhsa_user_sgpr_count 6
		.amdhsa_user_sgpr_private_segment_buffer 1
		.amdhsa_user_sgpr_dispatch_ptr 0
		.amdhsa_user_sgpr_queue_ptr 0
		.amdhsa_user_sgpr_kernarg_segment_ptr 1
		.amdhsa_user_sgpr_dispatch_id 0
		.amdhsa_user_sgpr_flat_scratch_init 0
		.amdhsa_user_sgpr_private_segment_size 0
		.amdhsa_wavefront_size32 1
		.amdhsa_uses_dynamic_stack 0
		.amdhsa_system_sgpr_private_segment_wavefront_offset 0
		.amdhsa_system_sgpr_workgroup_id_x 1
		.amdhsa_system_sgpr_workgroup_id_y 1
		.amdhsa_system_sgpr_workgroup_id_z 1
		.amdhsa_system_sgpr_workgroup_info 0
		.amdhsa_system_vgpr_workitem_id 1
		.amdhsa_next_free_vgpr 58
		.amdhsa_next_free_sgpr 36
		.amdhsa_reserve_vcc 1
		.amdhsa_reserve_flat_scratch 0
		.amdhsa_float_round_mode_32 0
		.amdhsa_float_round_mode_16_64 0
		.amdhsa_float_denorm_mode_32 3
		.amdhsa_float_denorm_mode_16_64 3
		.amdhsa_dx10_clamp 1
		.amdhsa_ieee_mode 1
		.amdhsa_fp16_overflow 0
		.amdhsa_workgroup_processor_mode 1
		.amdhsa_memory_ordered 1
		.amdhsa_forward_progress 1
		.amdhsa_shared_vgpr_count 0
		.amdhsa_exception_fp_ieee_invalid_op 0
		.amdhsa_exception_fp_denorm_src 0
		.amdhsa_exception_fp_ieee_div_zero 0
		.amdhsa_exception_fp_ieee_overflow 0
		.amdhsa_exception_fp_ieee_underflow 0
		.amdhsa_exception_fp_ieee_inexact 0
		.amdhsa_exception_int_div_zero 0
	.end_amdhsa_kernel
	.section	.text._ZN12_GLOBAL__N_127rocblas_gemm_batched_kernelIfLi16ELi16ELi64ELi64ELi4ELi64ELi4ELi4ELi64ELc67ELc78EKPKfS3_KPfEEvlllT_PT11_llS8_llS6_PT12_llPT13_lli,"axG",@progbits,_ZN12_GLOBAL__N_127rocblas_gemm_batched_kernelIfLi16ELi16ELi64ELi64ELi4ELi64ELi4ELi4ELi64ELc67ELc78EKPKfS3_KPfEEvlllT_PT11_llS8_llS6_PT12_llPT13_lli,comdat
.Lfunc_end34:
	.size	_ZN12_GLOBAL__N_127rocblas_gemm_batched_kernelIfLi16ELi16ELi64ELi64ELi4ELi64ELi4ELi4ELi64ELc67ELc78EKPKfS3_KPfEEvlllT_PT11_llS8_llS6_PT12_llPT13_lli, .Lfunc_end34-_ZN12_GLOBAL__N_127rocblas_gemm_batched_kernelIfLi16ELi16ELi64ELi64ELi4ELi64ELi4ELi4ELi64ELc67ELc78EKPKfS3_KPfEEvlllT_PT11_llS8_llS6_PT12_llPT13_lli
                                        ; -- End function
	.set _ZN12_GLOBAL__N_127rocblas_gemm_batched_kernelIfLi16ELi16ELi64ELi64ELi4ELi64ELi4ELi4ELi64ELc67ELc78EKPKfS3_KPfEEvlllT_PT11_llS8_llS6_PT12_llPT13_lli.num_vgpr, 58
	.set _ZN12_GLOBAL__N_127rocblas_gemm_batched_kernelIfLi16ELi16ELi64ELi64ELi4ELi64ELi4ELi4ELi64ELc67ELc78EKPKfS3_KPfEEvlllT_PT11_llS8_llS6_PT12_llPT13_lli.num_agpr, 0
	.set _ZN12_GLOBAL__N_127rocblas_gemm_batched_kernelIfLi16ELi16ELi64ELi64ELi4ELi64ELi4ELi4ELi64ELc67ELc78EKPKfS3_KPfEEvlllT_PT11_llS8_llS6_PT12_llPT13_lli.numbered_sgpr, 36
	.set _ZN12_GLOBAL__N_127rocblas_gemm_batched_kernelIfLi16ELi16ELi64ELi64ELi4ELi64ELi4ELi4ELi64ELc67ELc78EKPKfS3_KPfEEvlllT_PT11_llS8_llS6_PT12_llPT13_lli.num_named_barrier, 0
	.set _ZN12_GLOBAL__N_127rocblas_gemm_batched_kernelIfLi16ELi16ELi64ELi64ELi4ELi64ELi4ELi4ELi64ELc67ELc78EKPKfS3_KPfEEvlllT_PT11_llS8_llS6_PT12_llPT13_lli.private_seg_size, 0
	.set _ZN12_GLOBAL__N_127rocblas_gemm_batched_kernelIfLi16ELi16ELi64ELi64ELi4ELi64ELi4ELi4ELi64ELc67ELc78EKPKfS3_KPfEEvlllT_PT11_llS8_llS6_PT12_llPT13_lli.uses_vcc, 1
	.set _ZN12_GLOBAL__N_127rocblas_gemm_batched_kernelIfLi16ELi16ELi64ELi64ELi4ELi64ELi4ELi4ELi64ELc67ELc78EKPKfS3_KPfEEvlllT_PT11_llS8_llS6_PT12_llPT13_lli.uses_flat_scratch, 0
	.set _ZN12_GLOBAL__N_127rocblas_gemm_batched_kernelIfLi16ELi16ELi64ELi64ELi4ELi64ELi4ELi4ELi64ELc67ELc78EKPKfS3_KPfEEvlllT_PT11_llS8_llS6_PT12_llPT13_lli.has_dyn_sized_stack, 0
	.set _ZN12_GLOBAL__N_127rocblas_gemm_batched_kernelIfLi16ELi16ELi64ELi64ELi4ELi64ELi4ELi4ELi64ELc67ELc78EKPKfS3_KPfEEvlllT_PT11_llS8_llS6_PT12_llPT13_lli.has_recursion, 0
	.set _ZN12_GLOBAL__N_127rocblas_gemm_batched_kernelIfLi16ELi16ELi64ELi64ELi4ELi64ELi4ELi4ELi64ELc67ELc78EKPKfS3_KPfEEvlllT_PT11_llS8_llS6_PT12_llPT13_lli.has_indirect_call, 0
	.section	.AMDGPU.csdata,"",@progbits
; Kernel info:
; codeLenInByte = 2332
; TotalNumSgprs: 38
; NumVgprs: 58
; ScratchSize: 0
; MemoryBound: 0
; FloatMode: 240
; IeeeMode: 1
; LDSByteSize: 2048 bytes/workgroup (compile time only)
; SGPRBlocks: 0
; VGPRBlocks: 7
; NumSGPRsForWavesPerEU: 38
; NumVGPRsForWavesPerEU: 58
; Occupancy: 16
; WaveLimiterHint : 1
; COMPUTE_PGM_RSRC2:SCRATCH_EN: 0
; COMPUTE_PGM_RSRC2:USER_SGPR: 6
; COMPUTE_PGM_RSRC2:TRAP_HANDLER: 0
; COMPUTE_PGM_RSRC2:TGID_X_EN: 1
; COMPUTE_PGM_RSRC2:TGID_Y_EN: 1
; COMPUTE_PGM_RSRC2:TGID_Z_EN: 1
; COMPUTE_PGM_RSRC2:TIDIG_COMP_CNT: 1
	.section	.text._ZN12_GLOBAL__N_127rocblas_gemm_batched_kernelIfLi16ELi16ELi64ELi64ELi4ELi64ELi4ELi4ELi64ELc67ELc84EKPKfS3_KPfEEvlllT_PT11_llS8_llS6_PT12_llPT13_lli,"axG",@progbits,_ZN12_GLOBAL__N_127rocblas_gemm_batched_kernelIfLi16ELi16ELi64ELi64ELi4ELi64ELi4ELi4ELi64ELc67ELc84EKPKfS3_KPfEEvlllT_PT11_llS8_llS6_PT12_llPT13_lli,comdat
	.globl	_ZN12_GLOBAL__N_127rocblas_gemm_batched_kernelIfLi16ELi16ELi64ELi64ELi4ELi64ELi4ELi4ELi64ELc67ELc84EKPKfS3_KPfEEvlllT_PT11_llS8_llS6_PT12_llPT13_lli ; -- Begin function _ZN12_GLOBAL__N_127rocblas_gemm_batched_kernelIfLi16ELi16ELi64ELi64ELi4ELi64ELi4ELi4ELi64ELc67ELc84EKPKfS3_KPfEEvlllT_PT11_llS8_llS6_PT12_llPT13_lli
	.p2align	8
	.type	_ZN12_GLOBAL__N_127rocblas_gemm_batched_kernelIfLi16ELi16ELi64ELi64ELi4ELi64ELi4ELi4ELi64ELc67ELc84EKPKfS3_KPfEEvlllT_PT11_llS8_llS6_PT12_llPT13_lli,@function
_ZN12_GLOBAL__N_127rocblas_gemm_batched_kernelIfLi16ELi16ELi64ELi64ELi4ELi64ELi4ELi4ELi64ELc67ELc84EKPKfS3_KPfEEvlllT_PT11_llS8_llS6_PT12_llPT13_lli: ; @_ZN12_GLOBAL__N_127rocblas_gemm_batched_kernelIfLi16ELi16ELi64ELi64ELi4ELi64ELi4ELi4ELi64ELc67ELc84EKPKfS3_KPfEEvlllT_PT11_llS8_llS6_PT12_llPT13_lli
; %bb.0:
	s_clause 0x1
	s_load_dwordx8 s[12:19], s[4:5], 0x58
	s_load_dwordx2 s[28:29], s[4:5], 0x10
	s_mov_b32 s9, 0
	s_mov_b32 s0, s7
	s_lshl_b64 s[34:35], s[8:9], 3
	s_load_dwordx4 s[8:11], s[4:5], 0x78
	v_mov_b32_e32 v18, 0
	v_mov_b32_e32 v21, 0
	;; [unrolled: 1-line block ×14, first 2 shown]
	s_waitcnt lgkmcnt(0)
	s_add_u32 s2, s12, s34
	s_addc_u32 s3, s13, s35
	s_add_u32 s18, s18, s34
	s_addc_u32 s19, s19, s35
	s_load_dwordx2 s[12:13], s[2:3], 0x0
	s_load_dwordx2 s[18:19], s[18:19], 0x0
	v_cmp_lt_i64_e64 s20, s[28:29], 1
	v_mov_b32_e32 v2, 0
	v_mov_b32_e32 v3, 0
	s_ashr_i32 s7, s6, 31
	s_ashr_i32 s1, s0, 31
	s_lshl_b64 s[6:7], s[6:7], 6
	s_and_b32 vcc_lo, exec_lo, s20
	s_lshl_b64 s[30:31], s[0:1], 6
	s_cbranch_vccnz .LBB35_3
; %bb.1:
	s_clause 0x1
	s_load_dwordx8 s[20:27], s[4:5], 0x20
	s_load_dwordx4 s[0:3], s[4:5], 0x40
	v_lshlrev_b32_e32 v8, 4, v1
	v_and_b32_e32 v10, 3, v0
	v_mov_b32_e32 v3, 0
	v_lshlrev_b32_e32 v22, 2, v0
	v_add_nc_u32_e32 v9, v8, v0
	v_lshlrev_b32_e32 v12, 2, v10
	v_add_nc_u32_e32 v23, 0x400, v8
	v_mov_b32_e32 v16, v3
	v_mov_b32_e32 v17, v3
	v_and_b32_e32 v11, 63, v9
	v_lshrrev_b32_e32 v2, 2, v9
	v_lshrrev_b32_e32 v9, 6, v9
	v_mov_b32_e32 v19, v3
	v_mov_b32_e32 v20, v3
	v_add_co_u32 v6, s33, s6, v11
	v_add_co_ci_u32_e64 v7, null, s7, 0, s33
	s_waitcnt lgkmcnt(0)
	s_add_u32 s20, s20, s34
	s_addc_u32 s21, s21, s35
	s_add_u32 s26, s26, s34
	s_addc_u32 s27, s27, s35
	v_mad_u64_u32 v[4:5], null, s0, v10, v[2:3]
	s_load_dwordx2 s[26:27], s[26:27], 0x0
	v_mul_lo_u32 v13, s23, v6
	v_mul_lo_u32 v14, s22, v7
	v_mad_u64_u32 v[6:7], null, s22, v6, 0
	v_lshlrev_b32_e32 v11, 2, v11
	v_lshl_or_b32 v12, v2, 4, v12
	v_mov_b32_e32 v2, v5
	v_lshlrev_b32_e32 v15, 2, v9
	s_load_dwordx2 s[20:21], s[20:21], 0x0
	v_lshl_or_b32 v24, v9, 8, v11
	v_add3_u32 v7, v7, v14, v13
	v_mad_u64_u32 v[8:9], null, s1, v10, v[2:3]
	s_lshl_b64 s[2:3], s[2:3], 2
	v_add_nc_u32_e32 v25, 0x400, v12
	v_lshlrev_b64 v[5:6], 2, v[6:7]
	v_add_co_u32 v7, vcc_lo, v4, s30
	v_mov_b32_e32 v9, v3
	v_add_co_ci_u32_e64 v8, null, s31, v8, vcc_lo
	s_waitcnt lgkmcnt(0)
	s_add_u32 s22, s26, s2
	s_addc_u32 s23, s27, s3
	s_lshl_b64 s[2:3], s[24:25], 2
	v_mov_b32_e32 v10, v3
	v_add_co_u32 v2, vcc_lo, v5, s2
	v_add_co_ci_u32_e64 v6, null, s3, v6, vcc_lo
	v_lshlrev_b64 v[4:5], 2, v[7:8]
	v_add_co_u32 v2, vcc_lo, v2, v15
	v_add_co_ci_u32_e64 v7, null, 0, v6, vcc_lo
	v_mov_b32_e32 v8, v3
	v_add_co_u32 v4, vcc_lo, s22, v4
	v_add_co_ci_u32_e64 v5, null, s23, v5, vcc_lo
	v_add_co_u32 v6, vcc_lo, s20, v2
	v_add_co_ci_u32_e64 v7, null, s21, v7, vcc_lo
	v_mov_b32_e32 v2, v3
	v_mov_b32_e32 v11, v3
	;; [unrolled: 1-line block ×8, first 2 shown]
	s_lshl_b64 s[2:3], s[0:1], 4
	s_mov_b64 s[20:21], 0
.LBB35_2:                               ; =>This Inner Loop Header: Depth=1
	flat_load_dword v26, v[6:7]
	s_add_u32 s20, s20, 4
	s_addc_u32 s21, s21, 0
	v_add_co_u32 v6, vcc_lo, v6, 16
	v_cmp_lt_i64_e64 s0, s[20:21], s[28:29]
	v_add_co_ci_u32_e64 v7, null, 0, v7, vcc_lo
	s_and_b32 vcc_lo, exec_lo, s0
	s_waitcnt vmcnt(0) lgkmcnt(0)
	ds_write_b32 v24, v26
	flat_load_dword v26, v[4:5]
	v_add_co_u32 v4, s0, v4, s2
	v_add_co_ci_u32_e64 v5, null, s3, v5, s0
	s_waitcnt vmcnt(0) lgkmcnt(0)
	ds_write_b32 v25, v26
	s_waitcnt lgkmcnt(0)
	s_barrier
	buffer_gl0_inv
	ds_read_b128 v[26:29], v23
	ds_read2_b32 v[42:43], v22 offset1:16
	ds_read2_b32 v[44:45], v22 offset0:32 offset1:48
	ds_read_b128 v[30:33], v23 offset:256
	ds_read_b128 v[34:37], v23 offset:512
	;; [unrolled: 1-line block ×3, first 2 shown]
	ds_read2_b32 v[46:47], v22 offset0:64 offset1:80
	ds_read2_b32 v[48:49], v22 offset0:96 offset1:112
	;; [unrolled: 1-line block ×6, first 2 shown]
	s_waitcnt lgkmcnt(0)
	s_barrier
	buffer_gl0_inv
	v_fmac_f32_e32 v18, v42, v26
	v_fmac_f32_e32 v21, v43, v26
	;; [unrolled: 1-line block ×64, first 2 shown]
	s_cbranch_vccnz .LBB35_2
.LBB35_3:
	s_clause 0x1
	s_load_dword s0, s[4:5], 0x50
	s_load_dword s1, s[4:5], 0x18
	v_add_co_u32 v4, s4, s30, v1
	v_add_co_ci_u32_e64 v7, null, s31, 0, s4
	v_add_co_u32 v0, s4, s6, v0
	v_add_co_ci_u32_e64 v1, null, s7, 0, s4
	v_mul_lo_u32 v5, v7, s8
	v_mul_lo_u32 v6, v4, s9
	s_lshl_b64 s[2:3], s[10:11], 2
	v_lshlrev_b64 v[0:1], 2, v[0:1]
	s_waitcnt lgkmcnt(0)
	s_add_u32 s2, s18, s2
	s_addc_u32 s3, s19, s3
	v_cmp_neq_f32_e64 s4, s0, 0
	s_and_b32 vcc_lo, exec_lo, s4
	s_mov_b32 s4, 0
	s_cbranch_vccnz .LBB35_7
; %bb.4:
	v_mad_u64_u32 v[22:23], null, v4, s8, 0
	s_lshl_b64 s[6:7], s[8:9], 6
	v_mul_f32_e32 v26, s1, v18
	v_mul_f32_e32 v27, s1, v21
	;; [unrolled: 1-line block ×5, first 2 shown]
	v_add3_u32 v23, v23, v6, v5
	v_mul_f32_e32 v31, s1, v16
	v_mul_f32_e32 v32, s1, v15
	;; [unrolled: 1-line block ×3, first 2 shown]
	v_lshlrev_b64 v[22:23], 2, v[22:23]
	v_add_co_u32 v22, vcc_lo, s2, v22
	v_add_co_ci_u32_e64 v23, null, s3, v23, vcc_lo
	v_add_co_u32 v34, vcc_lo, v22, s6
	v_add_co_ci_u32_e64 v35, null, s7, v23, vcc_lo
	;; [unrolled: 2-line block ×4, first 2 shown]
	flat_store_dword v[22:23], v26
	flat_store_dword v[22:23], v27 offset:64
	flat_store_dword v[22:23], v28 offset:128
	;; [unrolled: 1-line block ×3, first 2 shown]
	flat_store_dword v[24:25], v30
	flat_store_dword v[24:25], v31 offset:64
	v_add_co_u32 v26, vcc_lo, v34, s6
	v_add_co_ci_u32_e64 v27, null, s7, v35, vcc_lo
	v_mul_f32_e32 v28, s1, v13
	v_add_co_u32 v22, vcc_lo, v26, v0
	v_add_co_ci_u32_e64 v23, null, v27, v1, vcc_lo
	v_mul_f32_e32 v29, s1, v12
	v_mul_f32_e32 v30, s1, v11
	flat_store_dword v[24:25], v32 offset:128
	flat_store_dword v[24:25], v33 offset:192
	flat_store_dword v[22:23], v28
	flat_store_dword v[22:23], v29 offset:64
	flat_store_dword v[22:23], v30 offset:128
	v_add_co_u32 v24, vcc_lo, v26, s6
	v_add_co_ci_u32_e64 v25, null, s7, v27, vcc_lo
	v_mul_f32_e32 v28, s1, v10
	v_add_co_u32 v24, vcc_lo, v24, v0
	v_mul_f32_e32 v26, s1, v9
	v_add_co_ci_u32_e64 v25, null, v25, v1, vcc_lo
	v_mul_f32_e32 v27, s1, v8
	v_mul_f32_e32 v29, s1, v2
	;; [unrolled: 1-line block ×3, first 2 shown]
	flat_store_dword v[22:23], v28 offset:192
	flat_store_dword v[24:25], v26
	flat_store_dword v[24:25], v27 offset:64
	flat_store_dword v[24:25], v29 offset:128
	;; [unrolled: 1-line block ×3, first 2 shown]
	s_andn2_b32 vcc_lo, exec_lo, s4
	s_cbranch_vccnz .LBB35_6
.LBB35_5:
	v_mul_lo_u32 v7, v7, s14
	v_mul_lo_u32 v24, v4, s15
	v_mad_u64_u32 v[22:23], null, v4, s14, 0
	s_lshl_b64 s[4:5], s[16:17], 2
	s_add_u32 s4, s12, s4
	s_addc_u32 s5, s13, s5
	v_add3_u32 v23, v23, v24, v7
	v_mad_u64_u32 v[24:25], null, v4, s8, 0
	v_lshlrev_b64 v[22:23], 2, v[22:23]
	v_add3_u32 v25, v25, v6, v5
	v_add_co_u32 v7, vcc_lo, s4, v22
	v_add_co_ci_u32_e64 v26, null, s5, v23, vcc_lo
	v_lshlrev_b64 v[4:5], 2, v[24:25]
	v_add_co_u32 v22, vcc_lo, v7, v0
	v_add_co_ci_u32_e64 v23, null, v26, v1, vcc_lo
	s_lshl_b64 s[4:5], s[8:9], 6
	v_add_co_u32 v24, vcc_lo, s2, v4
	flat_load_dword v27, v[22:23]
	v_add_co_ci_u32_e64 v25, null, s3, v5, vcc_lo
	v_add_co_u32 v4, vcc_lo, v24, v0
	s_lshl_b64 s[2:3], s[14:15], 6
	v_add_co_ci_u32_e64 v5, null, v25, v1, vcc_lo
	s_waitcnt vmcnt(0) lgkmcnt(0)
	v_mul_f32_e32 v6, s0, v27
	v_fmac_f32_e32 v6, s1, v18
	flat_store_dword v[4:5], v6
	flat_load_dword v6, v[22:23] offset:64
	s_waitcnt vmcnt(0) lgkmcnt(0)
	v_mul_f32_e32 v6, s0, v6
	v_fmac_f32_e32 v6, s1, v21
	flat_store_dword v[4:5], v6 offset:64
	flat_load_dword v6, v[22:23] offset:128
	s_waitcnt vmcnt(0) lgkmcnt(0)
	v_mul_f32_e32 v6, s0, v6
	v_fmac_f32_e32 v6, s1, v20
	v_add_co_u32 v20, vcc_lo, v7, s2
	v_add_co_ci_u32_e64 v21, null, s3, v26, vcc_lo
	flat_store_dword v[4:5], v6 offset:128
	flat_load_dword v6, v[22:23] offset:192
	s_waitcnt vmcnt(0) lgkmcnt(0)
	v_mul_f32_e32 v18, s0, v6
	v_add_co_u32 v6, vcc_lo, v20, v0
	v_add_co_ci_u32_e64 v7, null, v21, v1, vcc_lo
	v_fmac_f32_e32 v18, s1, v19
	flat_store_dword v[4:5], v18 offset:192
	flat_load_dword v4, v[6:7]
	v_add_co_u32 v18, vcc_lo, v24, s4
	v_add_co_ci_u32_e64 v19, null, s5, v25, vcc_lo
	s_waitcnt vmcnt(0) lgkmcnt(0)
	v_mul_f32_e32 v22, s0, v4
	v_add_co_u32 v4, vcc_lo, v18, v0
	v_add_co_ci_u32_e64 v5, null, v19, v1, vcc_lo
	v_fmac_f32_e32 v22, s1, v17
	flat_store_dword v[4:5], v22
	flat_load_dword v17, v[6:7] offset:64
	s_waitcnt vmcnt(0) lgkmcnt(0)
	v_mul_f32_e32 v17, s0, v17
	v_fmac_f32_e32 v17, s1, v16
	flat_store_dword v[4:5], v17 offset:64
	flat_load_dword v16, v[6:7] offset:128
	s_waitcnt vmcnt(0) lgkmcnt(0)
	v_mul_f32_e32 v16, s0, v16
	v_fmac_f32_e32 v16, s1, v15
	flat_store_dword v[4:5], v16 offset:128
	flat_load_dword v6, v[6:7] offset:192
	v_add_co_u32 v16, vcc_lo, v20, s2
	v_add_co_ci_u32_e64 v17, null, s3, v21, vcc_lo
	s_waitcnt vmcnt(0) lgkmcnt(0)
	v_mul_f32_e32 v15, s0, v6
	v_add_co_u32 v6, vcc_lo, v16, v0
	v_add_co_ci_u32_e64 v7, null, v17, v1, vcc_lo
	v_fmac_f32_e32 v15, s1, v14
	v_add_co_u32 v14, vcc_lo, v18, s4
	flat_store_dword v[4:5], v15 offset:192
	flat_load_dword v4, v[6:7]
	v_add_co_ci_u32_e64 v15, null, s5, v19, vcc_lo
	s_waitcnt vmcnt(0) lgkmcnt(0)
	v_mul_f32_e32 v18, s0, v4
	v_add_co_u32 v4, vcc_lo, v14, v0
	v_add_co_ci_u32_e64 v5, null, v15, v1, vcc_lo
	v_fmac_f32_e32 v18, s1, v13
	flat_store_dword v[4:5], v18
	flat_load_dword v13, v[6:7] offset:64
	s_waitcnt vmcnt(0) lgkmcnt(0)
	v_mul_f32_e32 v13, s0, v13
	v_fmac_f32_e32 v13, s1, v12
	flat_store_dword v[4:5], v13 offset:64
	flat_load_dword v12, v[6:7] offset:128
	s_waitcnt vmcnt(0) lgkmcnt(0)
	v_mul_f32_e32 v12, s0, v12
	v_fmac_f32_e32 v12, s1, v11
	flat_store_dword v[4:5], v12 offset:128
	flat_load_dword v6, v[6:7] offset:192
	s_waitcnt vmcnt(0) lgkmcnt(0)
	v_mul_f32_e32 v11, s0, v6
	v_add_co_u32 v6, vcc_lo, v16, s2
	v_add_co_ci_u32_e64 v7, null, s3, v17, vcc_lo
	v_fmac_f32_e32 v11, s1, v10
	v_add_co_u32 v6, vcc_lo, v6, v0
	v_add_co_ci_u32_e64 v7, null, v7, v1, vcc_lo
	flat_store_dword v[4:5], v11 offset:192
	v_add_co_u32 v5, vcc_lo, v14, s4
	flat_load_dword v4, v[6:7]
	v_add_co_ci_u32_e64 v10, null, s5, v15, vcc_lo
	v_add_co_u32 v0, vcc_lo, v5, v0
	v_add_co_ci_u32_e64 v1, null, v10, v1, vcc_lo
	s_waitcnt vmcnt(0) lgkmcnt(0)
	v_mul_f32_e32 v4, s0, v4
	v_fmac_f32_e32 v4, s1, v9
	flat_store_dword v[0:1], v4
	flat_load_dword v4, v[6:7] offset:64
	s_waitcnt vmcnt(0) lgkmcnt(0)
	v_mul_f32_e32 v4, s0, v4
	v_fmac_f32_e32 v4, s1, v8
	flat_store_dword v[0:1], v4 offset:64
	flat_load_dword v4, v[6:7] offset:128
	s_waitcnt vmcnt(0) lgkmcnt(0)
	v_mul_f32_e32 v4, s0, v4
	v_fmac_f32_e32 v4, s1, v2
	flat_store_dword v[0:1], v4 offset:128
	;; [unrolled: 5-line block ×3, first 2 shown]
.LBB35_6:
	s_endpgm
.LBB35_7:
	s_branch .LBB35_5
	.section	.rodata,"a",@progbits
	.p2align	6, 0x0
	.amdhsa_kernel _ZN12_GLOBAL__N_127rocblas_gemm_batched_kernelIfLi16ELi16ELi64ELi64ELi4ELi64ELi4ELi4ELi64ELc67ELc84EKPKfS3_KPfEEvlllT_PT11_llS8_llS6_PT12_llPT13_lli
		.amdhsa_group_segment_fixed_size 2048
		.amdhsa_private_segment_fixed_size 0
		.amdhsa_kernarg_size 140
		.amdhsa_user_sgpr_count 6
		.amdhsa_user_sgpr_private_segment_buffer 1
		.amdhsa_user_sgpr_dispatch_ptr 0
		.amdhsa_user_sgpr_queue_ptr 0
		.amdhsa_user_sgpr_kernarg_segment_ptr 1
		.amdhsa_user_sgpr_dispatch_id 0
		.amdhsa_user_sgpr_flat_scratch_init 0
		.amdhsa_user_sgpr_private_segment_size 0
		.amdhsa_wavefront_size32 1
		.amdhsa_uses_dynamic_stack 0
		.amdhsa_system_sgpr_private_segment_wavefront_offset 0
		.amdhsa_system_sgpr_workgroup_id_x 1
		.amdhsa_system_sgpr_workgroup_id_y 1
		.amdhsa_system_sgpr_workgroup_id_z 1
		.amdhsa_system_sgpr_workgroup_info 0
		.amdhsa_system_vgpr_workitem_id 1
		.amdhsa_next_free_vgpr 58
		.amdhsa_next_free_sgpr 36
		.amdhsa_reserve_vcc 1
		.amdhsa_reserve_flat_scratch 0
		.amdhsa_float_round_mode_32 0
		.amdhsa_float_round_mode_16_64 0
		.amdhsa_float_denorm_mode_32 3
		.amdhsa_float_denorm_mode_16_64 3
		.amdhsa_dx10_clamp 1
		.amdhsa_ieee_mode 1
		.amdhsa_fp16_overflow 0
		.amdhsa_workgroup_processor_mode 1
		.amdhsa_memory_ordered 1
		.amdhsa_forward_progress 1
		.amdhsa_shared_vgpr_count 0
		.amdhsa_exception_fp_ieee_invalid_op 0
		.amdhsa_exception_fp_denorm_src 0
		.amdhsa_exception_fp_ieee_div_zero 0
		.amdhsa_exception_fp_ieee_overflow 0
		.amdhsa_exception_fp_ieee_underflow 0
		.amdhsa_exception_fp_ieee_inexact 0
		.amdhsa_exception_int_div_zero 0
	.end_amdhsa_kernel
	.section	.text._ZN12_GLOBAL__N_127rocblas_gemm_batched_kernelIfLi16ELi16ELi64ELi64ELi4ELi64ELi4ELi4ELi64ELc67ELc84EKPKfS3_KPfEEvlllT_PT11_llS8_llS6_PT12_llPT13_lli,"axG",@progbits,_ZN12_GLOBAL__N_127rocblas_gemm_batched_kernelIfLi16ELi16ELi64ELi64ELi4ELi64ELi4ELi4ELi64ELc67ELc84EKPKfS3_KPfEEvlllT_PT11_llS8_llS6_PT12_llPT13_lli,comdat
.Lfunc_end35:
	.size	_ZN12_GLOBAL__N_127rocblas_gemm_batched_kernelIfLi16ELi16ELi64ELi64ELi4ELi64ELi4ELi4ELi64ELc67ELc84EKPKfS3_KPfEEvlllT_PT11_llS8_llS6_PT12_llPT13_lli, .Lfunc_end35-_ZN12_GLOBAL__N_127rocblas_gemm_batched_kernelIfLi16ELi16ELi64ELi64ELi4ELi64ELi4ELi4ELi64ELc67ELc84EKPKfS3_KPfEEvlllT_PT11_llS8_llS6_PT12_llPT13_lli
                                        ; -- End function
	.set _ZN12_GLOBAL__N_127rocblas_gemm_batched_kernelIfLi16ELi16ELi64ELi64ELi4ELi64ELi4ELi4ELi64ELc67ELc84EKPKfS3_KPfEEvlllT_PT11_llS8_llS6_PT12_llPT13_lli.num_vgpr, 58
	.set _ZN12_GLOBAL__N_127rocblas_gemm_batched_kernelIfLi16ELi16ELi64ELi64ELi4ELi64ELi4ELi4ELi64ELc67ELc84EKPKfS3_KPfEEvlllT_PT11_llS8_llS6_PT12_llPT13_lli.num_agpr, 0
	.set _ZN12_GLOBAL__N_127rocblas_gemm_batched_kernelIfLi16ELi16ELi64ELi64ELi4ELi64ELi4ELi4ELi64ELc67ELc84EKPKfS3_KPfEEvlllT_PT11_llS8_llS6_PT12_llPT13_lli.numbered_sgpr, 36
	.set _ZN12_GLOBAL__N_127rocblas_gemm_batched_kernelIfLi16ELi16ELi64ELi64ELi4ELi64ELi4ELi4ELi64ELc67ELc84EKPKfS3_KPfEEvlllT_PT11_llS8_llS6_PT12_llPT13_lli.num_named_barrier, 0
	.set _ZN12_GLOBAL__N_127rocblas_gemm_batched_kernelIfLi16ELi16ELi64ELi64ELi4ELi64ELi4ELi4ELi64ELc67ELc84EKPKfS3_KPfEEvlllT_PT11_llS8_llS6_PT12_llPT13_lli.private_seg_size, 0
	.set _ZN12_GLOBAL__N_127rocblas_gemm_batched_kernelIfLi16ELi16ELi64ELi64ELi4ELi64ELi4ELi4ELi64ELc67ELc84EKPKfS3_KPfEEvlllT_PT11_llS8_llS6_PT12_llPT13_lli.uses_vcc, 1
	.set _ZN12_GLOBAL__N_127rocblas_gemm_batched_kernelIfLi16ELi16ELi64ELi64ELi4ELi64ELi4ELi4ELi64ELc67ELc84EKPKfS3_KPfEEvlllT_PT11_llS8_llS6_PT12_llPT13_lli.uses_flat_scratch, 0
	.set _ZN12_GLOBAL__N_127rocblas_gemm_batched_kernelIfLi16ELi16ELi64ELi64ELi4ELi64ELi4ELi4ELi64ELc67ELc84EKPKfS3_KPfEEvlllT_PT11_llS8_llS6_PT12_llPT13_lli.has_dyn_sized_stack, 0
	.set _ZN12_GLOBAL__N_127rocblas_gemm_batched_kernelIfLi16ELi16ELi64ELi64ELi4ELi64ELi4ELi4ELi64ELc67ELc84EKPKfS3_KPfEEvlllT_PT11_llS8_llS6_PT12_llPT13_lli.has_recursion, 0
	.set _ZN12_GLOBAL__N_127rocblas_gemm_batched_kernelIfLi16ELi16ELi64ELi64ELi4ELi64ELi4ELi4ELi64ELc67ELc84EKPKfS3_KPfEEvlllT_PT11_llS8_llS6_PT12_llPT13_lli.has_indirect_call, 0
	.section	.AMDGPU.csdata,"",@progbits
; Kernel info:
; codeLenInByte = 2300
; TotalNumSgprs: 38
; NumVgprs: 58
; ScratchSize: 0
; MemoryBound: 0
; FloatMode: 240
; IeeeMode: 1
; LDSByteSize: 2048 bytes/workgroup (compile time only)
; SGPRBlocks: 0
; VGPRBlocks: 7
; NumSGPRsForWavesPerEU: 38
; NumVGPRsForWavesPerEU: 58
; Occupancy: 16
; WaveLimiterHint : 1
; COMPUTE_PGM_RSRC2:SCRATCH_EN: 0
; COMPUTE_PGM_RSRC2:USER_SGPR: 6
; COMPUTE_PGM_RSRC2:TRAP_HANDLER: 0
; COMPUTE_PGM_RSRC2:TGID_X_EN: 1
; COMPUTE_PGM_RSRC2:TGID_Y_EN: 1
; COMPUTE_PGM_RSRC2:TGID_Z_EN: 1
; COMPUTE_PGM_RSRC2:TIDIG_COMP_CNT: 1
	.section	.text._ZN12_GLOBAL__N_127rocblas_gemm_batched_kernelIfLi16ELi16ELi64ELi64ELi4ELi64ELi4ELi4ELi64ELc78ELc67EKPKfS3_KPfEEvlllT_PT11_llS8_llS6_PT12_llPT13_lli,"axG",@progbits,_ZN12_GLOBAL__N_127rocblas_gemm_batched_kernelIfLi16ELi16ELi64ELi64ELi4ELi64ELi4ELi4ELi64ELc78ELc67EKPKfS3_KPfEEvlllT_PT11_llS8_llS6_PT12_llPT13_lli,comdat
	.globl	_ZN12_GLOBAL__N_127rocblas_gemm_batched_kernelIfLi16ELi16ELi64ELi64ELi4ELi64ELi4ELi4ELi64ELc78ELc67EKPKfS3_KPfEEvlllT_PT11_llS8_llS6_PT12_llPT13_lli ; -- Begin function _ZN12_GLOBAL__N_127rocblas_gemm_batched_kernelIfLi16ELi16ELi64ELi64ELi4ELi64ELi4ELi4ELi64ELc78ELc67EKPKfS3_KPfEEvlllT_PT11_llS8_llS6_PT12_llPT13_lli
	.p2align	8
	.type	_ZN12_GLOBAL__N_127rocblas_gemm_batched_kernelIfLi16ELi16ELi64ELi64ELi4ELi64ELi4ELi4ELi64ELc78ELc67EKPKfS3_KPfEEvlllT_PT11_llS8_llS6_PT12_llPT13_lli,@function
_ZN12_GLOBAL__N_127rocblas_gemm_batched_kernelIfLi16ELi16ELi64ELi64ELi4ELi64ELi4ELi4ELi64ELc78ELc67EKPKfS3_KPfEEvlllT_PT11_llS8_llS6_PT12_llPT13_lli: ; @_ZN12_GLOBAL__N_127rocblas_gemm_batched_kernelIfLi16ELi16ELi64ELi64ELi4ELi64ELi4ELi4ELi64ELc78ELc67EKPKfS3_KPfEEvlllT_PT11_llS8_llS6_PT12_llPT13_lli
; %bb.0:
	s_clause 0x1
	s_load_dwordx8 s[12:19], s[4:5], 0x58
	s_load_dwordx2 s[28:29], s[4:5], 0x10
	s_mov_b32 s9, 0
	s_mov_b32 s0, s7
	s_lshl_b64 s[34:35], s[8:9], 3
	s_load_dwordx4 s[8:11], s[4:5], 0x78
	v_mov_b32_e32 v18, 0
	v_mov_b32_e32 v21, 0
	;; [unrolled: 1-line block ×14, first 2 shown]
	s_waitcnt lgkmcnt(0)
	s_add_u32 s2, s12, s34
	s_addc_u32 s3, s13, s35
	s_add_u32 s18, s18, s34
	s_addc_u32 s19, s19, s35
	s_load_dwordx2 s[12:13], s[2:3], 0x0
	s_load_dwordx2 s[18:19], s[18:19], 0x0
	v_cmp_lt_i64_e64 s20, s[28:29], 1
	v_mov_b32_e32 v2, 0
	v_mov_b32_e32 v3, 0
	s_ashr_i32 s7, s6, 31
	s_ashr_i32 s1, s0, 31
	s_lshl_b64 s[6:7], s[6:7], 6
	s_and_b32 vcc_lo, exec_lo, s20
	s_lshl_b64 s[30:31], s[0:1], 6
	s_cbranch_vccnz .LBB36_3
; %bb.1:
	s_clause 0x1
	s_load_dwordx8 s[20:27], s[4:5], 0x20
	s_load_dwordx4 s[0:3], s[4:5], 0x40
	v_lshlrev_b32_e32 v8, 4, v1
	v_and_b32_e32 v9, 3, v0
	v_mov_b32_e32 v3, 0
	v_lshlrev_b32_e32 v22, 2, v0
	v_add_nc_u32_e32 v4, v8, v0
	v_lshlrev_b32_e32 v11, 2, v9
	v_add_nc_u32_e32 v23, 0x400, v8
	v_mov_b32_e32 v14, v3
	v_mov_b32_e32 v15, v3
	v_lshrrev_b32_e32 v2, 2, v4
	v_lshrrev_b32_e32 v12, 6, v4
	v_and_b32_e32 v10, 63, v4
	v_mov_b32_e32 v16, v3
	v_mov_b32_e32 v17, v3
	v_lshl_or_b32 v11, v2, 4, v11
	v_mov_b32_e32 v19, v3
	v_lshlrev_b32_e32 v13, 2, v10
	s_waitcnt lgkmcnt(0)
	v_mad_u64_u32 v[6:7], null, s22, v12, s[6:7]
	v_mad_u64_u32 v[4:5], null, s0, v9, v[2:3]
	s_add_u32 s20, s20, s34
	s_addc_u32 s21, s21, s35
	s_add_u32 s26, s26, s34
	s_addc_u32 s27, s27, s35
	s_load_dwordx2 s[20:21], s[20:21], 0x0
	s_load_dwordx2 s[26:27], s[26:27], 0x0
	v_mov_b32_e32 v2, v5
	v_mov_b32_e32 v5, v7
	v_add_co_u32 v4, vcc_lo, v4, s30
	s_lshl_b64 s[2:3], s[2:3], 2
	v_mad_u64_u32 v[7:8], null, s1, v9, v[2:3]
	v_mad_u64_u32 v[8:9], null, s23, v12, v[5:6]
	v_lshl_or_b32 v24, v12, 8, v13
	v_add_nc_u32_e32 v25, 0x400, v11
	v_mov_b32_e32 v2, v3
	v_mov_b32_e32 v9, v3
	v_add_co_ci_u32_e64 v5, null, s31, v7, vcc_lo
	v_add_co_u32 v6, vcc_lo, v6, v10
	v_add_co_ci_u32_e64 v7, null, 0, v8, vcc_lo
	v_lshlrev_b64 v[4:5], 2, v[4:5]
	s_waitcnt lgkmcnt(0)
	s_add_u32 s26, s26, s2
	s_addc_u32 s27, s27, s3
	v_lshlrev_b64 v[6:7], 2, v[6:7]
	s_lshl_b64 s[2:3], s[0:1], 4
	s_lshl_b64 s[0:1], s[24:25], 2
	v_add_co_u32 v4, vcc_lo, s26, v4
	s_add_u32 s0, s20, s0
	s_addc_u32 s1, s21, s1
	v_add_co_ci_u32_e64 v5, null, s27, v5, vcc_lo
	v_add_co_u32 v6, vcc_lo, s0, v6
	v_add_co_ci_u32_e64 v7, null, s1, v7, vcc_lo
	v_mov_b32_e32 v8, v3
	v_mov_b32_e32 v10, v3
	v_mov_b32_e32 v11, v3
	v_mov_b32_e32 v12, v3
	v_mov_b32_e32 v13, v3
	v_mov_b32_e32 v20, v3
	v_mov_b32_e32 v21, v3
	v_mov_b32_e32 v18, v3
	s_lshl_b64 s[20:21], s[22:23], 4
	s_mov_b64 s[22:23], 0
.LBB36_2:                               ; =>This Inner Loop Header: Depth=1
	flat_load_dword v26, v[6:7]
	s_add_u32 s22, s22, 4
	s_addc_u32 s23, s23, 0
	v_add_co_u32 v6, vcc_lo, v6, s20
	v_cmp_lt_i64_e64 s0, s[22:23], s[28:29]
	v_add_co_ci_u32_e64 v7, null, s21, v7, vcc_lo
	s_and_b32 vcc_lo, exec_lo, s0
	s_waitcnt vmcnt(0) lgkmcnt(0)
	ds_write_b32 v24, v26
	flat_load_dword v26, v[4:5]
	v_add_co_u32 v4, s0, v4, s2
	v_add_co_ci_u32_e64 v5, null, s3, v5, s0
	s_waitcnt vmcnt(0) lgkmcnt(0)
	ds_write_b32 v25, v26
	s_waitcnt lgkmcnt(0)
	s_barrier
	buffer_gl0_inv
	ds_read_b128 v[26:29], v23
	ds_read2_b32 v[42:43], v22 offset1:16
	ds_read2_b32 v[44:45], v22 offset0:32 offset1:48
	ds_read_b128 v[30:33], v23 offset:256
	ds_read_b128 v[34:37], v23 offset:512
	;; [unrolled: 1-line block ×3, first 2 shown]
	ds_read2_b32 v[46:47], v22 offset0:64 offset1:80
	ds_read2_b32 v[48:49], v22 offset0:96 offset1:112
	;; [unrolled: 1-line block ×6, first 2 shown]
	s_waitcnt lgkmcnt(0)
	s_barrier
	buffer_gl0_inv
	v_fmac_f32_e32 v18, v42, v26
	v_fmac_f32_e32 v21, v43, v26
	;; [unrolled: 1-line block ×64, first 2 shown]
	s_cbranch_vccnz .LBB36_2
.LBB36_3:
	s_clause 0x1
	s_load_dword s0, s[4:5], 0x50
	s_load_dword s1, s[4:5], 0x18
	v_add_co_u32 v4, s4, s30, v1
	v_add_co_ci_u32_e64 v7, null, s31, 0, s4
	v_add_co_u32 v0, s4, s6, v0
	v_add_co_ci_u32_e64 v1, null, s7, 0, s4
	v_mul_lo_u32 v5, v7, s8
	v_mul_lo_u32 v6, v4, s9
	s_lshl_b64 s[2:3], s[10:11], 2
	v_lshlrev_b64 v[0:1], 2, v[0:1]
	s_waitcnt lgkmcnt(0)
	s_add_u32 s2, s18, s2
	s_addc_u32 s3, s19, s3
	v_cmp_neq_f32_e64 s4, s0, 0
	s_and_b32 vcc_lo, exec_lo, s4
	s_mov_b32 s4, 0
	s_cbranch_vccnz .LBB36_7
; %bb.4:
	v_mad_u64_u32 v[22:23], null, v4, s8, 0
	s_lshl_b64 s[6:7], s[8:9], 6
	v_mul_f32_e32 v26, s1, v18
	v_mul_f32_e32 v27, s1, v21
	;; [unrolled: 1-line block ×5, first 2 shown]
	v_add3_u32 v23, v23, v6, v5
	v_mul_f32_e32 v31, s1, v16
	v_mul_f32_e32 v32, s1, v15
	;; [unrolled: 1-line block ×3, first 2 shown]
	v_lshlrev_b64 v[22:23], 2, v[22:23]
	v_add_co_u32 v22, vcc_lo, s2, v22
	v_add_co_ci_u32_e64 v23, null, s3, v23, vcc_lo
	v_add_co_u32 v34, vcc_lo, v22, s6
	v_add_co_ci_u32_e64 v35, null, s7, v23, vcc_lo
	v_add_co_u32 v22, vcc_lo, v22, v0
	v_add_co_ci_u32_e64 v23, null, v23, v1, vcc_lo
	v_add_co_u32 v24, vcc_lo, v34, v0
	v_add_co_ci_u32_e64 v25, null, v35, v1, vcc_lo
	flat_store_dword v[22:23], v26
	flat_store_dword v[22:23], v27 offset:64
	flat_store_dword v[22:23], v28 offset:128
	;; [unrolled: 1-line block ×3, first 2 shown]
	flat_store_dword v[24:25], v30
	flat_store_dword v[24:25], v31 offset:64
	v_add_co_u32 v26, vcc_lo, v34, s6
	v_add_co_ci_u32_e64 v27, null, s7, v35, vcc_lo
	v_mul_f32_e32 v28, s1, v13
	v_add_co_u32 v22, vcc_lo, v26, v0
	v_add_co_ci_u32_e64 v23, null, v27, v1, vcc_lo
	v_mul_f32_e32 v29, s1, v12
	v_mul_f32_e32 v30, s1, v11
	flat_store_dword v[24:25], v32 offset:128
	flat_store_dword v[24:25], v33 offset:192
	flat_store_dword v[22:23], v28
	flat_store_dword v[22:23], v29 offset:64
	flat_store_dword v[22:23], v30 offset:128
	v_add_co_u32 v24, vcc_lo, v26, s6
	v_add_co_ci_u32_e64 v25, null, s7, v27, vcc_lo
	v_mul_f32_e32 v28, s1, v10
	v_add_co_u32 v24, vcc_lo, v24, v0
	v_mul_f32_e32 v26, s1, v9
	v_add_co_ci_u32_e64 v25, null, v25, v1, vcc_lo
	v_mul_f32_e32 v27, s1, v8
	v_mul_f32_e32 v29, s1, v2
	;; [unrolled: 1-line block ×3, first 2 shown]
	flat_store_dword v[22:23], v28 offset:192
	flat_store_dword v[24:25], v26
	flat_store_dword v[24:25], v27 offset:64
	flat_store_dword v[24:25], v29 offset:128
	;; [unrolled: 1-line block ×3, first 2 shown]
	s_andn2_b32 vcc_lo, exec_lo, s4
	s_cbranch_vccnz .LBB36_6
.LBB36_5:
	v_mul_lo_u32 v7, v7, s14
	v_mul_lo_u32 v24, v4, s15
	v_mad_u64_u32 v[22:23], null, v4, s14, 0
	s_lshl_b64 s[4:5], s[16:17], 2
	s_add_u32 s4, s12, s4
	s_addc_u32 s5, s13, s5
	v_add3_u32 v23, v23, v24, v7
	v_mad_u64_u32 v[24:25], null, v4, s8, 0
	v_lshlrev_b64 v[22:23], 2, v[22:23]
	v_add3_u32 v25, v25, v6, v5
	v_add_co_u32 v7, vcc_lo, s4, v22
	v_add_co_ci_u32_e64 v26, null, s5, v23, vcc_lo
	v_lshlrev_b64 v[4:5], 2, v[24:25]
	v_add_co_u32 v22, vcc_lo, v7, v0
	v_add_co_ci_u32_e64 v23, null, v26, v1, vcc_lo
	s_lshl_b64 s[4:5], s[8:9], 6
	v_add_co_u32 v24, vcc_lo, s2, v4
	flat_load_dword v27, v[22:23]
	v_add_co_ci_u32_e64 v25, null, s3, v5, vcc_lo
	v_add_co_u32 v4, vcc_lo, v24, v0
	s_lshl_b64 s[2:3], s[14:15], 6
	v_add_co_ci_u32_e64 v5, null, v25, v1, vcc_lo
	s_waitcnt vmcnt(0) lgkmcnt(0)
	v_mul_f32_e32 v6, s0, v27
	v_fmac_f32_e32 v6, s1, v18
	flat_store_dword v[4:5], v6
	flat_load_dword v6, v[22:23] offset:64
	s_waitcnt vmcnt(0) lgkmcnt(0)
	v_mul_f32_e32 v6, s0, v6
	v_fmac_f32_e32 v6, s1, v21
	flat_store_dword v[4:5], v6 offset:64
	flat_load_dword v6, v[22:23] offset:128
	s_waitcnt vmcnt(0) lgkmcnt(0)
	v_mul_f32_e32 v6, s0, v6
	v_fmac_f32_e32 v6, s1, v20
	v_add_co_u32 v20, vcc_lo, v7, s2
	v_add_co_ci_u32_e64 v21, null, s3, v26, vcc_lo
	flat_store_dword v[4:5], v6 offset:128
	flat_load_dword v6, v[22:23] offset:192
	s_waitcnt vmcnt(0) lgkmcnt(0)
	v_mul_f32_e32 v18, s0, v6
	v_add_co_u32 v6, vcc_lo, v20, v0
	v_add_co_ci_u32_e64 v7, null, v21, v1, vcc_lo
	v_fmac_f32_e32 v18, s1, v19
	flat_store_dword v[4:5], v18 offset:192
	flat_load_dword v4, v[6:7]
	v_add_co_u32 v18, vcc_lo, v24, s4
	v_add_co_ci_u32_e64 v19, null, s5, v25, vcc_lo
	s_waitcnt vmcnt(0) lgkmcnt(0)
	v_mul_f32_e32 v22, s0, v4
	v_add_co_u32 v4, vcc_lo, v18, v0
	v_add_co_ci_u32_e64 v5, null, v19, v1, vcc_lo
	v_fmac_f32_e32 v22, s1, v17
	flat_store_dword v[4:5], v22
	flat_load_dword v17, v[6:7] offset:64
	s_waitcnt vmcnt(0) lgkmcnt(0)
	v_mul_f32_e32 v17, s0, v17
	v_fmac_f32_e32 v17, s1, v16
	flat_store_dword v[4:5], v17 offset:64
	flat_load_dword v16, v[6:7] offset:128
	s_waitcnt vmcnt(0) lgkmcnt(0)
	v_mul_f32_e32 v16, s0, v16
	v_fmac_f32_e32 v16, s1, v15
	flat_store_dword v[4:5], v16 offset:128
	flat_load_dword v6, v[6:7] offset:192
	v_add_co_u32 v16, vcc_lo, v20, s2
	v_add_co_ci_u32_e64 v17, null, s3, v21, vcc_lo
	s_waitcnt vmcnt(0) lgkmcnt(0)
	v_mul_f32_e32 v15, s0, v6
	v_add_co_u32 v6, vcc_lo, v16, v0
	v_add_co_ci_u32_e64 v7, null, v17, v1, vcc_lo
	v_fmac_f32_e32 v15, s1, v14
	v_add_co_u32 v14, vcc_lo, v18, s4
	flat_store_dword v[4:5], v15 offset:192
	flat_load_dword v4, v[6:7]
	v_add_co_ci_u32_e64 v15, null, s5, v19, vcc_lo
	s_waitcnt vmcnt(0) lgkmcnt(0)
	v_mul_f32_e32 v18, s0, v4
	v_add_co_u32 v4, vcc_lo, v14, v0
	v_add_co_ci_u32_e64 v5, null, v15, v1, vcc_lo
	v_fmac_f32_e32 v18, s1, v13
	flat_store_dword v[4:5], v18
	flat_load_dword v13, v[6:7] offset:64
	s_waitcnt vmcnt(0) lgkmcnt(0)
	v_mul_f32_e32 v13, s0, v13
	v_fmac_f32_e32 v13, s1, v12
	flat_store_dword v[4:5], v13 offset:64
	flat_load_dword v12, v[6:7] offset:128
	s_waitcnt vmcnt(0) lgkmcnt(0)
	v_mul_f32_e32 v12, s0, v12
	v_fmac_f32_e32 v12, s1, v11
	flat_store_dword v[4:5], v12 offset:128
	flat_load_dword v6, v[6:7] offset:192
	s_waitcnt vmcnt(0) lgkmcnt(0)
	v_mul_f32_e32 v11, s0, v6
	v_add_co_u32 v6, vcc_lo, v16, s2
	v_add_co_ci_u32_e64 v7, null, s3, v17, vcc_lo
	v_fmac_f32_e32 v11, s1, v10
	v_add_co_u32 v6, vcc_lo, v6, v0
	v_add_co_ci_u32_e64 v7, null, v7, v1, vcc_lo
	flat_store_dword v[4:5], v11 offset:192
	v_add_co_u32 v5, vcc_lo, v14, s4
	flat_load_dword v4, v[6:7]
	v_add_co_ci_u32_e64 v10, null, s5, v15, vcc_lo
	v_add_co_u32 v0, vcc_lo, v5, v0
	v_add_co_ci_u32_e64 v1, null, v10, v1, vcc_lo
	s_waitcnt vmcnt(0) lgkmcnt(0)
	v_mul_f32_e32 v4, s0, v4
	v_fmac_f32_e32 v4, s1, v9
	flat_store_dword v[0:1], v4
	flat_load_dword v4, v[6:7] offset:64
	s_waitcnt vmcnt(0) lgkmcnt(0)
	v_mul_f32_e32 v4, s0, v4
	v_fmac_f32_e32 v4, s1, v8
	flat_store_dword v[0:1], v4 offset:64
	flat_load_dword v4, v[6:7] offset:128
	s_waitcnt vmcnt(0) lgkmcnt(0)
	v_mul_f32_e32 v4, s0, v4
	v_fmac_f32_e32 v4, s1, v2
	flat_store_dword v[0:1], v4 offset:128
	;; [unrolled: 5-line block ×3, first 2 shown]
.LBB36_6:
	s_endpgm
.LBB36_7:
	s_branch .LBB36_5
	.section	.rodata,"a",@progbits
	.p2align	6, 0x0
	.amdhsa_kernel _ZN12_GLOBAL__N_127rocblas_gemm_batched_kernelIfLi16ELi16ELi64ELi64ELi4ELi64ELi4ELi4ELi64ELc78ELc67EKPKfS3_KPfEEvlllT_PT11_llS8_llS6_PT12_llPT13_lli
		.amdhsa_group_segment_fixed_size 2048
		.amdhsa_private_segment_fixed_size 0
		.amdhsa_kernarg_size 140
		.amdhsa_user_sgpr_count 6
		.amdhsa_user_sgpr_private_segment_buffer 1
		.amdhsa_user_sgpr_dispatch_ptr 0
		.amdhsa_user_sgpr_queue_ptr 0
		.amdhsa_user_sgpr_kernarg_segment_ptr 1
		.amdhsa_user_sgpr_dispatch_id 0
		.amdhsa_user_sgpr_flat_scratch_init 0
		.amdhsa_user_sgpr_private_segment_size 0
		.amdhsa_wavefront_size32 1
		.amdhsa_uses_dynamic_stack 0
		.amdhsa_system_sgpr_private_segment_wavefront_offset 0
		.amdhsa_system_sgpr_workgroup_id_x 1
		.amdhsa_system_sgpr_workgroup_id_y 1
		.amdhsa_system_sgpr_workgroup_id_z 1
		.amdhsa_system_sgpr_workgroup_info 0
		.amdhsa_system_vgpr_workitem_id 1
		.amdhsa_next_free_vgpr 58
		.amdhsa_next_free_sgpr 36
		.amdhsa_reserve_vcc 1
		.amdhsa_reserve_flat_scratch 0
		.amdhsa_float_round_mode_32 0
		.amdhsa_float_round_mode_16_64 0
		.amdhsa_float_denorm_mode_32 3
		.amdhsa_float_denorm_mode_16_64 3
		.amdhsa_dx10_clamp 1
		.amdhsa_ieee_mode 1
		.amdhsa_fp16_overflow 0
		.amdhsa_workgroup_processor_mode 1
		.amdhsa_memory_ordered 1
		.amdhsa_forward_progress 1
		.amdhsa_shared_vgpr_count 0
		.amdhsa_exception_fp_ieee_invalid_op 0
		.amdhsa_exception_fp_denorm_src 0
		.amdhsa_exception_fp_ieee_div_zero 0
		.amdhsa_exception_fp_ieee_overflow 0
		.amdhsa_exception_fp_ieee_underflow 0
		.amdhsa_exception_fp_ieee_inexact 0
		.amdhsa_exception_int_div_zero 0
	.end_amdhsa_kernel
	.section	.text._ZN12_GLOBAL__N_127rocblas_gemm_batched_kernelIfLi16ELi16ELi64ELi64ELi4ELi64ELi4ELi4ELi64ELc78ELc67EKPKfS3_KPfEEvlllT_PT11_llS8_llS6_PT12_llPT13_lli,"axG",@progbits,_ZN12_GLOBAL__N_127rocblas_gemm_batched_kernelIfLi16ELi16ELi64ELi64ELi4ELi64ELi4ELi4ELi64ELc78ELc67EKPKfS3_KPfEEvlllT_PT11_llS8_llS6_PT12_llPT13_lli,comdat
.Lfunc_end36:
	.size	_ZN12_GLOBAL__N_127rocblas_gemm_batched_kernelIfLi16ELi16ELi64ELi64ELi4ELi64ELi4ELi4ELi64ELc78ELc67EKPKfS3_KPfEEvlllT_PT11_llS8_llS6_PT12_llPT13_lli, .Lfunc_end36-_ZN12_GLOBAL__N_127rocblas_gemm_batched_kernelIfLi16ELi16ELi64ELi64ELi4ELi64ELi4ELi4ELi64ELc78ELc67EKPKfS3_KPfEEvlllT_PT11_llS8_llS6_PT12_llPT13_lli
                                        ; -- End function
	.set _ZN12_GLOBAL__N_127rocblas_gemm_batched_kernelIfLi16ELi16ELi64ELi64ELi4ELi64ELi4ELi4ELi64ELc78ELc67EKPKfS3_KPfEEvlllT_PT11_llS8_llS6_PT12_llPT13_lli.num_vgpr, 58
	.set _ZN12_GLOBAL__N_127rocblas_gemm_batched_kernelIfLi16ELi16ELi64ELi64ELi4ELi64ELi4ELi4ELi64ELc78ELc67EKPKfS3_KPfEEvlllT_PT11_llS8_llS6_PT12_llPT13_lli.num_agpr, 0
	.set _ZN12_GLOBAL__N_127rocblas_gemm_batched_kernelIfLi16ELi16ELi64ELi64ELi4ELi64ELi4ELi4ELi64ELc78ELc67EKPKfS3_KPfEEvlllT_PT11_llS8_llS6_PT12_llPT13_lli.numbered_sgpr, 36
	.set _ZN12_GLOBAL__N_127rocblas_gemm_batched_kernelIfLi16ELi16ELi64ELi64ELi4ELi64ELi4ELi4ELi64ELc78ELc67EKPKfS3_KPfEEvlllT_PT11_llS8_llS6_PT12_llPT13_lli.num_named_barrier, 0
	.set _ZN12_GLOBAL__N_127rocblas_gemm_batched_kernelIfLi16ELi16ELi64ELi64ELi4ELi64ELi4ELi4ELi64ELc78ELc67EKPKfS3_KPfEEvlllT_PT11_llS8_llS6_PT12_llPT13_lli.private_seg_size, 0
	.set _ZN12_GLOBAL__N_127rocblas_gemm_batched_kernelIfLi16ELi16ELi64ELi64ELi4ELi64ELi4ELi4ELi64ELc78ELc67EKPKfS3_KPfEEvlllT_PT11_llS8_llS6_PT12_llPT13_lli.uses_vcc, 1
	.set _ZN12_GLOBAL__N_127rocblas_gemm_batched_kernelIfLi16ELi16ELi64ELi64ELi4ELi64ELi4ELi4ELi64ELc78ELc67EKPKfS3_KPfEEvlllT_PT11_llS8_llS6_PT12_llPT13_lli.uses_flat_scratch, 0
	.set _ZN12_GLOBAL__N_127rocblas_gemm_batched_kernelIfLi16ELi16ELi64ELi64ELi4ELi64ELi4ELi4ELi64ELc78ELc67EKPKfS3_KPfEEvlllT_PT11_llS8_llS6_PT12_llPT13_lli.has_dyn_sized_stack, 0
	.set _ZN12_GLOBAL__N_127rocblas_gemm_batched_kernelIfLi16ELi16ELi64ELi64ELi4ELi64ELi4ELi4ELi64ELc78ELc67EKPKfS3_KPfEEvlllT_PT11_llS8_llS6_PT12_llPT13_lli.has_recursion, 0
	.set _ZN12_GLOBAL__N_127rocblas_gemm_batched_kernelIfLi16ELi16ELi64ELi64ELi4ELi64ELi4ELi4ELi64ELc78ELc67EKPKfS3_KPfEEvlllT_PT11_llS8_llS6_PT12_llPT13_lli.has_indirect_call, 0
	.section	.AMDGPU.csdata,"",@progbits
; Kernel info:
; codeLenInByte = 2264
; TotalNumSgprs: 38
; NumVgprs: 58
; ScratchSize: 0
; MemoryBound: 0
; FloatMode: 240
; IeeeMode: 1
; LDSByteSize: 2048 bytes/workgroup (compile time only)
; SGPRBlocks: 0
; VGPRBlocks: 7
; NumSGPRsForWavesPerEU: 38
; NumVGPRsForWavesPerEU: 58
; Occupancy: 16
; WaveLimiterHint : 1
; COMPUTE_PGM_RSRC2:SCRATCH_EN: 0
; COMPUTE_PGM_RSRC2:USER_SGPR: 6
; COMPUTE_PGM_RSRC2:TRAP_HANDLER: 0
; COMPUTE_PGM_RSRC2:TGID_X_EN: 1
; COMPUTE_PGM_RSRC2:TGID_Y_EN: 1
; COMPUTE_PGM_RSRC2:TGID_Z_EN: 1
; COMPUTE_PGM_RSRC2:TIDIG_COMP_CNT: 1
	.section	.text._ZN12_GLOBAL__N_127rocblas_gemm_batched_kernelIfLi16ELi16ELi64ELi64ELi4ELi64ELi4ELi4ELi64ELc84ELc67EKPKfS3_KPfEEvlllT_PT11_llS8_llS6_PT12_llPT13_lli,"axG",@progbits,_ZN12_GLOBAL__N_127rocblas_gemm_batched_kernelIfLi16ELi16ELi64ELi64ELi4ELi64ELi4ELi4ELi64ELc84ELc67EKPKfS3_KPfEEvlllT_PT11_llS8_llS6_PT12_llPT13_lli,comdat
	.globl	_ZN12_GLOBAL__N_127rocblas_gemm_batched_kernelIfLi16ELi16ELi64ELi64ELi4ELi64ELi4ELi4ELi64ELc84ELc67EKPKfS3_KPfEEvlllT_PT11_llS8_llS6_PT12_llPT13_lli ; -- Begin function _ZN12_GLOBAL__N_127rocblas_gemm_batched_kernelIfLi16ELi16ELi64ELi64ELi4ELi64ELi4ELi4ELi64ELc84ELc67EKPKfS3_KPfEEvlllT_PT11_llS8_llS6_PT12_llPT13_lli
	.p2align	8
	.type	_ZN12_GLOBAL__N_127rocblas_gemm_batched_kernelIfLi16ELi16ELi64ELi64ELi4ELi64ELi4ELi4ELi64ELc84ELc67EKPKfS3_KPfEEvlllT_PT11_llS8_llS6_PT12_llPT13_lli,@function
_ZN12_GLOBAL__N_127rocblas_gemm_batched_kernelIfLi16ELi16ELi64ELi64ELi4ELi64ELi4ELi4ELi64ELc84ELc67EKPKfS3_KPfEEvlllT_PT11_llS8_llS6_PT12_llPT13_lli: ; @_ZN12_GLOBAL__N_127rocblas_gemm_batched_kernelIfLi16ELi16ELi64ELi64ELi4ELi64ELi4ELi4ELi64ELc84ELc67EKPKfS3_KPfEEvlllT_PT11_llS8_llS6_PT12_llPT13_lli
; %bb.0:
	s_clause 0x1
	s_load_dwordx8 s[12:19], s[4:5], 0x58
	s_load_dwordx2 s[28:29], s[4:5], 0x10
	s_mov_b32 s9, 0
	s_mov_b32 s0, s7
	s_lshl_b64 s[34:35], s[8:9], 3
	s_load_dwordx4 s[8:11], s[4:5], 0x78
	v_mov_b32_e32 v18, 0
	v_mov_b32_e32 v21, 0
	;; [unrolled: 1-line block ×14, first 2 shown]
	s_waitcnt lgkmcnt(0)
	s_add_u32 s2, s12, s34
	s_addc_u32 s3, s13, s35
	s_add_u32 s18, s18, s34
	s_addc_u32 s19, s19, s35
	s_load_dwordx2 s[12:13], s[2:3], 0x0
	s_load_dwordx2 s[18:19], s[18:19], 0x0
	v_cmp_lt_i64_e64 s20, s[28:29], 1
	v_mov_b32_e32 v2, 0
	v_mov_b32_e32 v3, 0
	s_ashr_i32 s7, s6, 31
	s_ashr_i32 s1, s0, 31
	s_lshl_b64 s[6:7], s[6:7], 6
	s_and_b32 vcc_lo, exec_lo, s20
	s_lshl_b64 s[30:31], s[0:1], 6
	s_cbranch_vccnz .LBB37_3
; %bb.1:
	s_clause 0x1
	s_load_dwordx8 s[20:27], s[4:5], 0x20
	s_load_dwordx4 s[0:3], s[4:5], 0x40
	v_lshlrev_b32_e32 v8, 4, v1
	v_and_b32_e32 v10, 3, v0
	v_mov_b32_e32 v3, 0
	v_lshlrev_b32_e32 v22, 2, v0
	v_add_nc_u32_e32 v9, v8, v0
	v_lshlrev_b32_e32 v12, 2, v10
	v_add_nc_u32_e32 v23, 0x400, v8
	v_mov_b32_e32 v16, v3
	v_mov_b32_e32 v17, v3
	v_and_b32_e32 v11, 63, v9
	v_lshrrev_b32_e32 v2, 2, v9
	v_lshrrev_b32_e32 v9, 6, v9
	v_mov_b32_e32 v19, v3
	v_mov_b32_e32 v20, v3
	v_add_co_u32 v6, s33, s6, v11
	v_add_co_ci_u32_e64 v7, null, s7, 0, s33
	s_waitcnt lgkmcnt(0)
	s_add_u32 s20, s20, s34
	s_addc_u32 s21, s21, s35
	s_add_u32 s26, s26, s34
	s_addc_u32 s27, s27, s35
	v_mad_u64_u32 v[4:5], null, s0, v10, v[2:3]
	s_load_dwordx2 s[26:27], s[26:27], 0x0
	v_mul_lo_u32 v13, s23, v6
	v_mul_lo_u32 v14, s22, v7
	v_mad_u64_u32 v[6:7], null, s22, v6, 0
	v_lshlrev_b32_e32 v11, 2, v11
	v_lshl_or_b32 v12, v2, 4, v12
	v_mov_b32_e32 v2, v5
	v_lshlrev_b32_e32 v15, 2, v9
	s_load_dwordx2 s[20:21], s[20:21], 0x0
	v_lshl_or_b32 v24, v9, 8, v11
	v_add3_u32 v7, v7, v14, v13
	v_mad_u64_u32 v[8:9], null, s1, v10, v[2:3]
	s_lshl_b64 s[2:3], s[2:3], 2
	v_add_nc_u32_e32 v25, 0x400, v12
	v_lshlrev_b64 v[5:6], 2, v[6:7]
	v_add_co_u32 v7, vcc_lo, v4, s30
	v_mov_b32_e32 v9, v3
	v_add_co_ci_u32_e64 v8, null, s31, v8, vcc_lo
	s_waitcnt lgkmcnt(0)
	s_add_u32 s22, s26, s2
	s_addc_u32 s23, s27, s3
	s_lshl_b64 s[2:3], s[24:25], 2
	v_mov_b32_e32 v10, v3
	v_add_co_u32 v2, vcc_lo, v5, s2
	v_add_co_ci_u32_e64 v6, null, s3, v6, vcc_lo
	v_lshlrev_b64 v[4:5], 2, v[7:8]
	v_add_co_u32 v2, vcc_lo, v2, v15
	v_add_co_ci_u32_e64 v7, null, 0, v6, vcc_lo
	v_mov_b32_e32 v8, v3
	v_add_co_u32 v4, vcc_lo, s22, v4
	v_add_co_ci_u32_e64 v5, null, s23, v5, vcc_lo
	v_add_co_u32 v6, vcc_lo, s20, v2
	v_add_co_ci_u32_e64 v7, null, s21, v7, vcc_lo
	v_mov_b32_e32 v2, v3
	v_mov_b32_e32 v11, v3
	;; [unrolled: 1-line block ×8, first 2 shown]
	s_lshl_b64 s[2:3], s[0:1], 4
	s_mov_b64 s[20:21], 0
.LBB37_2:                               ; =>This Inner Loop Header: Depth=1
	flat_load_dword v26, v[6:7]
	s_add_u32 s20, s20, 4
	s_addc_u32 s21, s21, 0
	v_add_co_u32 v6, vcc_lo, v6, 16
	v_cmp_lt_i64_e64 s0, s[20:21], s[28:29]
	v_add_co_ci_u32_e64 v7, null, 0, v7, vcc_lo
	s_and_b32 vcc_lo, exec_lo, s0
	s_waitcnt vmcnt(0) lgkmcnt(0)
	ds_write_b32 v24, v26
	flat_load_dword v26, v[4:5]
	v_add_co_u32 v4, s0, v4, s2
	v_add_co_ci_u32_e64 v5, null, s3, v5, s0
	s_waitcnt vmcnt(0) lgkmcnt(0)
	ds_write_b32 v25, v26
	s_waitcnt lgkmcnt(0)
	s_barrier
	buffer_gl0_inv
	ds_read_b128 v[26:29], v23
	ds_read2_b32 v[42:43], v22 offset1:16
	ds_read2_b32 v[44:45], v22 offset0:32 offset1:48
	ds_read_b128 v[30:33], v23 offset:256
	ds_read_b128 v[34:37], v23 offset:512
	;; [unrolled: 1-line block ×3, first 2 shown]
	ds_read2_b32 v[46:47], v22 offset0:64 offset1:80
	ds_read2_b32 v[48:49], v22 offset0:96 offset1:112
	;; [unrolled: 1-line block ×6, first 2 shown]
	s_waitcnt lgkmcnt(0)
	s_barrier
	buffer_gl0_inv
	v_fmac_f32_e32 v18, v42, v26
	v_fmac_f32_e32 v21, v43, v26
	;; [unrolled: 1-line block ×64, first 2 shown]
	s_cbranch_vccnz .LBB37_2
.LBB37_3:
	s_clause 0x1
	s_load_dword s0, s[4:5], 0x50
	s_load_dword s1, s[4:5], 0x18
	v_add_co_u32 v4, s4, s30, v1
	v_add_co_ci_u32_e64 v7, null, s31, 0, s4
	v_add_co_u32 v0, s4, s6, v0
	v_add_co_ci_u32_e64 v1, null, s7, 0, s4
	v_mul_lo_u32 v5, v7, s8
	v_mul_lo_u32 v6, v4, s9
	s_lshl_b64 s[2:3], s[10:11], 2
	v_lshlrev_b64 v[0:1], 2, v[0:1]
	s_waitcnt lgkmcnt(0)
	s_add_u32 s2, s18, s2
	s_addc_u32 s3, s19, s3
	v_cmp_neq_f32_e64 s4, s0, 0
	s_and_b32 vcc_lo, exec_lo, s4
	s_mov_b32 s4, 0
	s_cbranch_vccnz .LBB37_7
; %bb.4:
	v_mad_u64_u32 v[22:23], null, v4, s8, 0
	s_lshl_b64 s[6:7], s[8:9], 6
	v_mul_f32_e32 v26, s1, v18
	v_mul_f32_e32 v27, s1, v21
	;; [unrolled: 1-line block ×5, first 2 shown]
	v_add3_u32 v23, v23, v6, v5
	v_mul_f32_e32 v31, s1, v16
	v_mul_f32_e32 v32, s1, v15
	;; [unrolled: 1-line block ×3, first 2 shown]
	v_lshlrev_b64 v[22:23], 2, v[22:23]
	v_add_co_u32 v22, vcc_lo, s2, v22
	v_add_co_ci_u32_e64 v23, null, s3, v23, vcc_lo
	v_add_co_u32 v34, vcc_lo, v22, s6
	v_add_co_ci_u32_e64 v35, null, s7, v23, vcc_lo
	;; [unrolled: 2-line block ×4, first 2 shown]
	flat_store_dword v[22:23], v26
	flat_store_dword v[22:23], v27 offset:64
	flat_store_dword v[22:23], v28 offset:128
	;; [unrolled: 1-line block ×3, first 2 shown]
	flat_store_dword v[24:25], v30
	flat_store_dword v[24:25], v31 offset:64
	v_add_co_u32 v26, vcc_lo, v34, s6
	v_add_co_ci_u32_e64 v27, null, s7, v35, vcc_lo
	v_mul_f32_e32 v28, s1, v13
	v_add_co_u32 v22, vcc_lo, v26, v0
	v_add_co_ci_u32_e64 v23, null, v27, v1, vcc_lo
	v_mul_f32_e32 v29, s1, v12
	v_mul_f32_e32 v30, s1, v11
	flat_store_dword v[24:25], v32 offset:128
	flat_store_dword v[24:25], v33 offset:192
	flat_store_dword v[22:23], v28
	flat_store_dword v[22:23], v29 offset:64
	flat_store_dword v[22:23], v30 offset:128
	v_add_co_u32 v24, vcc_lo, v26, s6
	v_add_co_ci_u32_e64 v25, null, s7, v27, vcc_lo
	v_mul_f32_e32 v28, s1, v10
	v_add_co_u32 v24, vcc_lo, v24, v0
	v_mul_f32_e32 v26, s1, v9
	v_add_co_ci_u32_e64 v25, null, v25, v1, vcc_lo
	v_mul_f32_e32 v27, s1, v8
	v_mul_f32_e32 v29, s1, v2
	;; [unrolled: 1-line block ×3, first 2 shown]
	flat_store_dword v[22:23], v28 offset:192
	flat_store_dword v[24:25], v26
	flat_store_dword v[24:25], v27 offset:64
	flat_store_dword v[24:25], v29 offset:128
	;; [unrolled: 1-line block ×3, first 2 shown]
	s_andn2_b32 vcc_lo, exec_lo, s4
	s_cbranch_vccnz .LBB37_6
.LBB37_5:
	v_mul_lo_u32 v7, v7, s14
	v_mul_lo_u32 v24, v4, s15
	v_mad_u64_u32 v[22:23], null, v4, s14, 0
	s_lshl_b64 s[4:5], s[16:17], 2
	s_add_u32 s4, s12, s4
	s_addc_u32 s5, s13, s5
	v_add3_u32 v23, v23, v24, v7
	v_mad_u64_u32 v[24:25], null, v4, s8, 0
	v_lshlrev_b64 v[22:23], 2, v[22:23]
	v_add3_u32 v25, v25, v6, v5
	v_add_co_u32 v7, vcc_lo, s4, v22
	v_add_co_ci_u32_e64 v26, null, s5, v23, vcc_lo
	v_lshlrev_b64 v[4:5], 2, v[24:25]
	v_add_co_u32 v22, vcc_lo, v7, v0
	v_add_co_ci_u32_e64 v23, null, v26, v1, vcc_lo
	s_lshl_b64 s[4:5], s[8:9], 6
	v_add_co_u32 v24, vcc_lo, s2, v4
	flat_load_dword v27, v[22:23]
	v_add_co_ci_u32_e64 v25, null, s3, v5, vcc_lo
	v_add_co_u32 v4, vcc_lo, v24, v0
	s_lshl_b64 s[2:3], s[14:15], 6
	v_add_co_ci_u32_e64 v5, null, v25, v1, vcc_lo
	s_waitcnt vmcnt(0) lgkmcnt(0)
	v_mul_f32_e32 v6, s0, v27
	v_fmac_f32_e32 v6, s1, v18
	flat_store_dword v[4:5], v6
	flat_load_dword v6, v[22:23] offset:64
	s_waitcnt vmcnt(0) lgkmcnt(0)
	v_mul_f32_e32 v6, s0, v6
	v_fmac_f32_e32 v6, s1, v21
	flat_store_dword v[4:5], v6 offset:64
	flat_load_dword v6, v[22:23] offset:128
	s_waitcnt vmcnt(0) lgkmcnt(0)
	v_mul_f32_e32 v6, s0, v6
	v_fmac_f32_e32 v6, s1, v20
	v_add_co_u32 v20, vcc_lo, v7, s2
	v_add_co_ci_u32_e64 v21, null, s3, v26, vcc_lo
	flat_store_dword v[4:5], v6 offset:128
	flat_load_dword v6, v[22:23] offset:192
	s_waitcnt vmcnt(0) lgkmcnt(0)
	v_mul_f32_e32 v18, s0, v6
	v_add_co_u32 v6, vcc_lo, v20, v0
	v_add_co_ci_u32_e64 v7, null, v21, v1, vcc_lo
	v_fmac_f32_e32 v18, s1, v19
	flat_store_dword v[4:5], v18 offset:192
	flat_load_dword v4, v[6:7]
	v_add_co_u32 v18, vcc_lo, v24, s4
	v_add_co_ci_u32_e64 v19, null, s5, v25, vcc_lo
	s_waitcnt vmcnt(0) lgkmcnt(0)
	v_mul_f32_e32 v22, s0, v4
	v_add_co_u32 v4, vcc_lo, v18, v0
	v_add_co_ci_u32_e64 v5, null, v19, v1, vcc_lo
	v_fmac_f32_e32 v22, s1, v17
	flat_store_dword v[4:5], v22
	flat_load_dword v17, v[6:7] offset:64
	s_waitcnt vmcnt(0) lgkmcnt(0)
	v_mul_f32_e32 v17, s0, v17
	v_fmac_f32_e32 v17, s1, v16
	flat_store_dword v[4:5], v17 offset:64
	flat_load_dword v16, v[6:7] offset:128
	s_waitcnt vmcnt(0) lgkmcnt(0)
	v_mul_f32_e32 v16, s0, v16
	v_fmac_f32_e32 v16, s1, v15
	flat_store_dword v[4:5], v16 offset:128
	flat_load_dword v6, v[6:7] offset:192
	v_add_co_u32 v16, vcc_lo, v20, s2
	v_add_co_ci_u32_e64 v17, null, s3, v21, vcc_lo
	s_waitcnt vmcnt(0) lgkmcnt(0)
	v_mul_f32_e32 v15, s0, v6
	v_add_co_u32 v6, vcc_lo, v16, v0
	v_add_co_ci_u32_e64 v7, null, v17, v1, vcc_lo
	v_fmac_f32_e32 v15, s1, v14
	v_add_co_u32 v14, vcc_lo, v18, s4
	flat_store_dword v[4:5], v15 offset:192
	flat_load_dword v4, v[6:7]
	v_add_co_ci_u32_e64 v15, null, s5, v19, vcc_lo
	s_waitcnt vmcnt(0) lgkmcnt(0)
	v_mul_f32_e32 v18, s0, v4
	v_add_co_u32 v4, vcc_lo, v14, v0
	v_add_co_ci_u32_e64 v5, null, v15, v1, vcc_lo
	v_fmac_f32_e32 v18, s1, v13
	flat_store_dword v[4:5], v18
	flat_load_dword v13, v[6:7] offset:64
	s_waitcnt vmcnt(0) lgkmcnt(0)
	v_mul_f32_e32 v13, s0, v13
	v_fmac_f32_e32 v13, s1, v12
	flat_store_dword v[4:5], v13 offset:64
	flat_load_dword v12, v[6:7] offset:128
	s_waitcnt vmcnt(0) lgkmcnt(0)
	v_mul_f32_e32 v12, s0, v12
	v_fmac_f32_e32 v12, s1, v11
	flat_store_dword v[4:5], v12 offset:128
	flat_load_dword v6, v[6:7] offset:192
	s_waitcnt vmcnt(0) lgkmcnt(0)
	v_mul_f32_e32 v11, s0, v6
	v_add_co_u32 v6, vcc_lo, v16, s2
	v_add_co_ci_u32_e64 v7, null, s3, v17, vcc_lo
	v_fmac_f32_e32 v11, s1, v10
	v_add_co_u32 v6, vcc_lo, v6, v0
	v_add_co_ci_u32_e64 v7, null, v7, v1, vcc_lo
	flat_store_dword v[4:5], v11 offset:192
	v_add_co_u32 v5, vcc_lo, v14, s4
	flat_load_dword v4, v[6:7]
	v_add_co_ci_u32_e64 v10, null, s5, v15, vcc_lo
	v_add_co_u32 v0, vcc_lo, v5, v0
	v_add_co_ci_u32_e64 v1, null, v10, v1, vcc_lo
	s_waitcnt vmcnt(0) lgkmcnt(0)
	v_mul_f32_e32 v4, s0, v4
	v_fmac_f32_e32 v4, s1, v9
	flat_store_dword v[0:1], v4
	flat_load_dword v4, v[6:7] offset:64
	s_waitcnt vmcnt(0) lgkmcnt(0)
	v_mul_f32_e32 v4, s0, v4
	v_fmac_f32_e32 v4, s1, v8
	flat_store_dword v[0:1], v4 offset:64
	flat_load_dword v4, v[6:7] offset:128
	s_waitcnt vmcnt(0) lgkmcnt(0)
	v_mul_f32_e32 v4, s0, v4
	v_fmac_f32_e32 v4, s1, v2
	flat_store_dword v[0:1], v4 offset:128
	;; [unrolled: 5-line block ×3, first 2 shown]
.LBB37_6:
	s_endpgm
.LBB37_7:
	s_branch .LBB37_5
	.section	.rodata,"a",@progbits
	.p2align	6, 0x0
	.amdhsa_kernel _ZN12_GLOBAL__N_127rocblas_gemm_batched_kernelIfLi16ELi16ELi64ELi64ELi4ELi64ELi4ELi4ELi64ELc84ELc67EKPKfS3_KPfEEvlllT_PT11_llS8_llS6_PT12_llPT13_lli
		.amdhsa_group_segment_fixed_size 2048
		.amdhsa_private_segment_fixed_size 0
		.amdhsa_kernarg_size 140
		.amdhsa_user_sgpr_count 6
		.amdhsa_user_sgpr_private_segment_buffer 1
		.amdhsa_user_sgpr_dispatch_ptr 0
		.amdhsa_user_sgpr_queue_ptr 0
		.amdhsa_user_sgpr_kernarg_segment_ptr 1
		.amdhsa_user_sgpr_dispatch_id 0
		.amdhsa_user_sgpr_flat_scratch_init 0
		.amdhsa_user_sgpr_private_segment_size 0
		.amdhsa_wavefront_size32 1
		.amdhsa_uses_dynamic_stack 0
		.amdhsa_system_sgpr_private_segment_wavefront_offset 0
		.amdhsa_system_sgpr_workgroup_id_x 1
		.amdhsa_system_sgpr_workgroup_id_y 1
		.amdhsa_system_sgpr_workgroup_id_z 1
		.amdhsa_system_sgpr_workgroup_info 0
		.amdhsa_system_vgpr_workitem_id 1
		.amdhsa_next_free_vgpr 58
		.amdhsa_next_free_sgpr 36
		.amdhsa_reserve_vcc 1
		.amdhsa_reserve_flat_scratch 0
		.amdhsa_float_round_mode_32 0
		.amdhsa_float_round_mode_16_64 0
		.amdhsa_float_denorm_mode_32 3
		.amdhsa_float_denorm_mode_16_64 3
		.amdhsa_dx10_clamp 1
		.amdhsa_ieee_mode 1
		.amdhsa_fp16_overflow 0
		.amdhsa_workgroup_processor_mode 1
		.amdhsa_memory_ordered 1
		.amdhsa_forward_progress 1
		.amdhsa_shared_vgpr_count 0
		.amdhsa_exception_fp_ieee_invalid_op 0
		.amdhsa_exception_fp_denorm_src 0
		.amdhsa_exception_fp_ieee_div_zero 0
		.amdhsa_exception_fp_ieee_overflow 0
		.amdhsa_exception_fp_ieee_underflow 0
		.amdhsa_exception_fp_ieee_inexact 0
		.amdhsa_exception_int_div_zero 0
	.end_amdhsa_kernel
	.section	.text._ZN12_GLOBAL__N_127rocblas_gemm_batched_kernelIfLi16ELi16ELi64ELi64ELi4ELi64ELi4ELi4ELi64ELc84ELc67EKPKfS3_KPfEEvlllT_PT11_llS8_llS6_PT12_llPT13_lli,"axG",@progbits,_ZN12_GLOBAL__N_127rocblas_gemm_batched_kernelIfLi16ELi16ELi64ELi64ELi4ELi64ELi4ELi4ELi64ELc84ELc67EKPKfS3_KPfEEvlllT_PT11_llS8_llS6_PT12_llPT13_lli,comdat
.Lfunc_end37:
	.size	_ZN12_GLOBAL__N_127rocblas_gemm_batched_kernelIfLi16ELi16ELi64ELi64ELi4ELi64ELi4ELi4ELi64ELc84ELc67EKPKfS3_KPfEEvlllT_PT11_llS8_llS6_PT12_llPT13_lli, .Lfunc_end37-_ZN12_GLOBAL__N_127rocblas_gemm_batched_kernelIfLi16ELi16ELi64ELi64ELi4ELi64ELi4ELi4ELi64ELc84ELc67EKPKfS3_KPfEEvlllT_PT11_llS8_llS6_PT12_llPT13_lli
                                        ; -- End function
	.set _ZN12_GLOBAL__N_127rocblas_gemm_batched_kernelIfLi16ELi16ELi64ELi64ELi4ELi64ELi4ELi4ELi64ELc84ELc67EKPKfS3_KPfEEvlllT_PT11_llS8_llS6_PT12_llPT13_lli.num_vgpr, 58
	.set _ZN12_GLOBAL__N_127rocblas_gemm_batched_kernelIfLi16ELi16ELi64ELi64ELi4ELi64ELi4ELi4ELi64ELc84ELc67EKPKfS3_KPfEEvlllT_PT11_llS8_llS6_PT12_llPT13_lli.num_agpr, 0
	.set _ZN12_GLOBAL__N_127rocblas_gemm_batched_kernelIfLi16ELi16ELi64ELi64ELi4ELi64ELi4ELi4ELi64ELc84ELc67EKPKfS3_KPfEEvlllT_PT11_llS8_llS6_PT12_llPT13_lli.numbered_sgpr, 36
	.set _ZN12_GLOBAL__N_127rocblas_gemm_batched_kernelIfLi16ELi16ELi64ELi64ELi4ELi64ELi4ELi4ELi64ELc84ELc67EKPKfS3_KPfEEvlllT_PT11_llS8_llS6_PT12_llPT13_lli.num_named_barrier, 0
	.set _ZN12_GLOBAL__N_127rocblas_gemm_batched_kernelIfLi16ELi16ELi64ELi64ELi4ELi64ELi4ELi4ELi64ELc84ELc67EKPKfS3_KPfEEvlllT_PT11_llS8_llS6_PT12_llPT13_lli.private_seg_size, 0
	.set _ZN12_GLOBAL__N_127rocblas_gemm_batched_kernelIfLi16ELi16ELi64ELi64ELi4ELi64ELi4ELi4ELi64ELc84ELc67EKPKfS3_KPfEEvlllT_PT11_llS8_llS6_PT12_llPT13_lli.uses_vcc, 1
	.set _ZN12_GLOBAL__N_127rocblas_gemm_batched_kernelIfLi16ELi16ELi64ELi64ELi4ELi64ELi4ELi4ELi64ELc84ELc67EKPKfS3_KPfEEvlllT_PT11_llS8_llS6_PT12_llPT13_lli.uses_flat_scratch, 0
	.set _ZN12_GLOBAL__N_127rocblas_gemm_batched_kernelIfLi16ELi16ELi64ELi64ELi4ELi64ELi4ELi4ELi64ELc84ELc67EKPKfS3_KPfEEvlllT_PT11_llS8_llS6_PT12_llPT13_lli.has_dyn_sized_stack, 0
	.set _ZN12_GLOBAL__N_127rocblas_gemm_batched_kernelIfLi16ELi16ELi64ELi64ELi4ELi64ELi4ELi4ELi64ELc84ELc67EKPKfS3_KPfEEvlllT_PT11_llS8_llS6_PT12_llPT13_lli.has_recursion, 0
	.set _ZN12_GLOBAL__N_127rocblas_gemm_batched_kernelIfLi16ELi16ELi64ELi64ELi4ELi64ELi4ELi4ELi64ELc84ELc67EKPKfS3_KPfEEvlllT_PT11_llS8_llS6_PT12_llPT13_lli.has_indirect_call, 0
	.section	.AMDGPU.csdata,"",@progbits
; Kernel info:
; codeLenInByte = 2300
; TotalNumSgprs: 38
; NumVgprs: 58
; ScratchSize: 0
; MemoryBound: 0
; FloatMode: 240
; IeeeMode: 1
; LDSByteSize: 2048 bytes/workgroup (compile time only)
; SGPRBlocks: 0
; VGPRBlocks: 7
; NumSGPRsForWavesPerEU: 38
; NumVGPRsForWavesPerEU: 58
; Occupancy: 16
; WaveLimiterHint : 1
; COMPUTE_PGM_RSRC2:SCRATCH_EN: 0
; COMPUTE_PGM_RSRC2:USER_SGPR: 6
; COMPUTE_PGM_RSRC2:TRAP_HANDLER: 0
; COMPUTE_PGM_RSRC2:TGID_X_EN: 1
; COMPUTE_PGM_RSRC2:TGID_Y_EN: 1
; COMPUTE_PGM_RSRC2:TGID_Z_EN: 1
; COMPUTE_PGM_RSRC2:TIDIG_COMP_CNT: 1
	.section	.text._ZN12_GLOBAL__N_127rocblas_gemm_batched_kernelIfLi16ELi16ELi32ELi32ELi8ELi32ELi8ELi8ELi32ELc78ELc78EKPKfS3_KPfEEvlllT_PT11_llS8_llS6_PT12_llPT13_lli,"axG",@progbits,_ZN12_GLOBAL__N_127rocblas_gemm_batched_kernelIfLi16ELi16ELi32ELi32ELi8ELi32ELi8ELi8ELi32ELc78ELc78EKPKfS3_KPfEEvlllT_PT11_llS8_llS6_PT12_llPT13_lli,comdat
	.globl	_ZN12_GLOBAL__N_127rocblas_gemm_batched_kernelIfLi16ELi16ELi32ELi32ELi8ELi32ELi8ELi8ELi32ELc78ELc78EKPKfS3_KPfEEvlllT_PT11_llS8_llS6_PT12_llPT13_lli ; -- Begin function _ZN12_GLOBAL__N_127rocblas_gemm_batched_kernelIfLi16ELi16ELi32ELi32ELi8ELi32ELi8ELi8ELi32ELc78ELc78EKPKfS3_KPfEEvlllT_PT11_llS8_llS6_PT12_llPT13_lli
	.p2align	8
	.type	_ZN12_GLOBAL__N_127rocblas_gemm_batched_kernelIfLi16ELi16ELi32ELi32ELi8ELi32ELi8ELi8ELi32ELc78ELc78EKPKfS3_KPfEEvlllT_PT11_llS8_llS6_PT12_llPT13_lli,@function
_ZN12_GLOBAL__N_127rocblas_gemm_batched_kernelIfLi16ELi16ELi32ELi32ELi8ELi32ELi8ELi8ELi32ELc78ELc78EKPKfS3_KPfEEvlllT_PT11_llS8_llS6_PT12_llPT13_lli: ; @_ZN12_GLOBAL__N_127rocblas_gemm_batched_kernelIfLi16ELi16ELi32ELi32ELi8ELi32ELi8ELi8ELi32ELc78ELc78EKPKfS3_KPfEEvlllT_PT11_llS8_llS6_PT12_llPT13_lli
; %bb.0:
	s_clause 0x1
	s_load_dwordx8 s[12:19], s[4:5], 0x58
	s_load_dwordx2 s[28:29], s[4:5], 0x10
	s_mov_b32 s9, 0
	s_mov_b32 s0, s7
	s_lshl_b64 s[34:35], s[8:9], 3
	s_load_dwordx4 s[8:11], s[4:5], 0x78
	v_mov_b32_e32 v9, 0
	v_mov_b32_e32 v8, 0
	v_mov_b32_e32 v7, 0
	v_mov_b32_e32 v6, 0
	s_waitcnt lgkmcnt(0)
	s_add_u32 s2, s12, s34
	s_addc_u32 s3, s13, s35
	s_add_u32 s18, s18, s34
	s_addc_u32 s19, s19, s35
	s_load_dwordx2 s[12:13], s[2:3], 0x0
	s_load_dwordx2 s[18:19], s[18:19], 0x0
	v_cmp_lt_i64_e64 s2, s[28:29], 1
	s_ashr_i32 s7, s6, 31
	s_ashr_i32 s1, s0, 31
	s_lshl_b64 s[6:7], s[6:7], 5
	s_lshl_b64 s[30:31], s[0:1], 5
	s_and_b32 vcc_lo, exec_lo, s2
	s_cbranch_vccnz .LBB38_3
; %bb.1:
	s_load_dwordx4 s[0:3], s[4:5], 0x40
	v_lshl_add_u32 v2, v1, 4, v0
	s_load_dwordx8 s[20:27], s[4:5], 0x20
	v_and_b32_e32 v3, 7, v0
	v_mov_b32_e32 v6, 0
	v_lshlrev_b32_e32 v10, 2, v0
	v_lshrrev_b32_e32 v4, 3, v2
	v_and_b32_e32 v9, 31, v2
	v_lshrrev_b32_e32 v8, 5, v2
	v_lshlrev_b32_e32 v14, 2, v3
	v_lshl_add_u32 v11, v1, 5, 0x400
	v_add_co_u32 v5, s33, v4, s30
	v_add_co_ci_u32_e64 v7, null, 0, s31, s33
	v_lshl_or_b32 v15, v4, 5, v14
	v_lshlrev_b32_e32 v12, 2, v9
	s_waitcnt lgkmcnt(0)
	v_mul_lo_u32 v13, s1, v5
	v_mul_lo_u32 v7, s0, v7
	v_mad_u64_u32 v[2:3], null, s0, v5, 0
	v_mad_u64_u32 v[4:5], null, s22, v8, s[6:7]
	s_add_u32 s0, s20, s34
	s_addc_u32 s1, s21, s35
	s_add_u32 s20, s26, s34
	s_addc_u32 s21, s27, s35
	v_add3_u32 v3, v3, v7, v13
	s_load_dwordx2 s[20:21], s[20:21], 0x0
	s_load_dwordx2 s[0:1], s[0:1], 0x0
	v_lshl_or_b32 v12, v8, 7, v12
	v_mad_u64_u32 v[7:8], null, s23, v8, v[5:6]
	v_lshlrev_b64 v[2:3], 2, v[2:3]
	s_lshl_b64 s[2:3], s[2:3], 2
	v_add_nc_u32_e32 v13, 0x400, v15
	v_add_co_u32 v5, vcc_lo, v2, s2
	v_add_co_ci_u32_e64 v8, null, s3, v3, vcc_lo
	v_add_co_u32 v2, vcc_lo, v4, v9
	v_add_co_ci_u32_e64 v3, null, 0, v7, vcc_lo
	;; [unrolled: 2-line block ×3, first 2 shown]
	v_lshlrev_b64 v[4:5], 2, v[2:3]
	s_lshl_b64 s[2:3], s[24:25], 2
	s_waitcnt lgkmcnt(0)
	v_add_co_u32 v2, vcc_lo, s20, v7
	s_add_u32 s0, s0, s2
	v_add_co_ci_u32_e64 v3, null, s21, v8, vcc_lo
	s_addc_u32 s1, s1, s3
	v_add_co_u32 v4, vcc_lo, s0, v4
	v_add_co_ci_u32_e64 v5, null, s1, v5, vcc_lo
	v_mov_b32_e32 v7, 0
	v_mov_b32_e32 v8, 0
	;; [unrolled: 1-line block ×3, first 2 shown]
	s_lshl_b64 s[2:3], s[22:23], 5
	s_mov_b64 s[20:21], 0
.LBB38_2:                               ; =>This Inner Loop Header: Depth=1
	flat_load_dword v14, v[4:5]
	s_add_u32 s20, s20, 8
	s_addc_u32 s21, s21, 0
	v_add_co_u32 v4, vcc_lo, v4, s2
	v_cmp_lt_i64_e64 s0, s[20:21], s[28:29]
	v_add_co_ci_u32_e64 v5, null, s3, v5, vcc_lo
	s_and_b32 vcc_lo, exec_lo, s0
	s_waitcnt vmcnt(0) lgkmcnt(0)
	ds_write_b32 v12, v14
	flat_load_dword v14, v[2:3]
	v_add_co_u32 v2, s0, v2, 32
	v_add_co_ci_u32_e64 v3, null, 0, v3, s0
	s_waitcnt vmcnt(0) lgkmcnt(0)
	ds_write_b32 v13, v14
	s_waitcnt lgkmcnt(0)
	s_barrier
	buffer_gl0_inv
	ds_read_b128 v[14:17], v11
	ds_read2_b32 v[30:31], v10 offset1:16
	ds_read_b128 v[18:21], v11 offset:512
	ds_read2_b32 v[32:33], v10 offset0:32 offset1:48
	ds_read2_b32 v[34:35], v10 offset0:64 offset1:80
	ds_read_b128 v[22:25], v11 offset:16
	ds_read2_b32 v[36:37], v10 offset0:96 offset1:112
	ds_read2_b32 v[38:39], v10 offset0:128 offset1:144
	;; [unrolled: 3-line block ×3, first 2 shown]
	ds_read2_b32 v[44:45], v10 offset0:224 offset1:240
	s_waitcnt lgkmcnt(0)
	s_barrier
	buffer_gl0_inv
	v_fmac_f32_e32 v9, v30, v14
	v_fmac_f32_e32 v8, v31, v14
	;; [unrolled: 1-line block ×32, first 2 shown]
	s_cbranch_vccnz .LBB38_2
.LBB38_3:
	s_clause 0x1
	s_load_dword s0, s[4:5], 0x50
	s_load_dword s1, s[4:5], 0x18
	v_add_co_u32 v2, s4, s30, v1
	v_add_co_ci_u32_e64 v5, null, s31, 0, s4
	v_add_co_u32 v0, s4, s6, v0
	v_add_co_ci_u32_e64 v1, null, s7, 0, s4
	v_mul_lo_u32 v3, v5, s8
	v_mul_lo_u32 v4, v2, s9
	s_lshl_b64 s[2:3], s[10:11], 2
	v_lshlrev_b64 v[0:1], 2, v[0:1]
	s_waitcnt lgkmcnt(0)
	s_add_u32 s2, s18, s2
	s_addc_u32 s3, s19, s3
	v_cmp_neq_f32_e64 s4, s0, 0
	s_and_b32 vcc_lo, exec_lo, s4
	s_mov_b32 s4, 0
	s_cbranch_vccnz .LBB38_7
; %bb.4:
	v_mad_u64_u32 v[10:11], null, v2, s8, 0
	s_lshl_b64 s[6:7], s[8:9], 6
	v_mul_f32_e32 v14, s1, v9
	v_mul_f32_e32 v15, s1, v8
	;; [unrolled: 1-line block ×4, first 2 shown]
	v_add3_u32 v11, v11, v4, v3
	v_lshlrev_b64 v[10:11], 2, v[10:11]
	v_add_co_u32 v10, vcc_lo, s2, v10
	v_add_co_ci_u32_e64 v11, null, s3, v11, vcc_lo
	v_add_co_u32 v12, vcc_lo, v10, s6
	v_add_co_ci_u32_e64 v13, null, s7, v11, vcc_lo
	;; [unrolled: 2-line block ×4, first 2 shown]
	flat_store_dword v[10:11], v14
	flat_store_dword v[10:11], v15 offset:64
	flat_store_dword v[12:13], v16
	flat_store_dword v[12:13], v17 offset:64
	s_andn2_b32 vcc_lo, exec_lo, s4
	s_cbranch_vccnz .LBB38_6
.LBB38_5:
	v_mul_lo_u32 v5, v5, s14
	v_mul_lo_u32 v12, v2, s15
	v_mad_u64_u32 v[10:11], null, v2, s14, 0
	s_lshl_b64 s[4:5], s[16:17], 2
	s_add_u32 s4, s12, s4
	s_addc_u32 s5, s13, s5
	v_add3_u32 v11, v11, v12, v5
	v_mad_u64_u32 v[12:13], null, v2, s8, 0
	v_lshlrev_b64 v[10:11], 2, v[10:11]
	v_add3_u32 v13, v13, v4, v3
	v_add_co_u32 v5, vcc_lo, s4, v10
	v_add_co_ci_u32_e64 v14, null, s5, v11, vcc_lo
	v_lshlrev_b64 v[2:3], 2, v[12:13]
	v_add_co_u32 v10, vcc_lo, v5, v0
	v_add_co_ci_u32_e64 v11, null, v14, v1, vcc_lo
	v_add_co_u32 v12, vcc_lo, s2, v2
	flat_load_dword v15, v[10:11]
	v_add_co_ci_u32_e64 v13, null, s3, v3, vcc_lo
	v_add_co_u32 v2, vcc_lo, v12, v0
	s_lshl_b64 s[2:3], s[14:15], 6
	v_add_co_ci_u32_e64 v3, null, v13, v1, vcc_lo
	s_waitcnt vmcnt(0) lgkmcnt(0)
	v_mul_f32_e32 v4, s0, v15
	v_fmac_f32_e32 v4, s1, v9
	flat_store_dword v[2:3], v4
	flat_load_dword v4, v[10:11] offset:64
	s_waitcnt vmcnt(0) lgkmcnt(0)
	v_mul_f32_e32 v9, s0, v4
	v_add_co_u32 v4, vcc_lo, v5, s2
	v_add_co_ci_u32_e64 v5, null, s3, v14, vcc_lo
	v_fmac_f32_e32 v9, s1, v8
	v_add_co_u32 v4, vcc_lo, v4, v0
	v_add_co_ci_u32_e64 v5, null, v5, v1, vcc_lo
	flat_store_dword v[2:3], v9 offset:64
	s_lshl_b64 s[2:3], s[8:9], 6
	flat_load_dword v2, v[4:5]
	v_add_co_u32 v3, vcc_lo, v12, s2
	v_add_co_ci_u32_e64 v8, null, s3, v13, vcc_lo
	v_add_co_u32 v0, vcc_lo, v3, v0
	v_add_co_ci_u32_e64 v1, null, v8, v1, vcc_lo
	s_waitcnt vmcnt(0) lgkmcnt(0)
	v_mul_f32_e32 v2, s0, v2
	v_fmac_f32_e32 v2, s1, v7
	flat_store_dword v[0:1], v2
	flat_load_dword v2, v[4:5] offset:64
	s_waitcnt vmcnt(0) lgkmcnt(0)
	v_mul_f32_e32 v2, s0, v2
	v_fmac_f32_e32 v2, s1, v6
	flat_store_dword v[0:1], v2 offset:64
.LBB38_6:
	s_endpgm
.LBB38_7:
	s_branch .LBB38_5
	.section	.rodata,"a",@progbits
	.p2align	6, 0x0
	.amdhsa_kernel _ZN12_GLOBAL__N_127rocblas_gemm_batched_kernelIfLi16ELi16ELi32ELi32ELi8ELi32ELi8ELi8ELi32ELc78ELc78EKPKfS3_KPfEEvlllT_PT11_llS8_llS6_PT12_llPT13_lli
		.amdhsa_group_segment_fixed_size 2048
		.amdhsa_private_segment_fixed_size 0
		.amdhsa_kernarg_size 140
		.amdhsa_user_sgpr_count 6
		.amdhsa_user_sgpr_private_segment_buffer 1
		.amdhsa_user_sgpr_dispatch_ptr 0
		.amdhsa_user_sgpr_queue_ptr 0
		.amdhsa_user_sgpr_kernarg_segment_ptr 1
		.amdhsa_user_sgpr_dispatch_id 0
		.amdhsa_user_sgpr_flat_scratch_init 0
		.amdhsa_user_sgpr_private_segment_size 0
		.amdhsa_wavefront_size32 1
		.amdhsa_uses_dynamic_stack 0
		.amdhsa_system_sgpr_private_segment_wavefront_offset 0
		.amdhsa_system_sgpr_workgroup_id_x 1
		.amdhsa_system_sgpr_workgroup_id_y 1
		.amdhsa_system_sgpr_workgroup_id_z 1
		.amdhsa_system_sgpr_workgroup_info 0
		.amdhsa_system_vgpr_workitem_id 1
		.amdhsa_next_free_vgpr 46
		.amdhsa_next_free_sgpr 36
		.amdhsa_reserve_vcc 1
		.amdhsa_reserve_flat_scratch 0
		.amdhsa_float_round_mode_32 0
		.amdhsa_float_round_mode_16_64 0
		.amdhsa_float_denorm_mode_32 3
		.amdhsa_float_denorm_mode_16_64 3
		.amdhsa_dx10_clamp 1
		.amdhsa_ieee_mode 1
		.amdhsa_fp16_overflow 0
		.amdhsa_workgroup_processor_mode 1
		.amdhsa_memory_ordered 1
		.amdhsa_forward_progress 1
		.amdhsa_shared_vgpr_count 0
		.amdhsa_exception_fp_ieee_invalid_op 0
		.amdhsa_exception_fp_denorm_src 0
		.amdhsa_exception_fp_ieee_div_zero 0
		.amdhsa_exception_fp_ieee_overflow 0
		.amdhsa_exception_fp_ieee_underflow 0
		.amdhsa_exception_fp_ieee_inexact 0
		.amdhsa_exception_int_div_zero 0
	.end_amdhsa_kernel
	.section	.text._ZN12_GLOBAL__N_127rocblas_gemm_batched_kernelIfLi16ELi16ELi32ELi32ELi8ELi32ELi8ELi8ELi32ELc78ELc78EKPKfS3_KPfEEvlllT_PT11_llS8_llS6_PT12_llPT13_lli,"axG",@progbits,_ZN12_GLOBAL__N_127rocblas_gemm_batched_kernelIfLi16ELi16ELi32ELi32ELi8ELi32ELi8ELi8ELi32ELc78ELc78EKPKfS3_KPfEEvlllT_PT11_llS8_llS6_PT12_llPT13_lli,comdat
.Lfunc_end38:
	.size	_ZN12_GLOBAL__N_127rocblas_gemm_batched_kernelIfLi16ELi16ELi32ELi32ELi8ELi32ELi8ELi8ELi32ELc78ELc78EKPKfS3_KPfEEvlllT_PT11_llS8_llS6_PT12_llPT13_lli, .Lfunc_end38-_ZN12_GLOBAL__N_127rocblas_gemm_batched_kernelIfLi16ELi16ELi32ELi32ELi8ELi32ELi8ELi8ELi32ELc78ELc78EKPKfS3_KPfEEvlllT_PT11_llS8_llS6_PT12_llPT13_lli
                                        ; -- End function
	.set _ZN12_GLOBAL__N_127rocblas_gemm_batched_kernelIfLi16ELi16ELi32ELi32ELi8ELi32ELi8ELi8ELi32ELc78ELc78EKPKfS3_KPfEEvlllT_PT11_llS8_llS6_PT12_llPT13_lli.num_vgpr, 46
	.set _ZN12_GLOBAL__N_127rocblas_gemm_batched_kernelIfLi16ELi16ELi32ELi32ELi8ELi32ELi8ELi8ELi32ELc78ELc78EKPKfS3_KPfEEvlllT_PT11_llS8_llS6_PT12_llPT13_lli.num_agpr, 0
	.set _ZN12_GLOBAL__N_127rocblas_gemm_batched_kernelIfLi16ELi16ELi32ELi32ELi8ELi32ELi8ELi8ELi32ELc78ELc78EKPKfS3_KPfEEvlllT_PT11_llS8_llS6_PT12_llPT13_lli.numbered_sgpr, 36
	.set _ZN12_GLOBAL__N_127rocblas_gemm_batched_kernelIfLi16ELi16ELi32ELi32ELi8ELi32ELi8ELi8ELi32ELc78ELc78EKPKfS3_KPfEEvlllT_PT11_llS8_llS6_PT12_llPT13_lli.num_named_barrier, 0
	.set _ZN12_GLOBAL__N_127rocblas_gemm_batched_kernelIfLi16ELi16ELi32ELi32ELi8ELi32ELi8ELi8ELi32ELc78ELc78EKPKfS3_KPfEEvlllT_PT11_llS8_llS6_PT12_llPT13_lli.private_seg_size, 0
	.set _ZN12_GLOBAL__N_127rocblas_gemm_batched_kernelIfLi16ELi16ELi32ELi32ELi8ELi32ELi8ELi8ELi32ELc78ELc78EKPKfS3_KPfEEvlllT_PT11_llS8_llS6_PT12_llPT13_lli.uses_vcc, 1
	.set _ZN12_GLOBAL__N_127rocblas_gemm_batched_kernelIfLi16ELi16ELi32ELi32ELi8ELi32ELi8ELi8ELi32ELc78ELc78EKPKfS3_KPfEEvlllT_PT11_llS8_llS6_PT12_llPT13_lli.uses_flat_scratch, 0
	.set _ZN12_GLOBAL__N_127rocblas_gemm_batched_kernelIfLi16ELi16ELi32ELi32ELi8ELi32ELi8ELi8ELi32ELc78ELc78EKPKfS3_KPfEEvlllT_PT11_llS8_llS6_PT12_llPT13_lli.has_dyn_sized_stack, 0
	.set _ZN12_GLOBAL__N_127rocblas_gemm_batched_kernelIfLi16ELi16ELi32ELi32ELi8ELi32ELi8ELi8ELi32ELc78ELc78EKPKfS3_KPfEEvlllT_PT11_llS8_llS6_PT12_llPT13_lli.has_recursion, 0
	.set _ZN12_GLOBAL__N_127rocblas_gemm_batched_kernelIfLi16ELi16ELi32ELi32ELi8ELi32ELi8ELi8ELi32ELc78ELc78EKPKfS3_KPfEEvlllT_PT11_llS8_llS6_PT12_llPT13_lli.has_indirect_call, 0
	.section	.AMDGPU.csdata,"",@progbits
; Kernel info:
; codeLenInByte = 1396
; TotalNumSgprs: 38
; NumVgprs: 46
; ScratchSize: 0
; MemoryBound: 0
; FloatMode: 240
; IeeeMode: 1
; LDSByteSize: 2048 bytes/workgroup (compile time only)
; SGPRBlocks: 0
; VGPRBlocks: 5
; NumSGPRsForWavesPerEU: 38
; NumVGPRsForWavesPerEU: 46
; Occupancy: 16
; WaveLimiterHint : 1
; COMPUTE_PGM_RSRC2:SCRATCH_EN: 0
; COMPUTE_PGM_RSRC2:USER_SGPR: 6
; COMPUTE_PGM_RSRC2:TRAP_HANDLER: 0
; COMPUTE_PGM_RSRC2:TGID_X_EN: 1
; COMPUTE_PGM_RSRC2:TGID_Y_EN: 1
; COMPUTE_PGM_RSRC2:TGID_Z_EN: 1
; COMPUTE_PGM_RSRC2:TIDIG_COMP_CNT: 1
	.section	.text._ZN12_GLOBAL__N_127rocblas_gemm_batched_kernelIfLi16ELi16ELi32ELi32ELi8ELi32ELi8ELi8ELi32ELc84ELc78EKPKfS3_KPfEEvlllT_PT11_llS8_llS6_PT12_llPT13_lli,"axG",@progbits,_ZN12_GLOBAL__N_127rocblas_gemm_batched_kernelIfLi16ELi16ELi32ELi32ELi8ELi32ELi8ELi8ELi32ELc84ELc78EKPKfS3_KPfEEvlllT_PT11_llS8_llS6_PT12_llPT13_lli,comdat
	.globl	_ZN12_GLOBAL__N_127rocblas_gemm_batched_kernelIfLi16ELi16ELi32ELi32ELi8ELi32ELi8ELi8ELi32ELc84ELc78EKPKfS3_KPfEEvlllT_PT11_llS8_llS6_PT12_llPT13_lli ; -- Begin function _ZN12_GLOBAL__N_127rocblas_gemm_batched_kernelIfLi16ELi16ELi32ELi32ELi8ELi32ELi8ELi8ELi32ELc84ELc78EKPKfS3_KPfEEvlllT_PT11_llS8_llS6_PT12_llPT13_lli
	.p2align	8
	.type	_ZN12_GLOBAL__N_127rocblas_gemm_batched_kernelIfLi16ELi16ELi32ELi32ELi8ELi32ELi8ELi8ELi32ELc84ELc78EKPKfS3_KPfEEvlllT_PT11_llS8_llS6_PT12_llPT13_lli,@function
_ZN12_GLOBAL__N_127rocblas_gemm_batched_kernelIfLi16ELi16ELi32ELi32ELi8ELi32ELi8ELi8ELi32ELc84ELc78EKPKfS3_KPfEEvlllT_PT11_llS8_llS6_PT12_llPT13_lli: ; @_ZN12_GLOBAL__N_127rocblas_gemm_batched_kernelIfLi16ELi16ELi32ELi32ELi8ELi32ELi8ELi8ELi32ELc84ELc78EKPKfS3_KPfEEvlllT_PT11_llS8_llS6_PT12_llPT13_lli
; %bb.0:
	s_clause 0x1
	s_load_dwordx8 s[12:19], s[4:5], 0x58
	s_load_dwordx2 s[28:29], s[4:5], 0x10
	s_mov_b32 s9, 0
	s_mov_b32 s0, s7
	s_lshl_b64 s[34:35], s[8:9], 3
	s_load_dwordx4 s[8:11], s[4:5], 0x78
	v_mov_b32_e32 v9, 0
	v_mov_b32_e32 v8, 0
	;; [unrolled: 1-line block ×4, first 2 shown]
	s_waitcnt lgkmcnt(0)
	s_add_u32 s2, s12, s34
	s_addc_u32 s3, s13, s35
	s_add_u32 s18, s18, s34
	s_addc_u32 s19, s19, s35
	s_load_dwordx2 s[12:13], s[2:3], 0x0
	s_load_dwordx2 s[18:19], s[18:19], 0x0
	v_cmp_lt_i64_e64 s2, s[28:29], 1
	s_ashr_i32 s7, s6, 31
	s_ashr_i32 s1, s0, 31
	s_lshl_b64 s[6:7], s[6:7], 5
	s_lshl_b64 s[30:31], s[0:1], 5
	s_and_b32 vcc_lo, exec_lo, s2
	s_cbranch_vccnz .LBB39_3
; %bb.1:
	s_clause 0x1
	s_load_dwordx8 s[20:27], s[4:5], 0x20
	s_load_dwordx4 s[0:3], s[4:5], 0x40
	v_lshl_add_u32 v2, v1, 4, v0
	v_and_b32_e32 v3, 7, v0
	v_lshrrev_b32_e32 v6, 3, v2
	v_and_b32_e32 v7, 31, v2
	v_lshrrev_b32_e32 v8, 5, v2
	v_lshlrev_b32_e32 v9, 2, v3
	v_add_co_u32 v2, s33, v6, s30
	v_add_co_ci_u32_e64 v3, null, 0, s31, s33
	v_add_co_u32 v4, s33, s6, v7
	v_add_co_ci_u32_e64 v5, null, s7, 0, s33
	s_waitcnt lgkmcnt(0)
	s_add_u32 s20, s20, s34
	v_mul_lo_u32 v10, s1, v2
	v_mul_lo_u32 v11, s0, v3
	v_mad_u64_u32 v[2:3], null, s0, v2, 0
	v_mul_lo_u32 v12, s23, v4
	v_mul_lo_u32 v13, s22, v5
	v_mad_u64_u32 v[4:5], null, s22, v4, 0
	s_addc_u32 s21, s21, s35
	s_add_u32 s26, s26, s34
	v_add3_u32 v3, v3, v11, v10
	s_addc_u32 s27, s27, s35
	s_load_dwordx2 s[20:21], s[20:21], 0x0
	s_load_dwordx2 s[0:1], s[26:27], 0x0
	v_add3_u32 v5, v5, v13, v12
	v_lshlrev_b64 v[2:3], 2, v[2:3]
	s_lshl_b64 s[2:3], s[2:3], 2
	v_lshlrev_b32_e32 v7, 2, v7
	v_lshl_or_b32 v14, v6, 5, v9
	v_lshlrev_b64 v[4:5], 2, v[4:5]
	v_mov_b32_e32 v6, 0
	v_add_co_u32 v2, vcc_lo, v2, s2
	v_add_co_ci_u32_e64 v3, null, s3, v3, vcc_lo
	s_lshl_b64 s[2:3], s[24:25], 2
	v_lshl_or_b32 v10, v8, 7, v7
	v_add_co_u32 v4, vcc_lo, v4, s2
	v_lshlrev_b32_e32 v7, 2, v8
	v_add_co_ci_u32_e64 v5, null, s3, v5, vcc_lo
	v_add_co_u32 v2, vcc_lo, v2, v9
	v_add_co_ci_u32_e64 v3, null, 0, v3, vcc_lo
	v_add_co_u32 v4, vcc_lo, v4, v7
	v_add_co_ci_u32_e64 v5, null, 0, v5, vcc_lo
	s_waitcnt lgkmcnt(0)
	v_add_co_u32 v2, vcc_lo, s0, v2
	v_add_co_ci_u32_e64 v3, null, s1, v3, vcc_lo
	v_add_co_u32 v4, vcc_lo, s20, v4
	v_add_nc_u32_e32 v11, 0x400, v14
	v_lshlrev_b32_e32 v12, 2, v0
	v_lshl_add_u32 v13, v1, 5, 0x400
	v_add_co_ci_u32_e64 v5, null, s21, v5, vcc_lo
	v_mov_b32_e32 v7, 0
	v_mov_b32_e32 v8, 0
	;; [unrolled: 1-line block ×3, first 2 shown]
	s_mov_b64 s[2:3], 0
.LBB39_2:                               ; =>This Inner Loop Header: Depth=1
	flat_load_dword v14, v[4:5]
	s_add_u32 s2, s2, 8
	s_addc_u32 s3, s3, 0
	v_add_co_u32 v4, vcc_lo, v4, 32
	v_cmp_lt_i64_e64 s0, s[2:3], s[28:29]
	v_add_co_ci_u32_e64 v5, null, 0, v5, vcc_lo
	s_and_b32 vcc_lo, exec_lo, s0
	s_waitcnt vmcnt(0) lgkmcnt(0)
	ds_write_b32 v10, v14
	flat_load_dword v14, v[2:3]
	v_add_co_u32 v2, s0, v2, 32
	v_add_co_ci_u32_e64 v3, null, 0, v3, s0
	s_waitcnt vmcnt(0) lgkmcnt(0)
	ds_write_b32 v11, v14
	s_waitcnt lgkmcnt(0)
	s_barrier
	buffer_gl0_inv
	ds_read_b128 v[14:17], v13
	ds_read2_b32 v[30:31], v12 offset1:16
	ds_read_b128 v[18:21], v13 offset:512
	ds_read2_b32 v[32:33], v12 offset0:32 offset1:48
	ds_read2_b32 v[34:35], v12 offset0:64 offset1:80
	ds_read_b128 v[22:25], v13 offset:16
	ds_read2_b32 v[36:37], v12 offset0:96 offset1:112
	ds_read2_b32 v[38:39], v12 offset0:128 offset1:144
	;; [unrolled: 3-line block ×3, first 2 shown]
	ds_read2_b32 v[44:45], v12 offset0:224 offset1:240
	s_waitcnt lgkmcnt(0)
	s_barrier
	buffer_gl0_inv
	v_fmac_f32_e32 v9, v30, v14
	v_fmac_f32_e32 v8, v31, v14
	;; [unrolled: 1-line block ×32, first 2 shown]
	s_cbranch_vccnz .LBB39_2
.LBB39_3:
	s_clause 0x1
	s_load_dword s0, s[4:5], 0x50
	s_load_dword s1, s[4:5], 0x18
	v_add_co_u32 v2, s4, s30, v1
	v_add_co_ci_u32_e64 v5, null, s31, 0, s4
	v_add_co_u32 v0, s4, s6, v0
	v_add_co_ci_u32_e64 v1, null, s7, 0, s4
	v_mul_lo_u32 v3, v5, s8
	v_mul_lo_u32 v4, v2, s9
	s_lshl_b64 s[2:3], s[10:11], 2
	v_lshlrev_b64 v[0:1], 2, v[0:1]
	s_waitcnt lgkmcnt(0)
	s_add_u32 s2, s18, s2
	s_addc_u32 s3, s19, s3
	v_cmp_neq_f32_e64 s4, s0, 0
	s_and_b32 vcc_lo, exec_lo, s4
	s_mov_b32 s4, 0
	s_cbranch_vccnz .LBB39_7
; %bb.4:
	v_mad_u64_u32 v[10:11], null, v2, s8, 0
	s_lshl_b64 s[6:7], s[8:9], 6
	v_mul_f32_e32 v14, s1, v9
	v_mul_f32_e32 v15, s1, v8
	v_mul_f32_e32 v16, s1, v7
	v_mul_f32_e32 v17, s1, v6
	v_add3_u32 v11, v11, v4, v3
	v_lshlrev_b64 v[10:11], 2, v[10:11]
	v_add_co_u32 v10, vcc_lo, s2, v10
	v_add_co_ci_u32_e64 v11, null, s3, v11, vcc_lo
	v_add_co_u32 v12, vcc_lo, v10, s6
	v_add_co_ci_u32_e64 v13, null, s7, v11, vcc_lo
	;; [unrolled: 2-line block ×4, first 2 shown]
	flat_store_dword v[10:11], v14
	flat_store_dword v[10:11], v15 offset:64
	flat_store_dword v[12:13], v16
	flat_store_dword v[12:13], v17 offset:64
	s_andn2_b32 vcc_lo, exec_lo, s4
	s_cbranch_vccnz .LBB39_6
.LBB39_5:
	v_mul_lo_u32 v5, v5, s14
	v_mul_lo_u32 v12, v2, s15
	v_mad_u64_u32 v[10:11], null, v2, s14, 0
	s_lshl_b64 s[4:5], s[16:17], 2
	s_add_u32 s4, s12, s4
	s_addc_u32 s5, s13, s5
	v_add3_u32 v11, v11, v12, v5
	v_mad_u64_u32 v[12:13], null, v2, s8, 0
	v_lshlrev_b64 v[10:11], 2, v[10:11]
	v_add3_u32 v13, v13, v4, v3
	v_add_co_u32 v5, vcc_lo, s4, v10
	v_add_co_ci_u32_e64 v14, null, s5, v11, vcc_lo
	v_lshlrev_b64 v[2:3], 2, v[12:13]
	v_add_co_u32 v10, vcc_lo, v5, v0
	v_add_co_ci_u32_e64 v11, null, v14, v1, vcc_lo
	v_add_co_u32 v12, vcc_lo, s2, v2
	flat_load_dword v15, v[10:11]
	v_add_co_ci_u32_e64 v13, null, s3, v3, vcc_lo
	v_add_co_u32 v2, vcc_lo, v12, v0
	s_lshl_b64 s[2:3], s[14:15], 6
	v_add_co_ci_u32_e64 v3, null, v13, v1, vcc_lo
	s_waitcnt vmcnt(0) lgkmcnt(0)
	v_mul_f32_e32 v4, s0, v15
	v_fmac_f32_e32 v4, s1, v9
	flat_store_dword v[2:3], v4
	flat_load_dword v4, v[10:11] offset:64
	s_waitcnt vmcnt(0) lgkmcnt(0)
	v_mul_f32_e32 v9, s0, v4
	v_add_co_u32 v4, vcc_lo, v5, s2
	v_add_co_ci_u32_e64 v5, null, s3, v14, vcc_lo
	v_fmac_f32_e32 v9, s1, v8
	v_add_co_u32 v4, vcc_lo, v4, v0
	v_add_co_ci_u32_e64 v5, null, v5, v1, vcc_lo
	flat_store_dword v[2:3], v9 offset:64
	s_lshl_b64 s[2:3], s[8:9], 6
	flat_load_dword v2, v[4:5]
	v_add_co_u32 v3, vcc_lo, v12, s2
	v_add_co_ci_u32_e64 v8, null, s3, v13, vcc_lo
	v_add_co_u32 v0, vcc_lo, v3, v0
	v_add_co_ci_u32_e64 v1, null, v8, v1, vcc_lo
	s_waitcnt vmcnt(0) lgkmcnt(0)
	v_mul_f32_e32 v2, s0, v2
	v_fmac_f32_e32 v2, s1, v7
	flat_store_dword v[0:1], v2
	flat_load_dword v2, v[4:5] offset:64
	s_waitcnt vmcnt(0) lgkmcnt(0)
	v_mul_f32_e32 v2, s0, v2
	v_fmac_f32_e32 v2, s1, v6
	flat_store_dword v[0:1], v2 offset:64
.LBB39_6:
	s_endpgm
.LBB39_7:
	s_branch .LBB39_5
	.section	.rodata,"a",@progbits
	.p2align	6, 0x0
	.amdhsa_kernel _ZN12_GLOBAL__N_127rocblas_gemm_batched_kernelIfLi16ELi16ELi32ELi32ELi8ELi32ELi8ELi8ELi32ELc84ELc78EKPKfS3_KPfEEvlllT_PT11_llS8_llS6_PT12_llPT13_lli
		.amdhsa_group_segment_fixed_size 2048
		.amdhsa_private_segment_fixed_size 0
		.amdhsa_kernarg_size 140
		.amdhsa_user_sgpr_count 6
		.amdhsa_user_sgpr_private_segment_buffer 1
		.amdhsa_user_sgpr_dispatch_ptr 0
		.amdhsa_user_sgpr_queue_ptr 0
		.amdhsa_user_sgpr_kernarg_segment_ptr 1
		.amdhsa_user_sgpr_dispatch_id 0
		.amdhsa_user_sgpr_flat_scratch_init 0
		.amdhsa_user_sgpr_private_segment_size 0
		.amdhsa_wavefront_size32 1
		.amdhsa_uses_dynamic_stack 0
		.amdhsa_system_sgpr_private_segment_wavefront_offset 0
		.amdhsa_system_sgpr_workgroup_id_x 1
		.amdhsa_system_sgpr_workgroup_id_y 1
		.amdhsa_system_sgpr_workgroup_id_z 1
		.amdhsa_system_sgpr_workgroup_info 0
		.amdhsa_system_vgpr_workitem_id 1
		.amdhsa_next_free_vgpr 46
		.amdhsa_next_free_sgpr 36
		.amdhsa_reserve_vcc 1
		.amdhsa_reserve_flat_scratch 0
		.amdhsa_float_round_mode_32 0
		.amdhsa_float_round_mode_16_64 0
		.amdhsa_float_denorm_mode_32 3
		.amdhsa_float_denorm_mode_16_64 3
		.amdhsa_dx10_clamp 1
		.amdhsa_ieee_mode 1
		.amdhsa_fp16_overflow 0
		.amdhsa_workgroup_processor_mode 1
		.amdhsa_memory_ordered 1
		.amdhsa_forward_progress 1
		.amdhsa_shared_vgpr_count 0
		.amdhsa_exception_fp_ieee_invalid_op 0
		.amdhsa_exception_fp_denorm_src 0
		.amdhsa_exception_fp_ieee_div_zero 0
		.amdhsa_exception_fp_ieee_overflow 0
		.amdhsa_exception_fp_ieee_underflow 0
		.amdhsa_exception_fp_ieee_inexact 0
		.amdhsa_exception_int_div_zero 0
	.end_amdhsa_kernel
	.section	.text._ZN12_GLOBAL__N_127rocblas_gemm_batched_kernelIfLi16ELi16ELi32ELi32ELi8ELi32ELi8ELi8ELi32ELc84ELc78EKPKfS3_KPfEEvlllT_PT11_llS8_llS6_PT12_llPT13_lli,"axG",@progbits,_ZN12_GLOBAL__N_127rocblas_gemm_batched_kernelIfLi16ELi16ELi32ELi32ELi8ELi32ELi8ELi8ELi32ELc84ELc78EKPKfS3_KPfEEvlllT_PT11_llS8_llS6_PT12_llPT13_lli,comdat
.Lfunc_end39:
	.size	_ZN12_GLOBAL__N_127rocblas_gemm_batched_kernelIfLi16ELi16ELi32ELi32ELi8ELi32ELi8ELi8ELi32ELc84ELc78EKPKfS3_KPfEEvlllT_PT11_llS8_llS6_PT12_llPT13_lli, .Lfunc_end39-_ZN12_GLOBAL__N_127rocblas_gemm_batched_kernelIfLi16ELi16ELi32ELi32ELi8ELi32ELi8ELi8ELi32ELc84ELc78EKPKfS3_KPfEEvlllT_PT11_llS8_llS6_PT12_llPT13_lli
                                        ; -- End function
	.set _ZN12_GLOBAL__N_127rocblas_gemm_batched_kernelIfLi16ELi16ELi32ELi32ELi8ELi32ELi8ELi8ELi32ELc84ELc78EKPKfS3_KPfEEvlllT_PT11_llS8_llS6_PT12_llPT13_lli.num_vgpr, 46
	.set _ZN12_GLOBAL__N_127rocblas_gemm_batched_kernelIfLi16ELi16ELi32ELi32ELi8ELi32ELi8ELi8ELi32ELc84ELc78EKPKfS3_KPfEEvlllT_PT11_llS8_llS6_PT12_llPT13_lli.num_agpr, 0
	.set _ZN12_GLOBAL__N_127rocblas_gemm_batched_kernelIfLi16ELi16ELi32ELi32ELi8ELi32ELi8ELi8ELi32ELc84ELc78EKPKfS3_KPfEEvlllT_PT11_llS8_llS6_PT12_llPT13_lli.numbered_sgpr, 36
	.set _ZN12_GLOBAL__N_127rocblas_gemm_batched_kernelIfLi16ELi16ELi32ELi32ELi8ELi32ELi8ELi8ELi32ELc84ELc78EKPKfS3_KPfEEvlllT_PT11_llS8_llS6_PT12_llPT13_lli.num_named_barrier, 0
	.set _ZN12_GLOBAL__N_127rocblas_gemm_batched_kernelIfLi16ELi16ELi32ELi32ELi8ELi32ELi8ELi8ELi32ELc84ELc78EKPKfS3_KPfEEvlllT_PT11_llS8_llS6_PT12_llPT13_lli.private_seg_size, 0
	.set _ZN12_GLOBAL__N_127rocblas_gemm_batched_kernelIfLi16ELi16ELi32ELi32ELi8ELi32ELi8ELi8ELi32ELc84ELc78EKPKfS3_KPfEEvlllT_PT11_llS8_llS6_PT12_llPT13_lli.uses_vcc, 1
	.set _ZN12_GLOBAL__N_127rocblas_gemm_batched_kernelIfLi16ELi16ELi32ELi32ELi8ELi32ELi8ELi8ELi32ELc84ELc78EKPKfS3_KPfEEvlllT_PT11_llS8_llS6_PT12_llPT13_lli.uses_flat_scratch, 0
	.set _ZN12_GLOBAL__N_127rocblas_gemm_batched_kernelIfLi16ELi16ELi32ELi32ELi8ELi32ELi8ELi8ELi32ELc84ELc78EKPKfS3_KPfEEvlllT_PT11_llS8_llS6_PT12_llPT13_lli.has_dyn_sized_stack, 0
	.set _ZN12_GLOBAL__N_127rocblas_gemm_batched_kernelIfLi16ELi16ELi32ELi32ELi8ELi32ELi8ELi8ELi32ELc84ELc78EKPKfS3_KPfEEvlllT_PT11_llS8_llS6_PT12_llPT13_lli.has_recursion, 0
	.set _ZN12_GLOBAL__N_127rocblas_gemm_batched_kernelIfLi16ELi16ELi32ELi32ELi8ELi32ELi8ELi8ELi32ELc84ELc78EKPKfS3_KPfEEvlllT_PT11_llS8_llS6_PT12_llPT13_lli.has_indirect_call, 0
	.section	.AMDGPU.csdata,"",@progbits
; Kernel info:
; codeLenInByte = 1440
; TotalNumSgprs: 38
; NumVgprs: 46
; ScratchSize: 0
; MemoryBound: 0
; FloatMode: 240
; IeeeMode: 1
; LDSByteSize: 2048 bytes/workgroup (compile time only)
; SGPRBlocks: 0
; VGPRBlocks: 5
; NumSGPRsForWavesPerEU: 38
; NumVGPRsForWavesPerEU: 46
; Occupancy: 16
; WaveLimiterHint : 1
; COMPUTE_PGM_RSRC2:SCRATCH_EN: 0
; COMPUTE_PGM_RSRC2:USER_SGPR: 6
; COMPUTE_PGM_RSRC2:TRAP_HANDLER: 0
; COMPUTE_PGM_RSRC2:TGID_X_EN: 1
; COMPUTE_PGM_RSRC2:TGID_Y_EN: 1
; COMPUTE_PGM_RSRC2:TGID_Z_EN: 1
; COMPUTE_PGM_RSRC2:TIDIG_COMP_CNT: 1
	.section	.text._ZN12_GLOBAL__N_127rocblas_gemm_batched_kernelIfLi16ELi16ELi32ELi32ELi8ELi32ELi8ELi8ELi32ELc78ELc84EKPKfS3_KPfEEvlllT_PT11_llS8_llS6_PT12_llPT13_lli,"axG",@progbits,_ZN12_GLOBAL__N_127rocblas_gemm_batched_kernelIfLi16ELi16ELi32ELi32ELi8ELi32ELi8ELi8ELi32ELc78ELc84EKPKfS3_KPfEEvlllT_PT11_llS8_llS6_PT12_llPT13_lli,comdat
	.globl	_ZN12_GLOBAL__N_127rocblas_gemm_batched_kernelIfLi16ELi16ELi32ELi32ELi8ELi32ELi8ELi8ELi32ELc78ELc84EKPKfS3_KPfEEvlllT_PT11_llS8_llS6_PT12_llPT13_lli ; -- Begin function _ZN12_GLOBAL__N_127rocblas_gemm_batched_kernelIfLi16ELi16ELi32ELi32ELi8ELi32ELi8ELi8ELi32ELc78ELc84EKPKfS3_KPfEEvlllT_PT11_llS8_llS6_PT12_llPT13_lli
	.p2align	8
	.type	_ZN12_GLOBAL__N_127rocblas_gemm_batched_kernelIfLi16ELi16ELi32ELi32ELi8ELi32ELi8ELi8ELi32ELc78ELc84EKPKfS3_KPfEEvlllT_PT11_llS8_llS6_PT12_llPT13_lli,@function
_ZN12_GLOBAL__N_127rocblas_gemm_batched_kernelIfLi16ELi16ELi32ELi32ELi8ELi32ELi8ELi8ELi32ELc78ELc84EKPKfS3_KPfEEvlllT_PT11_llS8_llS6_PT12_llPT13_lli: ; @_ZN12_GLOBAL__N_127rocblas_gemm_batched_kernelIfLi16ELi16ELi32ELi32ELi8ELi32ELi8ELi8ELi32ELc78ELc84EKPKfS3_KPfEEvlllT_PT11_llS8_llS6_PT12_llPT13_lli
; %bb.0:
	s_clause 0x1
	s_load_dwordx8 s[12:19], s[4:5], 0x58
	s_load_dwordx2 s[28:29], s[4:5], 0x10
	s_mov_b32 s9, 0
	s_mov_b32 s0, s7
	s_lshl_b64 s[34:35], s[8:9], 3
	s_load_dwordx4 s[8:11], s[4:5], 0x78
	v_mov_b32_e32 v9, 0
	v_mov_b32_e32 v8, 0
	;; [unrolled: 1-line block ×4, first 2 shown]
	s_waitcnt lgkmcnt(0)
	s_add_u32 s2, s12, s34
	s_addc_u32 s3, s13, s35
	s_add_u32 s18, s18, s34
	s_addc_u32 s19, s19, s35
	s_load_dwordx2 s[12:13], s[2:3], 0x0
	s_load_dwordx2 s[18:19], s[18:19], 0x0
	v_cmp_lt_i64_e64 s2, s[28:29], 1
	s_ashr_i32 s7, s6, 31
	s_ashr_i32 s1, s0, 31
	s_lshl_b64 s[6:7], s[6:7], 5
	s_lshl_b64 s[30:31], s[0:1], 5
	s_and_b32 vcc_lo, exec_lo, s2
	s_cbranch_vccnz .LBB40_3
; %bb.1:
	s_clause 0x1
	s_load_dwordx8 s[20:27], s[4:5], 0x20
	s_load_dwordx4 s[0:3], s[4:5], 0x40
	v_lshl_add_u32 v4, v1, 4, v0
	v_mov_b32_e32 v3, 0
	v_and_b32_e32 v8, 7, v0
	v_lshlrev_b32_e32 v10, 2, v0
	v_lshl_add_u32 v11, v1, 5, 0x400
	v_lshrrev_b32_e32 v2, 3, v4
	v_lshrrev_b32_e32 v9, 5, v4
	v_and_b32_e32 v14, 31, v4
	v_lshlrev_b32_e32 v12, 2, v8
	v_lshlrev_b32_e32 v13, 2, v14
	v_lshl_or_b32 v15, v2, 5, v12
	v_lshl_or_b32 v12, v9, 7, v13
	s_waitcnt lgkmcnt(0)
	v_mad_u64_u32 v[6:7], null, s22, v9, s[6:7]
	v_mad_u64_u32 v[4:5], null, s0, v8, v[2:3]
	s_add_u32 s20, s20, s34
	s_addc_u32 s21, s21, s35
	s_add_u32 s26, s26, s34
	s_addc_u32 s27, s27, s35
	s_load_dwordx2 s[20:21], s[20:21], 0x0
	s_load_dwordx2 s[26:27], s[26:27], 0x0
	v_mov_b32_e32 v2, v5
	v_mov_b32_e32 v5, v7
	v_add_co_u32 v4, vcc_lo, v4, s30
	s_lshl_b64 s[2:3], s[2:3], 2
	v_mad_u64_u32 v[7:8], null, s1, v8, v[2:3]
	v_mad_u64_u32 v[8:9], null, s23, v9, v[5:6]
	v_add_nc_u32_e32 v13, 0x400, v15
	v_mov_b32_e32 v2, v3
	v_mov_b32_e32 v9, v3
	v_add_co_ci_u32_e64 v5, null, s31, v7, vcc_lo
	v_add_co_u32 v6, vcc_lo, v6, v14
	v_add_co_ci_u32_e64 v7, null, 0, v8, vcc_lo
	v_lshlrev_b64 v[4:5], 2, v[4:5]
	s_waitcnt lgkmcnt(0)
	s_add_u32 s26, s26, s2
	s_addc_u32 s27, s27, s3
	v_lshlrev_b64 v[6:7], 2, v[6:7]
	s_lshl_b64 s[2:3], s[0:1], 5
	s_lshl_b64 s[0:1], s[24:25], 2
	v_add_co_u32 v4, vcc_lo, s26, v4
	s_add_u32 s0, s20, s0
	s_addc_u32 s1, s21, s1
	v_add_co_ci_u32_e64 v5, null, s27, v5, vcc_lo
	v_add_co_u32 v6, vcc_lo, s0, v6
	v_add_co_ci_u32_e64 v7, null, s1, v7, vcc_lo
	v_mov_b32_e32 v8, v3
	s_lshl_b64 s[20:21], s[22:23], 5
	s_mov_b64 s[22:23], 0
.LBB40_2:                               ; =>This Inner Loop Header: Depth=1
	flat_load_dword v14, v[6:7]
	s_add_u32 s22, s22, 8
	s_addc_u32 s23, s23, 0
	v_add_co_u32 v6, vcc_lo, v6, s20
	v_cmp_lt_i64_e64 s0, s[22:23], s[28:29]
	v_add_co_ci_u32_e64 v7, null, s21, v7, vcc_lo
	s_and_b32 vcc_lo, exec_lo, s0
	s_waitcnt vmcnt(0) lgkmcnt(0)
	ds_write_b32 v12, v14
	flat_load_dword v14, v[4:5]
	v_add_co_u32 v4, s0, v4, s2
	v_add_co_ci_u32_e64 v5, null, s3, v5, s0
	s_waitcnt vmcnt(0) lgkmcnt(0)
	ds_write_b32 v13, v14
	s_waitcnt lgkmcnt(0)
	s_barrier
	buffer_gl0_inv
	ds_read_b128 v[14:17], v11
	ds_read2_b32 v[30:31], v10 offset1:16
	ds_read_b128 v[18:21], v11 offset:512
	ds_read2_b32 v[32:33], v10 offset0:32 offset1:48
	ds_read2_b32 v[34:35], v10 offset0:64 offset1:80
	ds_read_b128 v[22:25], v11 offset:16
	ds_read2_b32 v[36:37], v10 offset0:96 offset1:112
	ds_read2_b32 v[38:39], v10 offset0:128 offset1:144
	ds_read_b128 v[26:29], v11 offset:528
	ds_read2_b32 v[40:41], v10 offset0:160 offset1:176
	ds_read2_b32 v[42:43], v10 offset0:192 offset1:208
	ds_read2_b32 v[44:45], v10 offset0:224 offset1:240
	s_waitcnt lgkmcnt(0)
	s_barrier
	buffer_gl0_inv
	v_fmac_f32_e32 v9, v30, v14
	v_fmac_f32_e32 v8, v31, v14
	;; [unrolled: 1-line block ×32, first 2 shown]
	s_cbranch_vccnz .LBB40_2
.LBB40_3:
	s_clause 0x1
	s_load_dword s0, s[4:5], 0x50
	s_load_dword s1, s[4:5], 0x18
	v_add_co_u32 v4, s4, s30, v1
	v_add_co_ci_u32_e64 v7, null, s31, 0, s4
	v_add_co_u32 v0, s4, s6, v0
	v_add_co_ci_u32_e64 v1, null, s7, 0, s4
	v_mul_lo_u32 v5, v7, s8
	v_mul_lo_u32 v6, v4, s9
	s_lshl_b64 s[2:3], s[10:11], 2
	v_lshlrev_b64 v[0:1], 2, v[0:1]
	s_waitcnt lgkmcnt(0)
	s_add_u32 s2, s18, s2
	s_addc_u32 s3, s19, s3
	v_cmp_neq_f32_e64 s4, s0, 0
	s_and_b32 vcc_lo, exec_lo, s4
	s_mov_b32 s4, 0
	s_cbranch_vccnz .LBB40_7
; %bb.4:
	v_mad_u64_u32 v[10:11], null, v4, s8, 0
	s_lshl_b64 s[6:7], s[8:9], 6
	v_mul_f32_e32 v14, s1, v9
	v_mul_f32_e32 v15, s1, v8
	;; [unrolled: 1-line block ×4, first 2 shown]
	v_add3_u32 v11, v11, v6, v5
	v_lshlrev_b64 v[10:11], 2, v[10:11]
	v_add_co_u32 v10, vcc_lo, s2, v10
	v_add_co_ci_u32_e64 v11, null, s3, v11, vcc_lo
	v_add_co_u32 v12, vcc_lo, v10, s6
	v_add_co_ci_u32_e64 v13, null, s7, v11, vcc_lo
	;; [unrolled: 2-line block ×4, first 2 shown]
	flat_store_dword v[10:11], v14
	flat_store_dword v[10:11], v15 offset:64
	flat_store_dword v[12:13], v16
	flat_store_dword v[12:13], v17 offset:64
	s_andn2_b32 vcc_lo, exec_lo, s4
	s_cbranch_vccnz .LBB40_6
.LBB40_5:
	v_mul_lo_u32 v7, v7, s14
	v_mul_lo_u32 v12, v4, s15
	v_mad_u64_u32 v[10:11], null, v4, s14, 0
	s_lshl_b64 s[4:5], s[16:17], 2
	s_add_u32 s4, s12, s4
	s_addc_u32 s5, s13, s5
	v_add3_u32 v11, v11, v12, v7
	v_mad_u64_u32 v[12:13], null, v4, s8, 0
	v_lshlrev_b64 v[10:11], 2, v[10:11]
	v_add3_u32 v13, v13, v6, v5
	v_add_co_u32 v7, vcc_lo, s4, v10
	v_add_co_ci_u32_e64 v14, null, s5, v11, vcc_lo
	v_lshlrev_b64 v[4:5], 2, v[12:13]
	v_add_co_u32 v10, vcc_lo, v7, v0
	v_add_co_ci_u32_e64 v11, null, v14, v1, vcc_lo
	v_add_co_u32 v12, vcc_lo, s2, v4
	flat_load_dword v15, v[10:11]
	v_add_co_ci_u32_e64 v13, null, s3, v5, vcc_lo
	v_add_co_u32 v4, vcc_lo, v12, v0
	s_lshl_b64 s[2:3], s[14:15], 6
	v_add_co_ci_u32_e64 v5, null, v13, v1, vcc_lo
	s_waitcnt vmcnt(0) lgkmcnt(0)
	v_mul_f32_e32 v6, s0, v15
	v_fmac_f32_e32 v6, s1, v9
	flat_store_dword v[4:5], v6
	flat_load_dword v6, v[10:11] offset:64
	s_waitcnt vmcnt(0) lgkmcnt(0)
	v_mul_f32_e32 v9, s0, v6
	v_add_co_u32 v6, vcc_lo, v7, s2
	v_add_co_ci_u32_e64 v7, null, s3, v14, vcc_lo
	v_fmac_f32_e32 v9, s1, v8
	v_add_co_u32 v6, vcc_lo, v6, v0
	v_add_co_ci_u32_e64 v7, null, v7, v1, vcc_lo
	flat_store_dword v[4:5], v9 offset:64
	s_lshl_b64 s[2:3], s[8:9], 6
	flat_load_dword v4, v[6:7]
	v_add_co_u32 v5, vcc_lo, v12, s2
	v_add_co_ci_u32_e64 v8, null, s3, v13, vcc_lo
	v_add_co_u32 v0, vcc_lo, v5, v0
	v_add_co_ci_u32_e64 v1, null, v8, v1, vcc_lo
	s_waitcnt vmcnt(0) lgkmcnt(0)
	v_mul_f32_e32 v4, s0, v4
	v_fmac_f32_e32 v4, s1, v2
	flat_store_dword v[0:1], v4
	flat_load_dword v2, v[6:7] offset:64
	s_waitcnt vmcnt(0) lgkmcnt(0)
	v_mul_f32_e32 v2, s0, v2
	v_fmac_f32_e32 v2, s1, v3
	flat_store_dword v[0:1], v2 offset:64
.LBB40_6:
	s_endpgm
.LBB40_7:
	s_branch .LBB40_5
	.section	.rodata,"a",@progbits
	.p2align	6, 0x0
	.amdhsa_kernel _ZN12_GLOBAL__N_127rocblas_gemm_batched_kernelIfLi16ELi16ELi32ELi32ELi8ELi32ELi8ELi8ELi32ELc78ELc84EKPKfS3_KPfEEvlllT_PT11_llS8_llS6_PT12_llPT13_lli
		.amdhsa_group_segment_fixed_size 2048
		.amdhsa_private_segment_fixed_size 0
		.amdhsa_kernarg_size 140
		.amdhsa_user_sgpr_count 6
		.amdhsa_user_sgpr_private_segment_buffer 1
		.amdhsa_user_sgpr_dispatch_ptr 0
		.amdhsa_user_sgpr_queue_ptr 0
		.amdhsa_user_sgpr_kernarg_segment_ptr 1
		.amdhsa_user_sgpr_dispatch_id 0
		.amdhsa_user_sgpr_flat_scratch_init 0
		.amdhsa_user_sgpr_private_segment_size 0
		.amdhsa_wavefront_size32 1
		.amdhsa_uses_dynamic_stack 0
		.amdhsa_system_sgpr_private_segment_wavefront_offset 0
		.amdhsa_system_sgpr_workgroup_id_x 1
		.amdhsa_system_sgpr_workgroup_id_y 1
		.amdhsa_system_sgpr_workgroup_id_z 1
		.amdhsa_system_sgpr_workgroup_info 0
		.amdhsa_system_vgpr_workitem_id 1
		.amdhsa_next_free_vgpr 46
		.amdhsa_next_free_sgpr 36
		.amdhsa_reserve_vcc 1
		.amdhsa_reserve_flat_scratch 0
		.amdhsa_float_round_mode_32 0
		.amdhsa_float_round_mode_16_64 0
		.amdhsa_float_denorm_mode_32 3
		.amdhsa_float_denorm_mode_16_64 3
		.amdhsa_dx10_clamp 1
		.amdhsa_ieee_mode 1
		.amdhsa_fp16_overflow 0
		.amdhsa_workgroup_processor_mode 1
		.amdhsa_memory_ordered 1
		.amdhsa_forward_progress 1
		.amdhsa_shared_vgpr_count 0
		.amdhsa_exception_fp_ieee_invalid_op 0
		.amdhsa_exception_fp_denorm_src 0
		.amdhsa_exception_fp_ieee_div_zero 0
		.amdhsa_exception_fp_ieee_overflow 0
		.amdhsa_exception_fp_ieee_underflow 0
		.amdhsa_exception_fp_ieee_inexact 0
		.amdhsa_exception_int_div_zero 0
	.end_amdhsa_kernel
	.section	.text._ZN12_GLOBAL__N_127rocblas_gemm_batched_kernelIfLi16ELi16ELi32ELi32ELi8ELi32ELi8ELi8ELi32ELc78ELc84EKPKfS3_KPfEEvlllT_PT11_llS8_llS6_PT12_llPT13_lli,"axG",@progbits,_ZN12_GLOBAL__N_127rocblas_gemm_batched_kernelIfLi16ELi16ELi32ELi32ELi8ELi32ELi8ELi8ELi32ELc78ELc84EKPKfS3_KPfEEvlllT_PT11_llS8_llS6_PT12_llPT13_lli,comdat
.Lfunc_end40:
	.size	_ZN12_GLOBAL__N_127rocblas_gemm_batched_kernelIfLi16ELi16ELi32ELi32ELi8ELi32ELi8ELi8ELi32ELc78ELc84EKPKfS3_KPfEEvlllT_PT11_llS8_llS6_PT12_llPT13_lli, .Lfunc_end40-_ZN12_GLOBAL__N_127rocblas_gemm_batched_kernelIfLi16ELi16ELi32ELi32ELi8ELi32ELi8ELi8ELi32ELc78ELc84EKPKfS3_KPfEEvlllT_PT11_llS8_llS6_PT12_llPT13_lli
                                        ; -- End function
	.set _ZN12_GLOBAL__N_127rocblas_gemm_batched_kernelIfLi16ELi16ELi32ELi32ELi8ELi32ELi8ELi8ELi32ELc78ELc84EKPKfS3_KPfEEvlllT_PT11_llS8_llS6_PT12_llPT13_lli.num_vgpr, 46
	.set _ZN12_GLOBAL__N_127rocblas_gemm_batched_kernelIfLi16ELi16ELi32ELi32ELi8ELi32ELi8ELi8ELi32ELc78ELc84EKPKfS3_KPfEEvlllT_PT11_llS8_llS6_PT12_llPT13_lli.num_agpr, 0
	.set _ZN12_GLOBAL__N_127rocblas_gemm_batched_kernelIfLi16ELi16ELi32ELi32ELi8ELi32ELi8ELi8ELi32ELc78ELc84EKPKfS3_KPfEEvlllT_PT11_llS8_llS6_PT12_llPT13_lli.numbered_sgpr, 36
	.set _ZN12_GLOBAL__N_127rocblas_gemm_batched_kernelIfLi16ELi16ELi32ELi32ELi8ELi32ELi8ELi8ELi32ELc78ELc84EKPKfS3_KPfEEvlllT_PT11_llS8_llS6_PT12_llPT13_lli.num_named_barrier, 0
	.set _ZN12_GLOBAL__N_127rocblas_gemm_batched_kernelIfLi16ELi16ELi32ELi32ELi8ELi32ELi8ELi8ELi32ELc78ELc84EKPKfS3_KPfEEvlllT_PT11_llS8_llS6_PT12_llPT13_lli.private_seg_size, 0
	.set _ZN12_GLOBAL__N_127rocblas_gemm_batched_kernelIfLi16ELi16ELi32ELi32ELi8ELi32ELi8ELi8ELi32ELc78ELc84EKPKfS3_KPfEEvlllT_PT11_llS8_llS6_PT12_llPT13_lli.uses_vcc, 1
	.set _ZN12_GLOBAL__N_127rocblas_gemm_batched_kernelIfLi16ELi16ELi32ELi32ELi8ELi32ELi8ELi8ELi32ELc78ELc84EKPKfS3_KPfEEvlllT_PT11_llS8_llS6_PT12_llPT13_lli.uses_flat_scratch, 0
	.set _ZN12_GLOBAL__N_127rocblas_gemm_batched_kernelIfLi16ELi16ELi32ELi32ELi8ELi32ELi8ELi8ELi32ELc78ELc84EKPKfS3_KPfEEvlllT_PT11_llS8_llS6_PT12_llPT13_lli.has_dyn_sized_stack, 0
	.set _ZN12_GLOBAL__N_127rocblas_gemm_batched_kernelIfLi16ELi16ELi32ELi32ELi8ELi32ELi8ELi8ELi32ELc78ELc84EKPKfS3_KPfEEvlllT_PT11_llS8_llS6_PT12_llPT13_lli.has_recursion, 0
	.set _ZN12_GLOBAL__N_127rocblas_gemm_batched_kernelIfLi16ELi16ELi32ELi32ELi8ELi32ELi8ELi8ELi32ELc78ELc84EKPKfS3_KPfEEvlllT_PT11_llS8_llS6_PT12_llPT13_lli.has_indirect_call, 0
	.section	.AMDGPU.csdata,"",@progbits
; Kernel info:
; codeLenInByte = 1372
; TotalNumSgprs: 38
; NumVgprs: 46
; ScratchSize: 0
; MemoryBound: 0
; FloatMode: 240
; IeeeMode: 1
; LDSByteSize: 2048 bytes/workgroup (compile time only)
; SGPRBlocks: 0
; VGPRBlocks: 5
; NumSGPRsForWavesPerEU: 38
; NumVGPRsForWavesPerEU: 46
; Occupancy: 16
; WaveLimiterHint : 1
; COMPUTE_PGM_RSRC2:SCRATCH_EN: 0
; COMPUTE_PGM_RSRC2:USER_SGPR: 6
; COMPUTE_PGM_RSRC2:TRAP_HANDLER: 0
; COMPUTE_PGM_RSRC2:TGID_X_EN: 1
; COMPUTE_PGM_RSRC2:TGID_Y_EN: 1
; COMPUTE_PGM_RSRC2:TGID_Z_EN: 1
; COMPUTE_PGM_RSRC2:TIDIG_COMP_CNT: 1
	.section	.text._ZN12_GLOBAL__N_127rocblas_gemm_batched_kernelIfLi16ELi16ELi32ELi32ELi8ELi32ELi8ELi8ELi32ELc84ELc84EKPKfS3_KPfEEvlllT_PT11_llS8_llS6_PT12_llPT13_lli,"axG",@progbits,_ZN12_GLOBAL__N_127rocblas_gemm_batched_kernelIfLi16ELi16ELi32ELi32ELi8ELi32ELi8ELi8ELi32ELc84ELc84EKPKfS3_KPfEEvlllT_PT11_llS8_llS6_PT12_llPT13_lli,comdat
	.globl	_ZN12_GLOBAL__N_127rocblas_gemm_batched_kernelIfLi16ELi16ELi32ELi32ELi8ELi32ELi8ELi8ELi32ELc84ELc84EKPKfS3_KPfEEvlllT_PT11_llS8_llS6_PT12_llPT13_lli ; -- Begin function _ZN12_GLOBAL__N_127rocblas_gemm_batched_kernelIfLi16ELi16ELi32ELi32ELi8ELi32ELi8ELi8ELi32ELc84ELc84EKPKfS3_KPfEEvlllT_PT11_llS8_llS6_PT12_llPT13_lli
	.p2align	8
	.type	_ZN12_GLOBAL__N_127rocblas_gemm_batched_kernelIfLi16ELi16ELi32ELi32ELi8ELi32ELi8ELi8ELi32ELc84ELc84EKPKfS3_KPfEEvlllT_PT11_llS8_llS6_PT12_llPT13_lli,@function
_ZN12_GLOBAL__N_127rocblas_gemm_batched_kernelIfLi16ELi16ELi32ELi32ELi8ELi32ELi8ELi8ELi32ELc84ELc84EKPKfS3_KPfEEvlllT_PT11_llS8_llS6_PT12_llPT13_lli: ; @_ZN12_GLOBAL__N_127rocblas_gemm_batched_kernelIfLi16ELi16ELi32ELi32ELi8ELi32ELi8ELi8ELi32ELc84ELc84EKPKfS3_KPfEEvlllT_PT11_llS8_llS6_PT12_llPT13_lli
; %bb.0:
	s_clause 0x1
	s_load_dwordx8 s[12:19], s[4:5], 0x58
	s_load_dwordx2 s[28:29], s[4:5], 0x10
	s_mov_b32 s9, 0
	s_mov_b32 s0, s7
	s_lshl_b64 s[34:35], s[8:9], 3
	s_load_dwordx4 s[8:11], s[4:5], 0x78
	v_mov_b32_e32 v9, 0
	v_mov_b32_e32 v8, 0
	;; [unrolled: 1-line block ×4, first 2 shown]
	s_waitcnt lgkmcnt(0)
	s_add_u32 s2, s12, s34
	s_addc_u32 s3, s13, s35
	s_add_u32 s18, s18, s34
	s_addc_u32 s19, s19, s35
	s_load_dwordx2 s[12:13], s[2:3], 0x0
	s_load_dwordx2 s[18:19], s[18:19], 0x0
	v_cmp_lt_i64_e64 s2, s[28:29], 1
	s_ashr_i32 s7, s6, 31
	s_ashr_i32 s1, s0, 31
	s_lshl_b64 s[6:7], s[6:7], 5
	s_lshl_b64 s[30:31], s[0:1], 5
	s_and_b32 vcc_lo, exec_lo, s2
	s_cbranch_vccnz .LBB41_3
; %bb.1:
	s_clause 0x1
	s_load_dwordx8 s[20:27], s[4:5], 0x20
	s_load_dwordx4 s[0:3], s[4:5], 0x40
	v_lshl_add_u32 v8, v1, 4, v0
	v_and_b32_e32 v9, 7, v0
	v_mov_b32_e32 v3, 0
	v_lshlrev_b32_e32 v10, 2, v0
	v_and_b32_e32 v11, 31, v8
	v_lshrrev_b32_e32 v2, 3, v8
	v_lshlrev_b32_e32 v12, 2, v9
	v_lshrrev_b32_e32 v8, 5, v8
	v_add_co_u32 v6, s33, s6, v11
	v_add_co_ci_u32_e64 v7, null, s7, 0, s33
	v_lshlrev_b32_e32 v15, 2, v11
	v_lshl_or_b32 v16, v2, 5, v12
	v_lshlrev_b32_e32 v17, 2, v8
	v_lshl_add_u32 v11, v1, 5, 0x400
	s_waitcnt lgkmcnt(0)
	s_add_u32 s20, s20, s34
	s_addc_u32 s21, s21, s35
	s_add_u32 s26, s26, s34
	s_addc_u32 s27, s27, s35
	v_mad_u64_u32 v[4:5], null, s0, v9, v[2:3]
	s_load_dwordx2 s[26:27], s[26:27], 0x0
	v_mul_lo_u32 v13, s23, v6
	v_mul_lo_u32 v14, s22, v7
	v_mad_u64_u32 v[6:7], null, s22, v6, 0
	v_lshl_or_b32 v12, v8, 7, v15
	v_mov_b32_e32 v2, v5
	s_load_dwordx2 s[20:21], s[20:21], 0x0
	s_lshl_b64 s[2:3], s[2:3], 2
	v_add3_u32 v7, v7, v14, v13
	v_mad_u64_u32 v[8:9], null, s1, v9, v[2:3]
	v_add_nc_u32_e32 v13, 0x400, v16
	v_mov_b32_e32 v9, v3
	v_lshlrev_b64 v[5:6], 2, v[6:7]
	v_add_co_u32 v7, vcc_lo, v4, s30
	v_add_co_ci_u32_e64 v8, null, s31, v8, vcc_lo
	s_waitcnt lgkmcnt(0)
	s_add_u32 s22, s26, s2
	s_addc_u32 s23, s27, s3
	s_lshl_b64 s[2:3], s[24:25], 2
	v_add_co_u32 v2, vcc_lo, v5, s2
	v_add_co_ci_u32_e64 v6, null, s3, v6, vcc_lo
	v_lshlrev_b64 v[4:5], 2, v[7:8]
	v_add_co_u32 v2, vcc_lo, v2, v17
	v_add_co_ci_u32_e64 v7, null, 0, v6, vcc_lo
	v_mov_b32_e32 v8, v3
	v_add_co_u32 v4, vcc_lo, s22, v4
	v_add_co_ci_u32_e64 v5, null, s23, v5, vcc_lo
	v_add_co_u32 v6, vcc_lo, s20, v2
	v_add_co_ci_u32_e64 v7, null, s21, v7, vcc_lo
	v_mov_b32_e32 v2, v3
	s_lshl_b64 s[2:3], s[0:1], 5
	s_mov_b64 s[20:21], 0
.LBB41_2:                               ; =>This Inner Loop Header: Depth=1
	flat_load_dword v14, v[6:7]
	s_add_u32 s20, s20, 8
	s_addc_u32 s21, s21, 0
	v_add_co_u32 v6, vcc_lo, v6, 32
	v_cmp_lt_i64_e64 s0, s[20:21], s[28:29]
	v_add_co_ci_u32_e64 v7, null, 0, v7, vcc_lo
	s_and_b32 vcc_lo, exec_lo, s0
	s_waitcnt vmcnt(0) lgkmcnt(0)
	ds_write_b32 v12, v14
	flat_load_dword v14, v[4:5]
	v_add_co_u32 v4, s0, v4, s2
	v_add_co_ci_u32_e64 v5, null, s3, v5, s0
	s_waitcnt vmcnt(0) lgkmcnt(0)
	ds_write_b32 v13, v14
	s_waitcnt lgkmcnt(0)
	s_barrier
	buffer_gl0_inv
	ds_read_b128 v[14:17], v11
	ds_read2_b32 v[30:31], v10 offset1:16
	ds_read_b128 v[18:21], v11 offset:512
	ds_read2_b32 v[32:33], v10 offset0:32 offset1:48
	ds_read2_b32 v[34:35], v10 offset0:64 offset1:80
	ds_read_b128 v[22:25], v11 offset:16
	ds_read2_b32 v[36:37], v10 offset0:96 offset1:112
	ds_read2_b32 v[38:39], v10 offset0:128 offset1:144
	;; [unrolled: 3-line block ×3, first 2 shown]
	ds_read2_b32 v[44:45], v10 offset0:224 offset1:240
	s_waitcnt lgkmcnt(0)
	s_barrier
	buffer_gl0_inv
	v_fmac_f32_e32 v9, v30, v14
	v_fmac_f32_e32 v8, v31, v14
	;; [unrolled: 1-line block ×32, first 2 shown]
	s_cbranch_vccnz .LBB41_2
.LBB41_3:
	s_clause 0x1
	s_load_dword s0, s[4:5], 0x50
	s_load_dword s1, s[4:5], 0x18
	v_add_co_u32 v4, s4, s30, v1
	v_add_co_ci_u32_e64 v7, null, s31, 0, s4
	v_add_co_u32 v0, s4, s6, v0
	v_add_co_ci_u32_e64 v1, null, s7, 0, s4
	v_mul_lo_u32 v5, v7, s8
	v_mul_lo_u32 v6, v4, s9
	s_lshl_b64 s[2:3], s[10:11], 2
	v_lshlrev_b64 v[0:1], 2, v[0:1]
	s_waitcnt lgkmcnt(0)
	s_add_u32 s2, s18, s2
	s_addc_u32 s3, s19, s3
	v_cmp_neq_f32_e64 s4, s0, 0
	s_and_b32 vcc_lo, exec_lo, s4
	s_mov_b32 s4, 0
	s_cbranch_vccnz .LBB41_7
; %bb.4:
	v_mad_u64_u32 v[10:11], null, v4, s8, 0
	s_lshl_b64 s[6:7], s[8:9], 6
	v_mul_f32_e32 v14, s1, v9
	v_mul_f32_e32 v15, s1, v8
	;; [unrolled: 1-line block ×4, first 2 shown]
	v_add3_u32 v11, v11, v6, v5
	v_lshlrev_b64 v[10:11], 2, v[10:11]
	v_add_co_u32 v10, vcc_lo, s2, v10
	v_add_co_ci_u32_e64 v11, null, s3, v11, vcc_lo
	v_add_co_u32 v12, vcc_lo, v10, s6
	v_add_co_ci_u32_e64 v13, null, s7, v11, vcc_lo
	;; [unrolled: 2-line block ×4, first 2 shown]
	flat_store_dword v[10:11], v14
	flat_store_dword v[10:11], v15 offset:64
	flat_store_dword v[12:13], v16
	flat_store_dword v[12:13], v17 offset:64
	s_andn2_b32 vcc_lo, exec_lo, s4
	s_cbranch_vccnz .LBB41_6
.LBB41_5:
	v_mul_lo_u32 v7, v7, s14
	v_mul_lo_u32 v12, v4, s15
	v_mad_u64_u32 v[10:11], null, v4, s14, 0
	s_lshl_b64 s[4:5], s[16:17], 2
	s_add_u32 s4, s12, s4
	s_addc_u32 s5, s13, s5
	v_add3_u32 v11, v11, v12, v7
	v_mad_u64_u32 v[12:13], null, v4, s8, 0
	v_lshlrev_b64 v[10:11], 2, v[10:11]
	v_add3_u32 v13, v13, v6, v5
	v_add_co_u32 v7, vcc_lo, s4, v10
	v_add_co_ci_u32_e64 v14, null, s5, v11, vcc_lo
	v_lshlrev_b64 v[4:5], 2, v[12:13]
	v_add_co_u32 v10, vcc_lo, v7, v0
	v_add_co_ci_u32_e64 v11, null, v14, v1, vcc_lo
	v_add_co_u32 v12, vcc_lo, s2, v4
	flat_load_dword v15, v[10:11]
	v_add_co_ci_u32_e64 v13, null, s3, v5, vcc_lo
	v_add_co_u32 v4, vcc_lo, v12, v0
	s_lshl_b64 s[2:3], s[14:15], 6
	v_add_co_ci_u32_e64 v5, null, v13, v1, vcc_lo
	s_waitcnt vmcnt(0) lgkmcnt(0)
	v_mul_f32_e32 v6, s0, v15
	v_fmac_f32_e32 v6, s1, v9
	flat_store_dword v[4:5], v6
	flat_load_dword v6, v[10:11] offset:64
	s_waitcnt vmcnt(0) lgkmcnt(0)
	v_mul_f32_e32 v9, s0, v6
	v_add_co_u32 v6, vcc_lo, v7, s2
	v_add_co_ci_u32_e64 v7, null, s3, v14, vcc_lo
	v_fmac_f32_e32 v9, s1, v8
	v_add_co_u32 v6, vcc_lo, v6, v0
	v_add_co_ci_u32_e64 v7, null, v7, v1, vcc_lo
	flat_store_dword v[4:5], v9 offset:64
	s_lshl_b64 s[2:3], s[8:9], 6
	flat_load_dword v4, v[6:7]
	v_add_co_u32 v5, vcc_lo, v12, s2
	v_add_co_ci_u32_e64 v8, null, s3, v13, vcc_lo
	v_add_co_u32 v0, vcc_lo, v5, v0
	v_add_co_ci_u32_e64 v1, null, v8, v1, vcc_lo
	s_waitcnt vmcnt(0) lgkmcnt(0)
	v_mul_f32_e32 v4, s0, v4
	v_fmac_f32_e32 v4, s1, v2
	flat_store_dword v[0:1], v4
	flat_load_dword v2, v[6:7] offset:64
	s_waitcnt vmcnt(0) lgkmcnt(0)
	v_mul_f32_e32 v2, s0, v2
	v_fmac_f32_e32 v2, s1, v3
	flat_store_dword v[0:1], v2 offset:64
.LBB41_6:
	s_endpgm
.LBB41_7:
	s_branch .LBB41_5
	.section	.rodata,"a",@progbits
	.p2align	6, 0x0
	.amdhsa_kernel _ZN12_GLOBAL__N_127rocblas_gemm_batched_kernelIfLi16ELi16ELi32ELi32ELi8ELi32ELi8ELi8ELi32ELc84ELc84EKPKfS3_KPfEEvlllT_PT11_llS8_llS6_PT12_llPT13_lli
		.amdhsa_group_segment_fixed_size 2048
		.amdhsa_private_segment_fixed_size 0
		.amdhsa_kernarg_size 140
		.amdhsa_user_sgpr_count 6
		.amdhsa_user_sgpr_private_segment_buffer 1
		.amdhsa_user_sgpr_dispatch_ptr 0
		.amdhsa_user_sgpr_queue_ptr 0
		.amdhsa_user_sgpr_kernarg_segment_ptr 1
		.amdhsa_user_sgpr_dispatch_id 0
		.amdhsa_user_sgpr_flat_scratch_init 0
		.amdhsa_user_sgpr_private_segment_size 0
		.amdhsa_wavefront_size32 1
		.amdhsa_uses_dynamic_stack 0
		.amdhsa_system_sgpr_private_segment_wavefront_offset 0
		.amdhsa_system_sgpr_workgroup_id_x 1
		.amdhsa_system_sgpr_workgroup_id_y 1
		.amdhsa_system_sgpr_workgroup_id_z 1
		.amdhsa_system_sgpr_workgroup_info 0
		.amdhsa_system_vgpr_workitem_id 1
		.amdhsa_next_free_vgpr 46
		.amdhsa_next_free_sgpr 36
		.amdhsa_reserve_vcc 1
		.amdhsa_reserve_flat_scratch 0
		.amdhsa_float_round_mode_32 0
		.amdhsa_float_round_mode_16_64 0
		.amdhsa_float_denorm_mode_32 3
		.amdhsa_float_denorm_mode_16_64 3
		.amdhsa_dx10_clamp 1
		.amdhsa_ieee_mode 1
		.amdhsa_fp16_overflow 0
		.amdhsa_workgroup_processor_mode 1
		.amdhsa_memory_ordered 1
		.amdhsa_forward_progress 1
		.amdhsa_shared_vgpr_count 0
		.amdhsa_exception_fp_ieee_invalid_op 0
		.amdhsa_exception_fp_denorm_src 0
		.amdhsa_exception_fp_ieee_div_zero 0
		.amdhsa_exception_fp_ieee_overflow 0
		.amdhsa_exception_fp_ieee_underflow 0
		.amdhsa_exception_fp_ieee_inexact 0
		.amdhsa_exception_int_div_zero 0
	.end_amdhsa_kernel
	.section	.text._ZN12_GLOBAL__N_127rocblas_gemm_batched_kernelIfLi16ELi16ELi32ELi32ELi8ELi32ELi8ELi8ELi32ELc84ELc84EKPKfS3_KPfEEvlllT_PT11_llS8_llS6_PT12_llPT13_lli,"axG",@progbits,_ZN12_GLOBAL__N_127rocblas_gemm_batched_kernelIfLi16ELi16ELi32ELi32ELi8ELi32ELi8ELi8ELi32ELc84ELc84EKPKfS3_KPfEEvlllT_PT11_llS8_llS6_PT12_llPT13_lli,comdat
.Lfunc_end41:
	.size	_ZN12_GLOBAL__N_127rocblas_gemm_batched_kernelIfLi16ELi16ELi32ELi32ELi8ELi32ELi8ELi8ELi32ELc84ELc84EKPKfS3_KPfEEvlllT_PT11_llS8_llS6_PT12_llPT13_lli, .Lfunc_end41-_ZN12_GLOBAL__N_127rocblas_gemm_batched_kernelIfLi16ELi16ELi32ELi32ELi8ELi32ELi8ELi8ELi32ELc84ELc84EKPKfS3_KPfEEvlllT_PT11_llS8_llS6_PT12_llPT13_lli
                                        ; -- End function
	.set _ZN12_GLOBAL__N_127rocblas_gemm_batched_kernelIfLi16ELi16ELi32ELi32ELi8ELi32ELi8ELi8ELi32ELc84ELc84EKPKfS3_KPfEEvlllT_PT11_llS8_llS6_PT12_llPT13_lli.num_vgpr, 46
	.set _ZN12_GLOBAL__N_127rocblas_gemm_batched_kernelIfLi16ELi16ELi32ELi32ELi8ELi32ELi8ELi8ELi32ELc84ELc84EKPKfS3_KPfEEvlllT_PT11_llS8_llS6_PT12_llPT13_lli.num_agpr, 0
	.set _ZN12_GLOBAL__N_127rocblas_gemm_batched_kernelIfLi16ELi16ELi32ELi32ELi8ELi32ELi8ELi8ELi32ELc84ELc84EKPKfS3_KPfEEvlllT_PT11_llS8_llS6_PT12_llPT13_lli.numbered_sgpr, 36
	.set _ZN12_GLOBAL__N_127rocblas_gemm_batched_kernelIfLi16ELi16ELi32ELi32ELi8ELi32ELi8ELi8ELi32ELc84ELc84EKPKfS3_KPfEEvlllT_PT11_llS8_llS6_PT12_llPT13_lli.num_named_barrier, 0
	.set _ZN12_GLOBAL__N_127rocblas_gemm_batched_kernelIfLi16ELi16ELi32ELi32ELi8ELi32ELi8ELi8ELi32ELc84ELc84EKPKfS3_KPfEEvlllT_PT11_llS8_llS6_PT12_llPT13_lli.private_seg_size, 0
	.set _ZN12_GLOBAL__N_127rocblas_gemm_batched_kernelIfLi16ELi16ELi32ELi32ELi8ELi32ELi8ELi8ELi32ELc84ELc84EKPKfS3_KPfEEvlllT_PT11_llS8_llS6_PT12_llPT13_lli.uses_vcc, 1
	.set _ZN12_GLOBAL__N_127rocblas_gemm_batched_kernelIfLi16ELi16ELi32ELi32ELi8ELi32ELi8ELi8ELi32ELc84ELc84EKPKfS3_KPfEEvlllT_PT11_llS8_llS6_PT12_llPT13_lli.uses_flat_scratch, 0
	.set _ZN12_GLOBAL__N_127rocblas_gemm_batched_kernelIfLi16ELi16ELi32ELi32ELi8ELi32ELi8ELi8ELi32ELc84ELc84EKPKfS3_KPfEEvlllT_PT11_llS8_llS6_PT12_llPT13_lli.has_dyn_sized_stack, 0
	.set _ZN12_GLOBAL__N_127rocblas_gemm_batched_kernelIfLi16ELi16ELi32ELi32ELi8ELi32ELi8ELi8ELi32ELc84ELc84EKPKfS3_KPfEEvlllT_PT11_llS8_llS6_PT12_llPT13_lli.has_recursion, 0
	.set _ZN12_GLOBAL__N_127rocblas_gemm_batched_kernelIfLi16ELi16ELi32ELi32ELi8ELi32ELi8ELi8ELi32ELc84ELc84EKPKfS3_KPfEEvlllT_PT11_llS8_llS6_PT12_llPT13_lli.has_indirect_call, 0
	.section	.AMDGPU.csdata,"",@progbits
; Kernel info:
; codeLenInByte = 1408
; TotalNumSgprs: 38
; NumVgprs: 46
; ScratchSize: 0
; MemoryBound: 0
; FloatMode: 240
; IeeeMode: 1
; LDSByteSize: 2048 bytes/workgroup (compile time only)
; SGPRBlocks: 0
; VGPRBlocks: 5
; NumSGPRsForWavesPerEU: 38
; NumVGPRsForWavesPerEU: 46
; Occupancy: 16
; WaveLimiterHint : 1
; COMPUTE_PGM_RSRC2:SCRATCH_EN: 0
; COMPUTE_PGM_RSRC2:USER_SGPR: 6
; COMPUTE_PGM_RSRC2:TRAP_HANDLER: 0
; COMPUTE_PGM_RSRC2:TGID_X_EN: 1
; COMPUTE_PGM_RSRC2:TGID_Y_EN: 1
; COMPUTE_PGM_RSRC2:TGID_Z_EN: 1
; COMPUTE_PGM_RSRC2:TIDIG_COMP_CNT: 1
	.section	.text._ZN12_GLOBAL__N_127rocblas_gemm_batched_kernelIfLi16ELi16ELi32ELi32ELi8ELi32ELi8ELi8ELi32ELc67ELc67EKPKfS3_KPfEEvlllT_PT11_llS8_llS6_PT12_llPT13_lli,"axG",@progbits,_ZN12_GLOBAL__N_127rocblas_gemm_batched_kernelIfLi16ELi16ELi32ELi32ELi8ELi32ELi8ELi8ELi32ELc67ELc67EKPKfS3_KPfEEvlllT_PT11_llS8_llS6_PT12_llPT13_lli,comdat
	.globl	_ZN12_GLOBAL__N_127rocblas_gemm_batched_kernelIfLi16ELi16ELi32ELi32ELi8ELi32ELi8ELi8ELi32ELc67ELc67EKPKfS3_KPfEEvlllT_PT11_llS8_llS6_PT12_llPT13_lli ; -- Begin function _ZN12_GLOBAL__N_127rocblas_gemm_batched_kernelIfLi16ELi16ELi32ELi32ELi8ELi32ELi8ELi8ELi32ELc67ELc67EKPKfS3_KPfEEvlllT_PT11_llS8_llS6_PT12_llPT13_lli
	.p2align	8
	.type	_ZN12_GLOBAL__N_127rocblas_gemm_batched_kernelIfLi16ELi16ELi32ELi32ELi8ELi32ELi8ELi8ELi32ELc67ELc67EKPKfS3_KPfEEvlllT_PT11_llS8_llS6_PT12_llPT13_lli,@function
_ZN12_GLOBAL__N_127rocblas_gemm_batched_kernelIfLi16ELi16ELi32ELi32ELi8ELi32ELi8ELi8ELi32ELc67ELc67EKPKfS3_KPfEEvlllT_PT11_llS8_llS6_PT12_llPT13_lli: ; @_ZN12_GLOBAL__N_127rocblas_gemm_batched_kernelIfLi16ELi16ELi32ELi32ELi8ELi32ELi8ELi8ELi32ELc67ELc67EKPKfS3_KPfEEvlllT_PT11_llS8_llS6_PT12_llPT13_lli
; %bb.0:
	s_clause 0x1
	s_load_dwordx8 s[12:19], s[4:5], 0x58
	s_load_dwordx2 s[28:29], s[4:5], 0x10
	s_mov_b32 s9, 0
	s_mov_b32 s0, s7
	s_lshl_b64 s[34:35], s[8:9], 3
	s_load_dwordx4 s[8:11], s[4:5], 0x78
	v_mov_b32_e32 v9, 0
	v_mov_b32_e32 v8, 0
	v_mov_b32_e32 v2, 0
	v_mov_b32_e32 v3, 0
	s_waitcnt lgkmcnt(0)
	s_add_u32 s2, s12, s34
	s_addc_u32 s3, s13, s35
	s_add_u32 s18, s18, s34
	s_addc_u32 s19, s19, s35
	s_load_dwordx2 s[12:13], s[2:3], 0x0
	s_load_dwordx2 s[18:19], s[18:19], 0x0
	v_cmp_lt_i64_e64 s2, s[28:29], 1
	s_ashr_i32 s7, s6, 31
	s_ashr_i32 s1, s0, 31
	s_lshl_b64 s[6:7], s[6:7], 5
	s_lshl_b64 s[30:31], s[0:1], 5
	s_and_b32 vcc_lo, exec_lo, s2
	s_cbranch_vccnz .LBB42_3
; %bb.1:
	s_clause 0x1
	s_load_dwordx8 s[20:27], s[4:5], 0x20
	s_load_dwordx4 s[0:3], s[4:5], 0x40
	v_lshl_add_u32 v8, v1, 4, v0
	v_and_b32_e32 v9, 7, v0
	v_mov_b32_e32 v3, 0
	v_lshlrev_b32_e32 v10, 2, v0
	v_and_b32_e32 v11, 31, v8
	v_lshrrev_b32_e32 v2, 3, v8
	v_lshlrev_b32_e32 v12, 2, v9
	v_lshrrev_b32_e32 v8, 5, v8
	v_add_co_u32 v6, s33, s6, v11
	v_add_co_ci_u32_e64 v7, null, s7, 0, s33
	v_lshlrev_b32_e32 v15, 2, v11
	v_lshl_or_b32 v16, v2, 5, v12
	v_lshlrev_b32_e32 v17, 2, v8
	v_lshl_add_u32 v11, v1, 5, 0x400
	s_waitcnt lgkmcnt(0)
	s_add_u32 s20, s20, s34
	s_addc_u32 s21, s21, s35
	s_add_u32 s26, s26, s34
	s_addc_u32 s27, s27, s35
	v_mad_u64_u32 v[4:5], null, s0, v9, v[2:3]
	s_load_dwordx2 s[26:27], s[26:27], 0x0
	v_mul_lo_u32 v13, s23, v6
	v_mul_lo_u32 v14, s22, v7
	v_mad_u64_u32 v[6:7], null, s22, v6, 0
	v_lshl_or_b32 v12, v8, 7, v15
	v_mov_b32_e32 v2, v5
	s_load_dwordx2 s[20:21], s[20:21], 0x0
	s_lshl_b64 s[2:3], s[2:3], 2
	v_add3_u32 v7, v7, v14, v13
	v_mad_u64_u32 v[8:9], null, s1, v9, v[2:3]
	v_add_nc_u32_e32 v13, 0x400, v16
	v_mov_b32_e32 v9, v3
	v_lshlrev_b64 v[5:6], 2, v[6:7]
	v_add_co_u32 v7, vcc_lo, v4, s30
	v_add_co_ci_u32_e64 v8, null, s31, v8, vcc_lo
	s_waitcnt lgkmcnt(0)
	s_add_u32 s22, s26, s2
	s_addc_u32 s23, s27, s3
	s_lshl_b64 s[2:3], s[24:25], 2
	v_add_co_u32 v2, vcc_lo, v5, s2
	v_add_co_ci_u32_e64 v6, null, s3, v6, vcc_lo
	v_lshlrev_b64 v[4:5], 2, v[7:8]
	v_add_co_u32 v2, vcc_lo, v2, v17
	v_add_co_ci_u32_e64 v7, null, 0, v6, vcc_lo
	v_mov_b32_e32 v8, v3
	v_add_co_u32 v4, vcc_lo, s22, v4
	v_add_co_ci_u32_e64 v5, null, s23, v5, vcc_lo
	v_add_co_u32 v6, vcc_lo, s20, v2
	v_add_co_ci_u32_e64 v7, null, s21, v7, vcc_lo
	v_mov_b32_e32 v2, v3
	s_lshl_b64 s[2:3], s[0:1], 5
	s_mov_b64 s[20:21], 0
.LBB42_2:                               ; =>This Inner Loop Header: Depth=1
	flat_load_dword v14, v[6:7]
	s_add_u32 s20, s20, 8
	s_addc_u32 s21, s21, 0
	v_add_co_u32 v6, vcc_lo, v6, 32
	v_cmp_lt_i64_e64 s0, s[20:21], s[28:29]
	v_add_co_ci_u32_e64 v7, null, 0, v7, vcc_lo
	s_and_b32 vcc_lo, exec_lo, s0
	s_waitcnt vmcnt(0) lgkmcnt(0)
	ds_write_b32 v12, v14
	flat_load_dword v14, v[4:5]
	v_add_co_u32 v4, s0, v4, s2
	v_add_co_ci_u32_e64 v5, null, s3, v5, s0
	s_waitcnt vmcnt(0) lgkmcnt(0)
	ds_write_b32 v13, v14
	s_waitcnt lgkmcnt(0)
	s_barrier
	buffer_gl0_inv
	ds_read_b128 v[14:17], v11
	ds_read2_b32 v[30:31], v10 offset1:16
	ds_read_b128 v[18:21], v11 offset:512
	ds_read2_b32 v[32:33], v10 offset0:32 offset1:48
	ds_read2_b32 v[34:35], v10 offset0:64 offset1:80
	ds_read_b128 v[22:25], v11 offset:16
	ds_read2_b32 v[36:37], v10 offset0:96 offset1:112
	ds_read2_b32 v[38:39], v10 offset0:128 offset1:144
	ds_read_b128 v[26:29], v11 offset:528
	ds_read2_b32 v[40:41], v10 offset0:160 offset1:176
	ds_read2_b32 v[42:43], v10 offset0:192 offset1:208
	ds_read2_b32 v[44:45], v10 offset0:224 offset1:240
	s_waitcnt lgkmcnt(0)
	s_barrier
	buffer_gl0_inv
	v_fmac_f32_e32 v9, v30, v14
	v_fmac_f32_e32 v8, v31, v14
	;; [unrolled: 1-line block ×32, first 2 shown]
	s_cbranch_vccnz .LBB42_2
.LBB42_3:
	s_clause 0x1
	s_load_dword s0, s[4:5], 0x50
	s_load_dword s1, s[4:5], 0x18
	v_add_co_u32 v4, s4, s30, v1
	v_add_co_ci_u32_e64 v7, null, s31, 0, s4
	v_add_co_u32 v0, s4, s6, v0
	v_add_co_ci_u32_e64 v1, null, s7, 0, s4
	v_mul_lo_u32 v5, v7, s8
	v_mul_lo_u32 v6, v4, s9
	s_lshl_b64 s[2:3], s[10:11], 2
	v_lshlrev_b64 v[0:1], 2, v[0:1]
	s_waitcnt lgkmcnt(0)
	s_add_u32 s2, s18, s2
	s_addc_u32 s3, s19, s3
	v_cmp_neq_f32_e64 s4, s0, 0
	s_and_b32 vcc_lo, exec_lo, s4
	s_mov_b32 s4, 0
	s_cbranch_vccnz .LBB42_7
; %bb.4:
	v_mad_u64_u32 v[10:11], null, v4, s8, 0
	s_lshl_b64 s[6:7], s[8:9], 6
	v_mul_f32_e32 v14, s1, v9
	v_mul_f32_e32 v15, s1, v8
	;; [unrolled: 1-line block ×4, first 2 shown]
	v_add3_u32 v11, v11, v6, v5
	v_lshlrev_b64 v[10:11], 2, v[10:11]
	v_add_co_u32 v10, vcc_lo, s2, v10
	v_add_co_ci_u32_e64 v11, null, s3, v11, vcc_lo
	v_add_co_u32 v12, vcc_lo, v10, s6
	v_add_co_ci_u32_e64 v13, null, s7, v11, vcc_lo
	;; [unrolled: 2-line block ×4, first 2 shown]
	flat_store_dword v[10:11], v14
	flat_store_dword v[10:11], v15 offset:64
	flat_store_dword v[12:13], v16
	flat_store_dword v[12:13], v17 offset:64
	s_andn2_b32 vcc_lo, exec_lo, s4
	s_cbranch_vccnz .LBB42_6
.LBB42_5:
	v_mul_lo_u32 v7, v7, s14
	v_mul_lo_u32 v12, v4, s15
	v_mad_u64_u32 v[10:11], null, v4, s14, 0
	s_lshl_b64 s[4:5], s[16:17], 2
	s_add_u32 s4, s12, s4
	s_addc_u32 s5, s13, s5
	v_add3_u32 v11, v11, v12, v7
	v_mad_u64_u32 v[12:13], null, v4, s8, 0
	v_lshlrev_b64 v[10:11], 2, v[10:11]
	v_add3_u32 v13, v13, v6, v5
	v_add_co_u32 v7, vcc_lo, s4, v10
	v_add_co_ci_u32_e64 v14, null, s5, v11, vcc_lo
	v_lshlrev_b64 v[4:5], 2, v[12:13]
	v_add_co_u32 v10, vcc_lo, v7, v0
	v_add_co_ci_u32_e64 v11, null, v14, v1, vcc_lo
	v_add_co_u32 v12, vcc_lo, s2, v4
	flat_load_dword v15, v[10:11]
	v_add_co_ci_u32_e64 v13, null, s3, v5, vcc_lo
	v_add_co_u32 v4, vcc_lo, v12, v0
	s_lshl_b64 s[2:3], s[14:15], 6
	v_add_co_ci_u32_e64 v5, null, v13, v1, vcc_lo
	s_waitcnt vmcnt(0) lgkmcnt(0)
	v_mul_f32_e32 v6, s0, v15
	v_fmac_f32_e32 v6, s1, v9
	flat_store_dword v[4:5], v6
	flat_load_dword v6, v[10:11] offset:64
	s_waitcnt vmcnt(0) lgkmcnt(0)
	v_mul_f32_e32 v9, s0, v6
	v_add_co_u32 v6, vcc_lo, v7, s2
	v_add_co_ci_u32_e64 v7, null, s3, v14, vcc_lo
	v_fmac_f32_e32 v9, s1, v8
	v_add_co_u32 v6, vcc_lo, v6, v0
	v_add_co_ci_u32_e64 v7, null, v7, v1, vcc_lo
	flat_store_dword v[4:5], v9 offset:64
	s_lshl_b64 s[2:3], s[8:9], 6
	flat_load_dword v4, v[6:7]
	v_add_co_u32 v5, vcc_lo, v12, s2
	v_add_co_ci_u32_e64 v8, null, s3, v13, vcc_lo
	v_add_co_u32 v0, vcc_lo, v5, v0
	v_add_co_ci_u32_e64 v1, null, v8, v1, vcc_lo
	s_waitcnt vmcnt(0) lgkmcnt(0)
	v_mul_f32_e32 v4, s0, v4
	v_fmac_f32_e32 v4, s1, v2
	flat_store_dword v[0:1], v4
	flat_load_dword v2, v[6:7] offset:64
	s_waitcnt vmcnt(0) lgkmcnt(0)
	v_mul_f32_e32 v2, s0, v2
	v_fmac_f32_e32 v2, s1, v3
	flat_store_dword v[0:1], v2 offset:64
.LBB42_6:
	s_endpgm
.LBB42_7:
	s_branch .LBB42_5
	.section	.rodata,"a",@progbits
	.p2align	6, 0x0
	.amdhsa_kernel _ZN12_GLOBAL__N_127rocblas_gemm_batched_kernelIfLi16ELi16ELi32ELi32ELi8ELi32ELi8ELi8ELi32ELc67ELc67EKPKfS3_KPfEEvlllT_PT11_llS8_llS6_PT12_llPT13_lli
		.amdhsa_group_segment_fixed_size 2048
		.amdhsa_private_segment_fixed_size 0
		.amdhsa_kernarg_size 140
		.amdhsa_user_sgpr_count 6
		.amdhsa_user_sgpr_private_segment_buffer 1
		.amdhsa_user_sgpr_dispatch_ptr 0
		.amdhsa_user_sgpr_queue_ptr 0
		.amdhsa_user_sgpr_kernarg_segment_ptr 1
		.amdhsa_user_sgpr_dispatch_id 0
		.amdhsa_user_sgpr_flat_scratch_init 0
		.amdhsa_user_sgpr_private_segment_size 0
		.amdhsa_wavefront_size32 1
		.amdhsa_uses_dynamic_stack 0
		.amdhsa_system_sgpr_private_segment_wavefront_offset 0
		.amdhsa_system_sgpr_workgroup_id_x 1
		.amdhsa_system_sgpr_workgroup_id_y 1
		.amdhsa_system_sgpr_workgroup_id_z 1
		.amdhsa_system_sgpr_workgroup_info 0
		.amdhsa_system_vgpr_workitem_id 1
		.amdhsa_next_free_vgpr 46
		.amdhsa_next_free_sgpr 36
		.amdhsa_reserve_vcc 1
		.amdhsa_reserve_flat_scratch 0
		.amdhsa_float_round_mode_32 0
		.amdhsa_float_round_mode_16_64 0
		.amdhsa_float_denorm_mode_32 3
		.amdhsa_float_denorm_mode_16_64 3
		.amdhsa_dx10_clamp 1
		.amdhsa_ieee_mode 1
		.amdhsa_fp16_overflow 0
		.amdhsa_workgroup_processor_mode 1
		.amdhsa_memory_ordered 1
		.amdhsa_forward_progress 1
		.amdhsa_shared_vgpr_count 0
		.amdhsa_exception_fp_ieee_invalid_op 0
		.amdhsa_exception_fp_denorm_src 0
		.amdhsa_exception_fp_ieee_div_zero 0
		.amdhsa_exception_fp_ieee_overflow 0
		.amdhsa_exception_fp_ieee_underflow 0
		.amdhsa_exception_fp_ieee_inexact 0
		.amdhsa_exception_int_div_zero 0
	.end_amdhsa_kernel
	.section	.text._ZN12_GLOBAL__N_127rocblas_gemm_batched_kernelIfLi16ELi16ELi32ELi32ELi8ELi32ELi8ELi8ELi32ELc67ELc67EKPKfS3_KPfEEvlllT_PT11_llS8_llS6_PT12_llPT13_lli,"axG",@progbits,_ZN12_GLOBAL__N_127rocblas_gemm_batched_kernelIfLi16ELi16ELi32ELi32ELi8ELi32ELi8ELi8ELi32ELc67ELc67EKPKfS3_KPfEEvlllT_PT11_llS8_llS6_PT12_llPT13_lli,comdat
.Lfunc_end42:
	.size	_ZN12_GLOBAL__N_127rocblas_gemm_batched_kernelIfLi16ELi16ELi32ELi32ELi8ELi32ELi8ELi8ELi32ELc67ELc67EKPKfS3_KPfEEvlllT_PT11_llS8_llS6_PT12_llPT13_lli, .Lfunc_end42-_ZN12_GLOBAL__N_127rocblas_gemm_batched_kernelIfLi16ELi16ELi32ELi32ELi8ELi32ELi8ELi8ELi32ELc67ELc67EKPKfS3_KPfEEvlllT_PT11_llS8_llS6_PT12_llPT13_lli
                                        ; -- End function
	.set _ZN12_GLOBAL__N_127rocblas_gemm_batched_kernelIfLi16ELi16ELi32ELi32ELi8ELi32ELi8ELi8ELi32ELc67ELc67EKPKfS3_KPfEEvlllT_PT11_llS8_llS6_PT12_llPT13_lli.num_vgpr, 46
	.set _ZN12_GLOBAL__N_127rocblas_gemm_batched_kernelIfLi16ELi16ELi32ELi32ELi8ELi32ELi8ELi8ELi32ELc67ELc67EKPKfS3_KPfEEvlllT_PT11_llS8_llS6_PT12_llPT13_lli.num_agpr, 0
	.set _ZN12_GLOBAL__N_127rocblas_gemm_batched_kernelIfLi16ELi16ELi32ELi32ELi8ELi32ELi8ELi8ELi32ELc67ELc67EKPKfS3_KPfEEvlllT_PT11_llS8_llS6_PT12_llPT13_lli.numbered_sgpr, 36
	.set _ZN12_GLOBAL__N_127rocblas_gemm_batched_kernelIfLi16ELi16ELi32ELi32ELi8ELi32ELi8ELi8ELi32ELc67ELc67EKPKfS3_KPfEEvlllT_PT11_llS8_llS6_PT12_llPT13_lli.num_named_barrier, 0
	.set _ZN12_GLOBAL__N_127rocblas_gemm_batched_kernelIfLi16ELi16ELi32ELi32ELi8ELi32ELi8ELi8ELi32ELc67ELc67EKPKfS3_KPfEEvlllT_PT11_llS8_llS6_PT12_llPT13_lli.private_seg_size, 0
	.set _ZN12_GLOBAL__N_127rocblas_gemm_batched_kernelIfLi16ELi16ELi32ELi32ELi8ELi32ELi8ELi8ELi32ELc67ELc67EKPKfS3_KPfEEvlllT_PT11_llS8_llS6_PT12_llPT13_lli.uses_vcc, 1
	.set _ZN12_GLOBAL__N_127rocblas_gemm_batched_kernelIfLi16ELi16ELi32ELi32ELi8ELi32ELi8ELi8ELi32ELc67ELc67EKPKfS3_KPfEEvlllT_PT11_llS8_llS6_PT12_llPT13_lli.uses_flat_scratch, 0
	.set _ZN12_GLOBAL__N_127rocblas_gemm_batched_kernelIfLi16ELi16ELi32ELi32ELi8ELi32ELi8ELi8ELi32ELc67ELc67EKPKfS3_KPfEEvlllT_PT11_llS8_llS6_PT12_llPT13_lli.has_dyn_sized_stack, 0
	.set _ZN12_GLOBAL__N_127rocblas_gemm_batched_kernelIfLi16ELi16ELi32ELi32ELi8ELi32ELi8ELi8ELi32ELc67ELc67EKPKfS3_KPfEEvlllT_PT11_llS8_llS6_PT12_llPT13_lli.has_recursion, 0
	.set _ZN12_GLOBAL__N_127rocblas_gemm_batched_kernelIfLi16ELi16ELi32ELi32ELi8ELi32ELi8ELi8ELi32ELc67ELc67EKPKfS3_KPfEEvlllT_PT11_llS8_llS6_PT12_llPT13_lli.has_indirect_call, 0
	.section	.AMDGPU.csdata,"",@progbits
; Kernel info:
; codeLenInByte = 1408
; TotalNumSgprs: 38
; NumVgprs: 46
; ScratchSize: 0
; MemoryBound: 0
; FloatMode: 240
; IeeeMode: 1
; LDSByteSize: 2048 bytes/workgroup (compile time only)
; SGPRBlocks: 0
; VGPRBlocks: 5
; NumSGPRsForWavesPerEU: 38
; NumVGPRsForWavesPerEU: 46
; Occupancy: 16
; WaveLimiterHint : 1
; COMPUTE_PGM_RSRC2:SCRATCH_EN: 0
; COMPUTE_PGM_RSRC2:USER_SGPR: 6
; COMPUTE_PGM_RSRC2:TRAP_HANDLER: 0
; COMPUTE_PGM_RSRC2:TGID_X_EN: 1
; COMPUTE_PGM_RSRC2:TGID_Y_EN: 1
; COMPUTE_PGM_RSRC2:TGID_Z_EN: 1
; COMPUTE_PGM_RSRC2:TIDIG_COMP_CNT: 1
	.section	.text._ZN12_GLOBAL__N_127rocblas_gemm_batched_kernelIfLi16ELi16ELi32ELi32ELi8ELi32ELi8ELi8ELi32ELc67ELc78EKPKfS3_KPfEEvlllT_PT11_llS8_llS6_PT12_llPT13_lli,"axG",@progbits,_ZN12_GLOBAL__N_127rocblas_gemm_batched_kernelIfLi16ELi16ELi32ELi32ELi8ELi32ELi8ELi8ELi32ELc67ELc78EKPKfS3_KPfEEvlllT_PT11_llS8_llS6_PT12_llPT13_lli,comdat
	.globl	_ZN12_GLOBAL__N_127rocblas_gemm_batched_kernelIfLi16ELi16ELi32ELi32ELi8ELi32ELi8ELi8ELi32ELc67ELc78EKPKfS3_KPfEEvlllT_PT11_llS8_llS6_PT12_llPT13_lli ; -- Begin function _ZN12_GLOBAL__N_127rocblas_gemm_batched_kernelIfLi16ELi16ELi32ELi32ELi8ELi32ELi8ELi8ELi32ELc67ELc78EKPKfS3_KPfEEvlllT_PT11_llS8_llS6_PT12_llPT13_lli
	.p2align	8
	.type	_ZN12_GLOBAL__N_127rocblas_gemm_batched_kernelIfLi16ELi16ELi32ELi32ELi8ELi32ELi8ELi8ELi32ELc67ELc78EKPKfS3_KPfEEvlllT_PT11_llS8_llS6_PT12_llPT13_lli,@function
_ZN12_GLOBAL__N_127rocblas_gemm_batched_kernelIfLi16ELi16ELi32ELi32ELi8ELi32ELi8ELi8ELi32ELc67ELc78EKPKfS3_KPfEEvlllT_PT11_llS8_llS6_PT12_llPT13_lli: ; @_ZN12_GLOBAL__N_127rocblas_gemm_batched_kernelIfLi16ELi16ELi32ELi32ELi8ELi32ELi8ELi8ELi32ELc67ELc78EKPKfS3_KPfEEvlllT_PT11_llS8_llS6_PT12_llPT13_lli
; %bb.0:
	s_clause 0x1
	s_load_dwordx8 s[12:19], s[4:5], 0x58
	s_load_dwordx2 s[28:29], s[4:5], 0x10
	s_mov_b32 s9, 0
	s_mov_b32 s0, s7
	s_lshl_b64 s[34:35], s[8:9], 3
	s_load_dwordx4 s[8:11], s[4:5], 0x78
	v_mov_b32_e32 v9, 0
	v_mov_b32_e32 v8, 0
	;; [unrolled: 1-line block ×4, first 2 shown]
	s_waitcnt lgkmcnt(0)
	s_add_u32 s2, s12, s34
	s_addc_u32 s3, s13, s35
	s_add_u32 s18, s18, s34
	s_addc_u32 s19, s19, s35
	s_load_dwordx2 s[12:13], s[2:3], 0x0
	s_load_dwordx2 s[18:19], s[18:19], 0x0
	v_cmp_lt_i64_e64 s2, s[28:29], 1
	s_ashr_i32 s7, s6, 31
	s_ashr_i32 s1, s0, 31
	s_lshl_b64 s[6:7], s[6:7], 5
	s_lshl_b64 s[30:31], s[0:1], 5
	s_and_b32 vcc_lo, exec_lo, s2
	s_cbranch_vccnz .LBB43_3
; %bb.1:
	s_clause 0x1
	s_load_dwordx8 s[20:27], s[4:5], 0x20
	s_load_dwordx4 s[0:3], s[4:5], 0x40
	v_lshl_add_u32 v2, v1, 4, v0
	v_and_b32_e32 v3, 7, v0
	v_lshrrev_b32_e32 v6, 3, v2
	v_and_b32_e32 v7, 31, v2
	v_lshrrev_b32_e32 v8, 5, v2
	v_lshlrev_b32_e32 v9, 2, v3
	v_add_co_u32 v2, s33, v6, s30
	v_add_co_ci_u32_e64 v3, null, 0, s31, s33
	v_add_co_u32 v4, s33, s6, v7
	v_add_co_ci_u32_e64 v5, null, s7, 0, s33
	s_waitcnt lgkmcnt(0)
	s_add_u32 s20, s20, s34
	v_mul_lo_u32 v10, s1, v2
	v_mul_lo_u32 v11, s0, v3
	v_mad_u64_u32 v[2:3], null, s0, v2, 0
	v_mul_lo_u32 v12, s23, v4
	v_mul_lo_u32 v13, s22, v5
	v_mad_u64_u32 v[4:5], null, s22, v4, 0
	s_addc_u32 s21, s21, s35
	s_add_u32 s26, s26, s34
	v_add3_u32 v3, v3, v11, v10
	s_addc_u32 s27, s27, s35
	s_load_dwordx2 s[20:21], s[20:21], 0x0
	s_load_dwordx2 s[0:1], s[26:27], 0x0
	v_add3_u32 v5, v5, v13, v12
	v_lshlrev_b64 v[2:3], 2, v[2:3]
	s_lshl_b64 s[2:3], s[2:3], 2
	v_lshlrev_b32_e32 v7, 2, v7
	v_lshl_or_b32 v14, v6, 5, v9
	v_lshlrev_b64 v[4:5], 2, v[4:5]
	v_mov_b32_e32 v6, 0
	v_add_co_u32 v2, vcc_lo, v2, s2
	v_add_co_ci_u32_e64 v3, null, s3, v3, vcc_lo
	s_lshl_b64 s[2:3], s[24:25], 2
	v_lshl_or_b32 v10, v8, 7, v7
	v_add_co_u32 v4, vcc_lo, v4, s2
	v_lshlrev_b32_e32 v7, 2, v8
	v_add_co_ci_u32_e64 v5, null, s3, v5, vcc_lo
	v_add_co_u32 v2, vcc_lo, v2, v9
	v_add_co_ci_u32_e64 v3, null, 0, v3, vcc_lo
	v_add_co_u32 v4, vcc_lo, v4, v7
	v_add_co_ci_u32_e64 v5, null, 0, v5, vcc_lo
	s_waitcnt lgkmcnt(0)
	v_add_co_u32 v2, vcc_lo, s0, v2
	v_add_co_ci_u32_e64 v3, null, s1, v3, vcc_lo
	v_add_co_u32 v4, vcc_lo, s20, v4
	v_add_nc_u32_e32 v11, 0x400, v14
	v_lshlrev_b32_e32 v12, 2, v0
	v_lshl_add_u32 v13, v1, 5, 0x400
	v_add_co_ci_u32_e64 v5, null, s21, v5, vcc_lo
	v_mov_b32_e32 v7, 0
	v_mov_b32_e32 v8, 0
	v_mov_b32_e32 v9, 0
	s_mov_b64 s[2:3], 0
.LBB43_2:                               ; =>This Inner Loop Header: Depth=1
	flat_load_dword v14, v[4:5]
	s_add_u32 s2, s2, 8
	s_addc_u32 s3, s3, 0
	v_add_co_u32 v4, vcc_lo, v4, 32
	v_cmp_lt_i64_e64 s0, s[2:3], s[28:29]
	v_add_co_ci_u32_e64 v5, null, 0, v5, vcc_lo
	s_and_b32 vcc_lo, exec_lo, s0
	s_waitcnt vmcnt(0) lgkmcnt(0)
	ds_write_b32 v10, v14
	flat_load_dword v14, v[2:3]
	v_add_co_u32 v2, s0, v2, 32
	v_add_co_ci_u32_e64 v3, null, 0, v3, s0
	s_waitcnt vmcnt(0) lgkmcnt(0)
	ds_write_b32 v11, v14
	s_waitcnt lgkmcnt(0)
	s_barrier
	buffer_gl0_inv
	ds_read_b128 v[14:17], v13
	ds_read2_b32 v[30:31], v12 offset1:16
	ds_read_b128 v[18:21], v13 offset:512
	ds_read2_b32 v[32:33], v12 offset0:32 offset1:48
	ds_read2_b32 v[34:35], v12 offset0:64 offset1:80
	ds_read_b128 v[22:25], v13 offset:16
	ds_read2_b32 v[36:37], v12 offset0:96 offset1:112
	ds_read2_b32 v[38:39], v12 offset0:128 offset1:144
	;; [unrolled: 3-line block ×3, first 2 shown]
	ds_read2_b32 v[44:45], v12 offset0:224 offset1:240
	s_waitcnt lgkmcnt(0)
	s_barrier
	buffer_gl0_inv
	v_fmac_f32_e32 v9, v30, v14
	v_fmac_f32_e32 v8, v31, v14
	;; [unrolled: 1-line block ×32, first 2 shown]
	s_cbranch_vccnz .LBB43_2
.LBB43_3:
	s_clause 0x1
	s_load_dword s0, s[4:5], 0x50
	s_load_dword s1, s[4:5], 0x18
	v_add_co_u32 v2, s4, s30, v1
	v_add_co_ci_u32_e64 v5, null, s31, 0, s4
	v_add_co_u32 v0, s4, s6, v0
	v_add_co_ci_u32_e64 v1, null, s7, 0, s4
	v_mul_lo_u32 v3, v5, s8
	v_mul_lo_u32 v4, v2, s9
	s_lshl_b64 s[2:3], s[10:11], 2
	v_lshlrev_b64 v[0:1], 2, v[0:1]
	s_waitcnt lgkmcnt(0)
	s_add_u32 s2, s18, s2
	s_addc_u32 s3, s19, s3
	v_cmp_neq_f32_e64 s4, s0, 0
	s_and_b32 vcc_lo, exec_lo, s4
	s_mov_b32 s4, 0
	s_cbranch_vccnz .LBB43_7
; %bb.4:
	v_mad_u64_u32 v[10:11], null, v2, s8, 0
	s_lshl_b64 s[6:7], s[8:9], 6
	v_mul_f32_e32 v14, s1, v9
	v_mul_f32_e32 v15, s1, v8
	;; [unrolled: 1-line block ×4, first 2 shown]
	v_add3_u32 v11, v11, v4, v3
	v_lshlrev_b64 v[10:11], 2, v[10:11]
	v_add_co_u32 v10, vcc_lo, s2, v10
	v_add_co_ci_u32_e64 v11, null, s3, v11, vcc_lo
	v_add_co_u32 v12, vcc_lo, v10, s6
	v_add_co_ci_u32_e64 v13, null, s7, v11, vcc_lo
	;; [unrolled: 2-line block ×4, first 2 shown]
	flat_store_dword v[10:11], v14
	flat_store_dword v[10:11], v15 offset:64
	flat_store_dword v[12:13], v16
	flat_store_dword v[12:13], v17 offset:64
	s_andn2_b32 vcc_lo, exec_lo, s4
	s_cbranch_vccnz .LBB43_6
.LBB43_5:
	v_mul_lo_u32 v5, v5, s14
	v_mul_lo_u32 v12, v2, s15
	v_mad_u64_u32 v[10:11], null, v2, s14, 0
	s_lshl_b64 s[4:5], s[16:17], 2
	s_add_u32 s4, s12, s4
	s_addc_u32 s5, s13, s5
	v_add3_u32 v11, v11, v12, v5
	v_mad_u64_u32 v[12:13], null, v2, s8, 0
	v_lshlrev_b64 v[10:11], 2, v[10:11]
	v_add3_u32 v13, v13, v4, v3
	v_add_co_u32 v5, vcc_lo, s4, v10
	v_add_co_ci_u32_e64 v14, null, s5, v11, vcc_lo
	v_lshlrev_b64 v[2:3], 2, v[12:13]
	v_add_co_u32 v10, vcc_lo, v5, v0
	v_add_co_ci_u32_e64 v11, null, v14, v1, vcc_lo
	v_add_co_u32 v12, vcc_lo, s2, v2
	flat_load_dword v15, v[10:11]
	v_add_co_ci_u32_e64 v13, null, s3, v3, vcc_lo
	v_add_co_u32 v2, vcc_lo, v12, v0
	s_lshl_b64 s[2:3], s[14:15], 6
	v_add_co_ci_u32_e64 v3, null, v13, v1, vcc_lo
	s_waitcnt vmcnt(0) lgkmcnt(0)
	v_mul_f32_e32 v4, s0, v15
	v_fmac_f32_e32 v4, s1, v9
	flat_store_dword v[2:3], v4
	flat_load_dword v4, v[10:11] offset:64
	s_waitcnt vmcnt(0) lgkmcnt(0)
	v_mul_f32_e32 v9, s0, v4
	v_add_co_u32 v4, vcc_lo, v5, s2
	v_add_co_ci_u32_e64 v5, null, s3, v14, vcc_lo
	v_fmac_f32_e32 v9, s1, v8
	v_add_co_u32 v4, vcc_lo, v4, v0
	v_add_co_ci_u32_e64 v5, null, v5, v1, vcc_lo
	flat_store_dword v[2:3], v9 offset:64
	s_lshl_b64 s[2:3], s[8:9], 6
	flat_load_dword v2, v[4:5]
	v_add_co_u32 v3, vcc_lo, v12, s2
	v_add_co_ci_u32_e64 v8, null, s3, v13, vcc_lo
	v_add_co_u32 v0, vcc_lo, v3, v0
	v_add_co_ci_u32_e64 v1, null, v8, v1, vcc_lo
	s_waitcnt vmcnt(0) lgkmcnt(0)
	v_mul_f32_e32 v2, s0, v2
	v_fmac_f32_e32 v2, s1, v7
	flat_store_dword v[0:1], v2
	flat_load_dword v2, v[4:5] offset:64
	s_waitcnt vmcnt(0) lgkmcnt(0)
	v_mul_f32_e32 v2, s0, v2
	v_fmac_f32_e32 v2, s1, v6
	flat_store_dword v[0:1], v2 offset:64
.LBB43_6:
	s_endpgm
.LBB43_7:
	s_branch .LBB43_5
	.section	.rodata,"a",@progbits
	.p2align	6, 0x0
	.amdhsa_kernel _ZN12_GLOBAL__N_127rocblas_gemm_batched_kernelIfLi16ELi16ELi32ELi32ELi8ELi32ELi8ELi8ELi32ELc67ELc78EKPKfS3_KPfEEvlllT_PT11_llS8_llS6_PT12_llPT13_lli
		.amdhsa_group_segment_fixed_size 2048
		.amdhsa_private_segment_fixed_size 0
		.amdhsa_kernarg_size 140
		.amdhsa_user_sgpr_count 6
		.amdhsa_user_sgpr_private_segment_buffer 1
		.amdhsa_user_sgpr_dispatch_ptr 0
		.amdhsa_user_sgpr_queue_ptr 0
		.amdhsa_user_sgpr_kernarg_segment_ptr 1
		.amdhsa_user_sgpr_dispatch_id 0
		.amdhsa_user_sgpr_flat_scratch_init 0
		.amdhsa_user_sgpr_private_segment_size 0
		.amdhsa_wavefront_size32 1
		.amdhsa_uses_dynamic_stack 0
		.amdhsa_system_sgpr_private_segment_wavefront_offset 0
		.amdhsa_system_sgpr_workgroup_id_x 1
		.amdhsa_system_sgpr_workgroup_id_y 1
		.amdhsa_system_sgpr_workgroup_id_z 1
		.amdhsa_system_sgpr_workgroup_info 0
		.amdhsa_system_vgpr_workitem_id 1
		.amdhsa_next_free_vgpr 46
		.amdhsa_next_free_sgpr 36
		.amdhsa_reserve_vcc 1
		.amdhsa_reserve_flat_scratch 0
		.amdhsa_float_round_mode_32 0
		.amdhsa_float_round_mode_16_64 0
		.amdhsa_float_denorm_mode_32 3
		.amdhsa_float_denorm_mode_16_64 3
		.amdhsa_dx10_clamp 1
		.amdhsa_ieee_mode 1
		.amdhsa_fp16_overflow 0
		.amdhsa_workgroup_processor_mode 1
		.amdhsa_memory_ordered 1
		.amdhsa_forward_progress 1
		.amdhsa_shared_vgpr_count 0
		.amdhsa_exception_fp_ieee_invalid_op 0
		.amdhsa_exception_fp_denorm_src 0
		.amdhsa_exception_fp_ieee_div_zero 0
		.amdhsa_exception_fp_ieee_overflow 0
		.amdhsa_exception_fp_ieee_underflow 0
		.amdhsa_exception_fp_ieee_inexact 0
		.amdhsa_exception_int_div_zero 0
	.end_amdhsa_kernel
	.section	.text._ZN12_GLOBAL__N_127rocblas_gemm_batched_kernelIfLi16ELi16ELi32ELi32ELi8ELi32ELi8ELi8ELi32ELc67ELc78EKPKfS3_KPfEEvlllT_PT11_llS8_llS6_PT12_llPT13_lli,"axG",@progbits,_ZN12_GLOBAL__N_127rocblas_gemm_batched_kernelIfLi16ELi16ELi32ELi32ELi8ELi32ELi8ELi8ELi32ELc67ELc78EKPKfS3_KPfEEvlllT_PT11_llS8_llS6_PT12_llPT13_lli,comdat
.Lfunc_end43:
	.size	_ZN12_GLOBAL__N_127rocblas_gemm_batched_kernelIfLi16ELi16ELi32ELi32ELi8ELi32ELi8ELi8ELi32ELc67ELc78EKPKfS3_KPfEEvlllT_PT11_llS8_llS6_PT12_llPT13_lli, .Lfunc_end43-_ZN12_GLOBAL__N_127rocblas_gemm_batched_kernelIfLi16ELi16ELi32ELi32ELi8ELi32ELi8ELi8ELi32ELc67ELc78EKPKfS3_KPfEEvlllT_PT11_llS8_llS6_PT12_llPT13_lli
                                        ; -- End function
	.set _ZN12_GLOBAL__N_127rocblas_gemm_batched_kernelIfLi16ELi16ELi32ELi32ELi8ELi32ELi8ELi8ELi32ELc67ELc78EKPKfS3_KPfEEvlllT_PT11_llS8_llS6_PT12_llPT13_lli.num_vgpr, 46
	.set _ZN12_GLOBAL__N_127rocblas_gemm_batched_kernelIfLi16ELi16ELi32ELi32ELi8ELi32ELi8ELi8ELi32ELc67ELc78EKPKfS3_KPfEEvlllT_PT11_llS8_llS6_PT12_llPT13_lli.num_agpr, 0
	.set _ZN12_GLOBAL__N_127rocblas_gemm_batched_kernelIfLi16ELi16ELi32ELi32ELi8ELi32ELi8ELi8ELi32ELc67ELc78EKPKfS3_KPfEEvlllT_PT11_llS8_llS6_PT12_llPT13_lli.numbered_sgpr, 36
	.set _ZN12_GLOBAL__N_127rocblas_gemm_batched_kernelIfLi16ELi16ELi32ELi32ELi8ELi32ELi8ELi8ELi32ELc67ELc78EKPKfS3_KPfEEvlllT_PT11_llS8_llS6_PT12_llPT13_lli.num_named_barrier, 0
	.set _ZN12_GLOBAL__N_127rocblas_gemm_batched_kernelIfLi16ELi16ELi32ELi32ELi8ELi32ELi8ELi8ELi32ELc67ELc78EKPKfS3_KPfEEvlllT_PT11_llS8_llS6_PT12_llPT13_lli.private_seg_size, 0
	.set _ZN12_GLOBAL__N_127rocblas_gemm_batched_kernelIfLi16ELi16ELi32ELi32ELi8ELi32ELi8ELi8ELi32ELc67ELc78EKPKfS3_KPfEEvlllT_PT11_llS8_llS6_PT12_llPT13_lli.uses_vcc, 1
	.set _ZN12_GLOBAL__N_127rocblas_gemm_batched_kernelIfLi16ELi16ELi32ELi32ELi8ELi32ELi8ELi8ELi32ELc67ELc78EKPKfS3_KPfEEvlllT_PT11_llS8_llS6_PT12_llPT13_lli.uses_flat_scratch, 0
	.set _ZN12_GLOBAL__N_127rocblas_gemm_batched_kernelIfLi16ELi16ELi32ELi32ELi8ELi32ELi8ELi8ELi32ELc67ELc78EKPKfS3_KPfEEvlllT_PT11_llS8_llS6_PT12_llPT13_lli.has_dyn_sized_stack, 0
	.set _ZN12_GLOBAL__N_127rocblas_gemm_batched_kernelIfLi16ELi16ELi32ELi32ELi8ELi32ELi8ELi8ELi32ELc67ELc78EKPKfS3_KPfEEvlllT_PT11_llS8_llS6_PT12_llPT13_lli.has_recursion, 0
	.set _ZN12_GLOBAL__N_127rocblas_gemm_batched_kernelIfLi16ELi16ELi32ELi32ELi8ELi32ELi8ELi8ELi32ELc67ELc78EKPKfS3_KPfEEvlllT_PT11_llS8_llS6_PT12_llPT13_lli.has_indirect_call, 0
	.section	.AMDGPU.csdata,"",@progbits
; Kernel info:
; codeLenInByte = 1440
; TotalNumSgprs: 38
; NumVgprs: 46
; ScratchSize: 0
; MemoryBound: 0
; FloatMode: 240
; IeeeMode: 1
; LDSByteSize: 2048 bytes/workgroup (compile time only)
; SGPRBlocks: 0
; VGPRBlocks: 5
; NumSGPRsForWavesPerEU: 38
; NumVGPRsForWavesPerEU: 46
; Occupancy: 16
; WaveLimiterHint : 1
; COMPUTE_PGM_RSRC2:SCRATCH_EN: 0
; COMPUTE_PGM_RSRC2:USER_SGPR: 6
; COMPUTE_PGM_RSRC2:TRAP_HANDLER: 0
; COMPUTE_PGM_RSRC2:TGID_X_EN: 1
; COMPUTE_PGM_RSRC2:TGID_Y_EN: 1
; COMPUTE_PGM_RSRC2:TGID_Z_EN: 1
; COMPUTE_PGM_RSRC2:TIDIG_COMP_CNT: 1
	.section	.text._ZN12_GLOBAL__N_127rocblas_gemm_batched_kernelIfLi16ELi16ELi32ELi32ELi8ELi32ELi8ELi8ELi32ELc67ELc84EKPKfS3_KPfEEvlllT_PT11_llS8_llS6_PT12_llPT13_lli,"axG",@progbits,_ZN12_GLOBAL__N_127rocblas_gemm_batched_kernelIfLi16ELi16ELi32ELi32ELi8ELi32ELi8ELi8ELi32ELc67ELc84EKPKfS3_KPfEEvlllT_PT11_llS8_llS6_PT12_llPT13_lli,comdat
	.globl	_ZN12_GLOBAL__N_127rocblas_gemm_batched_kernelIfLi16ELi16ELi32ELi32ELi8ELi32ELi8ELi8ELi32ELc67ELc84EKPKfS3_KPfEEvlllT_PT11_llS8_llS6_PT12_llPT13_lli ; -- Begin function _ZN12_GLOBAL__N_127rocblas_gemm_batched_kernelIfLi16ELi16ELi32ELi32ELi8ELi32ELi8ELi8ELi32ELc67ELc84EKPKfS3_KPfEEvlllT_PT11_llS8_llS6_PT12_llPT13_lli
	.p2align	8
	.type	_ZN12_GLOBAL__N_127rocblas_gemm_batched_kernelIfLi16ELi16ELi32ELi32ELi8ELi32ELi8ELi8ELi32ELc67ELc84EKPKfS3_KPfEEvlllT_PT11_llS8_llS6_PT12_llPT13_lli,@function
_ZN12_GLOBAL__N_127rocblas_gemm_batched_kernelIfLi16ELi16ELi32ELi32ELi8ELi32ELi8ELi8ELi32ELc67ELc84EKPKfS3_KPfEEvlllT_PT11_llS8_llS6_PT12_llPT13_lli: ; @_ZN12_GLOBAL__N_127rocblas_gemm_batched_kernelIfLi16ELi16ELi32ELi32ELi8ELi32ELi8ELi8ELi32ELc67ELc84EKPKfS3_KPfEEvlllT_PT11_llS8_llS6_PT12_llPT13_lli
; %bb.0:
	s_clause 0x1
	s_load_dwordx8 s[12:19], s[4:5], 0x58
	s_load_dwordx2 s[28:29], s[4:5], 0x10
	s_mov_b32 s9, 0
	s_mov_b32 s0, s7
	s_lshl_b64 s[34:35], s[8:9], 3
	s_load_dwordx4 s[8:11], s[4:5], 0x78
	v_mov_b32_e32 v9, 0
	v_mov_b32_e32 v8, 0
	;; [unrolled: 1-line block ×4, first 2 shown]
	s_waitcnt lgkmcnt(0)
	s_add_u32 s2, s12, s34
	s_addc_u32 s3, s13, s35
	s_add_u32 s18, s18, s34
	s_addc_u32 s19, s19, s35
	s_load_dwordx2 s[12:13], s[2:3], 0x0
	s_load_dwordx2 s[18:19], s[18:19], 0x0
	v_cmp_lt_i64_e64 s2, s[28:29], 1
	s_ashr_i32 s7, s6, 31
	s_ashr_i32 s1, s0, 31
	s_lshl_b64 s[6:7], s[6:7], 5
	s_lshl_b64 s[30:31], s[0:1], 5
	s_and_b32 vcc_lo, exec_lo, s2
	s_cbranch_vccnz .LBB44_3
; %bb.1:
	s_clause 0x1
	s_load_dwordx8 s[20:27], s[4:5], 0x20
	s_load_dwordx4 s[0:3], s[4:5], 0x40
	v_lshl_add_u32 v8, v1, 4, v0
	v_and_b32_e32 v9, 7, v0
	v_mov_b32_e32 v3, 0
	v_lshlrev_b32_e32 v10, 2, v0
	v_and_b32_e32 v11, 31, v8
	v_lshrrev_b32_e32 v2, 3, v8
	v_lshlrev_b32_e32 v12, 2, v9
	v_lshrrev_b32_e32 v8, 5, v8
	v_add_co_u32 v6, s33, s6, v11
	v_add_co_ci_u32_e64 v7, null, s7, 0, s33
	v_lshlrev_b32_e32 v15, 2, v11
	v_lshl_or_b32 v16, v2, 5, v12
	v_lshlrev_b32_e32 v17, 2, v8
	v_lshl_add_u32 v11, v1, 5, 0x400
	s_waitcnt lgkmcnt(0)
	s_add_u32 s20, s20, s34
	s_addc_u32 s21, s21, s35
	s_add_u32 s26, s26, s34
	s_addc_u32 s27, s27, s35
	v_mad_u64_u32 v[4:5], null, s0, v9, v[2:3]
	s_load_dwordx2 s[26:27], s[26:27], 0x0
	v_mul_lo_u32 v13, s23, v6
	v_mul_lo_u32 v14, s22, v7
	v_mad_u64_u32 v[6:7], null, s22, v6, 0
	v_lshl_or_b32 v12, v8, 7, v15
	v_mov_b32_e32 v2, v5
	s_load_dwordx2 s[20:21], s[20:21], 0x0
	s_lshl_b64 s[2:3], s[2:3], 2
	v_add3_u32 v7, v7, v14, v13
	v_mad_u64_u32 v[8:9], null, s1, v9, v[2:3]
	v_add_nc_u32_e32 v13, 0x400, v16
	v_mov_b32_e32 v9, v3
	v_lshlrev_b64 v[5:6], 2, v[6:7]
	v_add_co_u32 v7, vcc_lo, v4, s30
	v_add_co_ci_u32_e64 v8, null, s31, v8, vcc_lo
	s_waitcnt lgkmcnt(0)
	s_add_u32 s22, s26, s2
	s_addc_u32 s23, s27, s3
	s_lshl_b64 s[2:3], s[24:25], 2
	v_add_co_u32 v2, vcc_lo, v5, s2
	v_add_co_ci_u32_e64 v6, null, s3, v6, vcc_lo
	v_lshlrev_b64 v[4:5], 2, v[7:8]
	v_add_co_u32 v2, vcc_lo, v2, v17
	v_add_co_ci_u32_e64 v7, null, 0, v6, vcc_lo
	v_mov_b32_e32 v8, v3
	v_add_co_u32 v4, vcc_lo, s22, v4
	v_add_co_ci_u32_e64 v5, null, s23, v5, vcc_lo
	v_add_co_u32 v6, vcc_lo, s20, v2
	v_add_co_ci_u32_e64 v7, null, s21, v7, vcc_lo
	v_mov_b32_e32 v2, v3
	s_lshl_b64 s[2:3], s[0:1], 5
	s_mov_b64 s[20:21], 0
.LBB44_2:                               ; =>This Inner Loop Header: Depth=1
	flat_load_dword v14, v[6:7]
	s_add_u32 s20, s20, 8
	s_addc_u32 s21, s21, 0
	v_add_co_u32 v6, vcc_lo, v6, 32
	v_cmp_lt_i64_e64 s0, s[20:21], s[28:29]
	v_add_co_ci_u32_e64 v7, null, 0, v7, vcc_lo
	s_and_b32 vcc_lo, exec_lo, s0
	s_waitcnt vmcnt(0) lgkmcnt(0)
	ds_write_b32 v12, v14
	flat_load_dword v14, v[4:5]
	v_add_co_u32 v4, s0, v4, s2
	v_add_co_ci_u32_e64 v5, null, s3, v5, s0
	s_waitcnt vmcnt(0) lgkmcnt(0)
	ds_write_b32 v13, v14
	s_waitcnt lgkmcnt(0)
	s_barrier
	buffer_gl0_inv
	ds_read_b128 v[14:17], v11
	ds_read2_b32 v[30:31], v10 offset1:16
	ds_read_b128 v[18:21], v11 offset:512
	ds_read2_b32 v[32:33], v10 offset0:32 offset1:48
	ds_read2_b32 v[34:35], v10 offset0:64 offset1:80
	ds_read_b128 v[22:25], v11 offset:16
	ds_read2_b32 v[36:37], v10 offset0:96 offset1:112
	ds_read2_b32 v[38:39], v10 offset0:128 offset1:144
	ds_read_b128 v[26:29], v11 offset:528
	ds_read2_b32 v[40:41], v10 offset0:160 offset1:176
	ds_read2_b32 v[42:43], v10 offset0:192 offset1:208
	ds_read2_b32 v[44:45], v10 offset0:224 offset1:240
	s_waitcnt lgkmcnt(0)
	s_barrier
	buffer_gl0_inv
	v_fmac_f32_e32 v9, v30, v14
	v_fmac_f32_e32 v8, v31, v14
	;; [unrolled: 1-line block ×32, first 2 shown]
	s_cbranch_vccnz .LBB44_2
.LBB44_3:
	s_clause 0x1
	s_load_dword s0, s[4:5], 0x50
	s_load_dword s1, s[4:5], 0x18
	v_add_co_u32 v4, s4, s30, v1
	v_add_co_ci_u32_e64 v7, null, s31, 0, s4
	v_add_co_u32 v0, s4, s6, v0
	v_add_co_ci_u32_e64 v1, null, s7, 0, s4
	v_mul_lo_u32 v5, v7, s8
	v_mul_lo_u32 v6, v4, s9
	s_lshl_b64 s[2:3], s[10:11], 2
	v_lshlrev_b64 v[0:1], 2, v[0:1]
	s_waitcnt lgkmcnt(0)
	s_add_u32 s2, s18, s2
	s_addc_u32 s3, s19, s3
	v_cmp_neq_f32_e64 s4, s0, 0
	s_and_b32 vcc_lo, exec_lo, s4
	s_mov_b32 s4, 0
	s_cbranch_vccnz .LBB44_7
; %bb.4:
	v_mad_u64_u32 v[10:11], null, v4, s8, 0
	s_lshl_b64 s[6:7], s[8:9], 6
	v_mul_f32_e32 v14, s1, v9
	v_mul_f32_e32 v15, s1, v8
	;; [unrolled: 1-line block ×4, first 2 shown]
	v_add3_u32 v11, v11, v6, v5
	v_lshlrev_b64 v[10:11], 2, v[10:11]
	v_add_co_u32 v10, vcc_lo, s2, v10
	v_add_co_ci_u32_e64 v11, null, s3, v11, vcc_lo
	v_add_co_u32 v12, vcc_lo, v10, s6
	v_add_co_ci_u32_e64 v13, null, s7, v11, vcc_lo
	;; [unrolled: 2-line block ×4, first 2 shown]
	flat_store_dword v[10:11], v14
	flat_store_dword v[10:11], v15 offset:64
	flat_store_dword v[12:13], v16
	flat_store_dword v[12:13], v17 offset:64
	s_andn2_b32 vcc_lo, exec_lo, s4
	s_cbranch_vccnz .LBB44_6
.LBB44_5:
	v_mul_lo_u32 v7, v7, s14
	v_mul_lo_u32 v12, v4, s15
	v_mad_u64_u32 v[10:11], null, v4, s14, 0
	s_lshl_b64 s[4:5], s[16:17], 2
	s_add_u32 s4, s12, s4
	s_addc_u32 s5, s13, s5
	v_add3_u32 v11, v11, v12, v7
	v_mad_u64_u32 v[12:13], null, v4, s8, 0
	v_lshlrev_b64 v[10:11], 2, v[10:11]
	v_add3_u32 v13, v13, v6, v5
	v_add_co_u32 v7, vcc_lo, s4, v10
	v_add_co_ci_u32_e64 v14, null, s5, v11, vcc_lo
	v_lshlrev_b64 v[4:5], 2, v[12:13]
	v_add_co_u32 v10, vcc_lo, v7, v0
	v_add_co_ci_u32_e64 v11, null, v14, v1, vcc_lo
	v_add_co_u32 v12, vcc_lo, s2, v4
	flat_load_dword v15, v[10:11]
	v_add_co_ci_u32_e64 v13, null, s3, v5, vcc_lo
	v_add_co_u32 v4, vcc_lo, v12, v0
	s_lshl_b64 s[2:3], s[14:15], 6
	v_add_co_ci_u32_e64 v5, null, v13, v1, vcc_lo
	s_waitcnt vmcnt(0) lgkmcnt(0)
	v_mul_f32_e32 v6, s0, v15
	v_fmac_f32_e32 v6, s1, v9
	flat_store_dword v[4:5], v6
	flat_load_dword v6, v[10:11] offset:64
	s_waitcnt vmcnt(0) lgkmcnt(0)
	v_mul_f32_e32 v9, s0, v6
	v_add_co_u32 v6, vcc_lo, v7, s2
	v_add_co_ci_u32_e64 v7, null, s3, v14, vcc_lo
	v_fmac_f32_e32 v9, s1, v8
	v_add_co_u32 v6, vcc_lo, v6, v0
	v_add_co_ci_u32_e64 v7, null, v7, v1, vcc_lo
	flat_store_dword v[4:5], v9 offset:64
	s_lshl_b64 s[2:3], s[8:9], 6
	flat_load_dword v4, v[6:7]
	v_add_co_u32 v5, vcc_lo, v12, s2
	v_add_co_ci_u32_e64 v8, null, s3, v13, vcc_lo
	v_add_co_u32 v0, vcc_lo, v5, v0
	v_add_co_ci_u32_e64 v1, null, v8, v1, vcc_lo
	s_waitcnt vmcnt(0) lgkmcnt(0)
	v_mul_f32_e32 v4, s0, v4
	v_fmac_f32_e32 v4, s1, v2
	flat_store_dword v[0:1], v4
	flat_load_dword v2, v[6:7] offset:64
	s_waitcnt vmcnt(0) lgkmcnt(0)
	v_mul_f32_e32 v2, s0, v2
	v_fmac_f32_e32 v2, s1, v3
	flat_store_dword v[0:1], v2 offset:64
.LBB44_6:
	s_endpgm
.LBB44_7:
	s_branch .LBB44_5
	.section	.rodata,"a",@progbits
	.p2align	6, 0x0
	.amdhsa_kernel _ZN12_GLOBAL__N_127rocblas_gemm_batched_kernelIfLi16ELi16ELi32ELi32ELi8ELi32ELi8ELi8ELi32ELc67ELc84EKPKfS3_KPfEEvlllT_PT11_llS8_llS6_PT12_llPT13_lli
		.amdhsa_group_segment_fixed_size 2048
		.amdhsa_private_segment_fixed_size 0
		.amdhsa_kernarg_size 140
		.amdhsa_user_sgpr_count 6
		.amdhsa_user_sgpr_private_segment_buffer 1
		.amdhsa_user_sgpr_dispatch_ptr 0
		.amdhsa_user_sgpr_queue_ptr 0
		.amdhsa_user_sgpr_kernarg_segment_ptr 1
		.amdhsa_user_sgpr_dispatch_id 0
		.amdhsa_user_sgpr_flat_scratch_init 0
		.amdhsa_user_sgpr_private_segment_size 0
		.amdhsa_wavefront_size32 1
		.amdhsa_uses_dynamic_stack 0
		.amdhsa_system_sgpr_private_segment_wavefront_offset 0
		.amdhsa_system_sgpr_workgroup_id_x 1
		.amdhsa_system_sgpr_workgroup_id_y 1
		.amdhsa_system_sgpr_workgroup_id_z 1
		.amdhsa_system_sgpr_workgroup_info 0
		.amdhsa_system_vgpr_workitem_id 1
		.amdhsa_next_free_vgpr 46
		.amdhsa_next_free_sgpr 36
		.amdhsa_reserve_vcc 1
		.amdhsa_reserve_flat_scratch 0
		.amdhsa_float_round_mode_32 0
		.amdhsa_float_round_mode_16_64 0
		.amdhsa_float_denorm_mode_32 3
		.amdhsa_float_denorm_mode_16_64 3
		.amdhsa_dx10_clamp 1
		.amdhsa_ieee_mode 1
		.amdhsa_fp16_overflow 0
		.amdhsa_workgroup_processor_mode 1
		.amdhsa_memory_ordered 1
		.amdhsa_forward_progress 1
		.amdhsa_shared_vgpr_count 0
		.amdhsa_exception_fp_ieee_invalid_op 0
		.amdhsa_exception_fp_denorm_src 0
		.amdhsa_exception_fp_ieee_div_zero 0
		.amdhsa_exception_fp_ieee_overflow 0
		.amdhsa_exception_fp_ieee_underflow 0
		.amdhsa_exception_fp_ieee_inexact 0
		.amdhsa_exception_int_div_zero 0
	.end_amdhsa_kernel
	.section	.text._ZN12_GLOBAL__N_127rocblas_gemm_batched_kernelIfLi16ELi16ELi32ELi32ELi8ELi32ELi8ELi8ELi32ELc67ELc84EKPKfS3_KPfEEvlllT_PT11_llS8_llS6_PT12_llPT13_lli,"axG",@progbits,_ZN12_GLOBAL__N_127rocblas_gemm_batched_kernelIfLi16ELi16ELi32ELi32ELi8ELi32ELi8ELi8ELi32ELc67ELc84EKPKfS3_KPfEEvlllT_PT11_llS8_llS6_PT12_llPT13_lli,comdat
.Lfunc_end44:
	.size	_ZN12_GLOBAL__N_127rocblas_gemm_batched_kernelIfLi16ELi16ELi32ELi32ELi8ELi32ELi8ELi8ELi32ELc67ELc84EKPKfS3_KPfEEvlllT_PT11_llS8_llS6_PT12_llPT13_lli, .Lfunc_end44-_ZN12_GLOBAL__N_127rocblas_gemm_batched_kernelIfLi16ELi16ELi32ELi32ELi8ELi32ELi8ELi8ELi32ELc67ELc84EKPKfS3_KPfEEvlllT_PT11_llS8_llS6_PT12_llPT13_lli
                                        ; -- End function
	.set _ZN12_GLOBAL__N_127rocblas_gemm_batched_kernelIfLi16ELi16ELi32ELi32ELi8ELi32ELi8ELi8ELi32ELc67ELc84EKPKfS3_KPfEEvlllT_PT11_llS8_llS6_PT12_llPT13_lli.num_vgpr, 46
	.set _ZN12_GLOBAL__N_127rocblas_gemm_batched_kernelIfLi16ELi16ELi32ELi32ELi8ELi32ELi8ELi8ELi32ELc67ELc84EKPKfS3_KPfEEvlllT_PT11_llS8_llS6_PT12_llPT13_lli.num_agpr, 0
	.set _ZN12_GLOBAL__N_127rocblas_gemm_batched_kernelIfLi16ELi16ELi32ELi32ELi8ELi32ELi8ELi8ELi32ELc67ELc84EKPKfS3_KPfEEvlllT_PT11_llS8_llS6_PT12_llPT13_lli.numbered_sgpr, 36
	.set _ZN12_GLOBAL__N_127rocblas_gemm_batched_kernelIfLi16ELi16ELi32ELi32ELi8ELi32ELi8ELi8ELi32ELc67ELc84EKPKfS3_KPfEEvlllT_PT11_llS8_llS6_PT12_llPT13_lli.num_named_barrier, 0
	.set _ZN12_GLOBAL__N_127rocblas_gemm_batched_kernelIfLi16ELi16ELi32ELi32ELi8ELi32ELi8ELi8ELi32ELc67ELc84EKPKfS3_KPfEEvlllT_PT11_llS8_llS6_PT12_llPT13_lli.private_seg_size, 0
	.set _ZN12_GLOBAL__N_127rocblas_gemm_batched_kernelIfLi16ELi16ELi32ELi32ELi8ELi32ELi8ELi8ELi32ELc67ELc84EKPKfS3_KPfEEvlllT_PT11_llS8_llS6_PT12_llPT13_lli.uses_vcc, 1
	.set _ZN12_GLOBAL__N_127rocblas_gemm_batched_kernelIfLi16ELi16ELi32ELi32ELi8ELi32ELi8ELi8ELi32ELc67ELc84EKPKfS3_KPfEEvlllT_PT11_llS8_llS6_PT12_llPT13_lli.uses_flat_scratch, 0
	.set _ZN12_GLOBAL__N_127rocblas_gemm_batched_kernelIfLi16ELi16ELi32ELi32ELi8ELi32ELi8ELi8ELi32ELc67ELc84EKPKfS3_KPfEEvlllT_PT11_llS8_llS6_PT12_llPT13_lli.has_dyn_sized_stack, 0
	.set _ZN12_GLOBAL__N_127rocblas_gemm_batched_kernelIfLi16ELi16ELi32ELi32ELi8ELi32ELi8ELi8ELi32ELc67ELc84EKPKfS3_KPfEEvlllT_PT11_llS8_llS6_PT12_llPT13_lli.has_recursion, 0
	.set _ZN12_GLOBAL__N_127rocblas_gemm_batched_kernelIfLi16ELi16ELi32ELi32ELi8ELi32ELi8ELi8ELi32ELc67ELc84EKPKfS3_KPfEEvlllT_PT11_llS8_llS6_PT12_llPT13_lli.has_indirect_call, 0
	.section	.AMDGPU.csdata,"",@progbits
; Kernel info:
; codeLenInByte = 1408
; TotalNumSgprs: 38
; NumVgprs: 46
; ScratchSize: 0
; MemoryBound: 0
; FloatMode: 240
; IeeeMode: 1
; LDSByteSize: 2048 bytes/workgroup (compile time only)
; SGPRBlocks: 0
; VGPRBlocks: 5
; NumSGPRsForWavesPerEU: 38
; NumVGPRsForWavesPerEU: 46
; Occupancy: 16
; WaveLimiterHint : 1
; COMPUTE_PGM_RSRC2:SCRATCH_EN: 0
; COMPUTE_PGM_RSRC2:USER_SGPR: 6
; COMPUTE_PGM_RSRC2:TRAP_HANDLER: 0
; COMPUTE_PGM_RSRC2:TGID_X_EN: 1
; COMPUTE_PGM_RSRC2:TGID_Y_EN: 1
; COMPUTE_PGM_RSRC2:TGID_Z_EN: 1
; COMPUTE_PGM_RSRC2:TIDIG_COMP_CNT: 1
	.section	.text._ZN12_GLOBAL__N_127rocblas_gemm_batched_kernelIfLi16ELi16ELi32ELi32ELi8ELi32ELi8ELi8ELi32ELc78ELc67EKPKfS3_KPfEEvlllT_PT11_llS8_llS6_PT12_llPT13_lli,"axG",@progbits,_ZN12_GLOBAL__N_127rocblas_gemm_batched_kernelIfLi16ELi16ELi32ELi32ELi8ELi32ELi8ELi8ELi32ELc78ELc67EKPKfS3_KPfEEvlllT_PT11_llS8_llS6_PT12_llPT13_lli,comdat
	.globl	_ZN12_GLOBAL__N_127rocblas_gemm_batched_kernelIfLi16ELi16ELi32ELi32ELi8ELi32ELi8ELi8ELi32ELc78ELc67EKPKfS3_KPfEEvlllT_PT11_llS8_llS6_PT12_llPT13_lli ; -- Begin function _ZN12_GLOBAL__N_127rocblas_gemm_batched_kernelIfLi16ELi16ELi32ELi32ELi8ELi32ELi8ELi8ELi32ELc78ELc67EKPKfS3_KPfEEvlllT_PT11_llS8_llS6_PT12_llPT13_lli
	.p2align	8
	.type	_ZN12_GLOBAL__N_127rocblas_gemm_batched_kernelIfLi16ELi16ELi32ELi32ELi8ELi32ELi8ELi8ELi32ELc78ELc67EKPKfS3_KPfEEvlllT_PT11_llS8_llS6_PT12_llPT13_lli,@function
_ZN12_GLOBAL__N_127rocblas_gemm_batched_kernelIfLi16ELi16ELi32ELi32ELi8ELi32ELi8ELi8ELi32ELc78ELc67EKPKfS3_KPfEEvlllT_PT11_llS8_llS6_PT12_llPT13_lli: ; @_ZN12_GLOBAL__N_127rocblas_gemm_batched_kernelIfLi16ELi16ELi32ELi32ELi8ELi32ELi8ELi8ELi32ELc78ELc67EKPKfS3_KPfEEvlllT_PT11_llS8_llS6_PT12_llPT13_lli
; %bb.0:
	s_clause 0x1
	s_load_dwordx8 s[12:19], s[4:5], 0x58
	s_load_dwordx2 s[28:29], s[4:5], 0x10
	s_mov_b32 s9, 0
	s_mov_b32 s0, s7
	s_lshl_b64 s[34:35], s[8:9], 3
	s_load_dwordx4 s[8:11], s[4:5], 0x78
	v_mov_b32_e32 v9, 0
	v_mov_b32_e32 v8, 0
	;; [unrolled: 1-line block ×4, first 2 shown]
	s_waitcnt lgkmcnt(0)
	s_add_u32 s2, s12, s34
	s_addc_u32 s3, s13, s35
	s_add_u32 s18, s18, s34
	s_addc_u32 s19, s19, s35
	s_load_dwordx2 s[12:13], s[2:3], 0x0
	s_load_dwordx2 s[18:19], s[18:19], 0x0
	v_cmp_lt_i64_e64 s2, s[28:29], 1
	s_ashr_i32 s7, s6, 31
	s_ashr_i32 s1, s0, 31
	s_lshl_b64 s[6:7], s[6:7], 5
	s_lshl_b64 s[30:31], s[0:1], 5
	s_and_b32 vcc_lo, exec_lo, s2
	s_cbranch_vccnz .LBB45_3
; %bb.1:
	s_clause 0x1
	s_load_dwordx8 s[20:27], s[4:5], 0x20
	s_load_dwordx4 s[0:3], s[4:5], 0x40
	v_lshl_add_u32 v4, v1, 4, v0
	v_mov_b32_e32 v3, 0
	v_and_b32_e32 v8, 7, v0
	v_lshlrev_b32_e32 v10, 2, v0
	v_lshl_add_u32 v11, v1, 5, 0x400
	v_lshrrev_b32_e32 v2, 3, v4
	v_lshrrev_b32_e32 v9, 5, v4
	v_and_b32_e32 v14, 31, v4
	v_lshlrev_b32_e32 v12, 2, v8
	v_lshlrev_b32_e32 v13, 2, v14
	v_lshl_or_b32 v15, v2, 5, v12
	v_lshl_or_b32 v12, v9, 7, v13
	s_waitcnt lgkmcnt(0)
	v_mad_u64_u32 v[6:7], null, s22, v9, s[6:7]
	v_mad_u64_u32 v[4:5], null, s0, v8, v[2:3]
	s_add_u32 s20, s20, s34
	s_addc_u32 s21, s21, s35
	s_add_u32 s26, s26, s34
	s_addc_u32 s27, s27, s35
	s_load_dwordx2 s[20:21], s[20:21], 0x0
	s_load_dwordx2 s[26:27], s[26:27], 0x0
	v_mov_b32_e32 v2, v5
	v_mov_b32_e32 v5, v7
	v_add_co_u32 v4, vcc_lo, v4, s30
	s_lshl_b64 s[2:3], s[2:3], 2
	v_mad_u64_u32 v[7:8], null, s1, v8, v[2:3]
	v_mad_u64_u32 v[8:9], null, s23, v9, v[5:6]
	v_add_nc_u32_e32 v13, 0x400, v15
	v_mov_b32_e32 v2, v3
	v_mov_b32_e32 v9, v3
	v_add_co_ci_u32_e64 v5, null, s31, v7, vcc_lo
	v_add_co_u32 v6, vcc_lo, v6, v14
	v_add_co_ci_u32_e64 v7, null, 0, v8, vcc_lo
	v_lshlrev_b64 v[4:5], 2, v[4:5]
	s_waitcnt lgkmcnt(0)
	s_add_u32 s26, s26, s2
	s_addc_u32 s27, s27, s3
	v_lshlrev_b64 v[6:7], 2, v[6:7]
	s_lshl_b64 s[2:3], s[0:1], 5
	s_lshl_b64 s[0:1], s[24:25], 2
	v_add_co_u32 v4, vcc_lo, s26, v4
	s_add_u32 s0, s20, s0
	s_addc_u32 s1, s21, s1
	v_add_co_ci_u32_e64 v5, null, s27, v5, vcc_lo
	v_add_co_u32 v6, vcc_lo, s0, v6
	v_add_co_ci_u32_e64 v7, null, s1, v7, vcc_lo
	v_mov_b32_e32 v8, v3
	s_lshl_b64 s[20:21], s[22:23], 5
	s_mov_b64 s[22:23], 0
.LBB45_2:                               ; =>This Inner Loop Header: Depth=1
	flat_load_dword v14, v[6:7]
	s_add_u32 s22, s22, 8
	s_addc_u32 s23, s23, 0
	v_add_co_u32 v6, vcc_lo, v6, s20
	v_cmp_lt_i64_e64 s0, s[22:23], s[28:29]
	v_add_co_ci_u32_e64 v7, null, s21, v7, vcc_lo
	s_and_b32 vcc_lo, exec_lo, s0
	s_waitcnt vmcnt(0) lgkmcnt(0)
	ds_write_b32 v12, v14
	flat_load_dword v14, v[4:5]
	v_add_co_u32 v4, s0, v4, s2
	v_add_co_ci_u32_e64 v5, null, s3, v5, s0
	s_waitcnt vmcnt(0) lgkmcnt(0)
	ds_write_b32 v13, v14
	s_waitcnt lgkmcnt(0)
	s_barrier
	buffer_gl0_inv
	ds_read_b128 v[14:17], v11
	ds_read2_b32 v[30:31], v10 offset1:16
	ds_read_b128 v[18:21], v11 offset:512
	ds_read2_b32 v[32:33], v10 offset0:32 offset1:48
	ds_read2_b32 v[34:35], v10 offset0:64 offset1:80
	ds_read_b128 v[22:25], v11 offset:16
	ds_read2_b32 v[36:37], v10 offset0:96 offset1:112
	ds_read2_b32 v[38:39], v10 offset0:128 offset1:144
	;; [unrolled: 3-line block ×3, first 2 shown]
	ds_read2_b32 v[44:45], v10 offset0:224 offset1:240
	s_waitcnt lgkmcnt(0)
	s_barrier
	buffer_gl0_inv
	v_fmac_f32_e32 v9, v30, v14
	v_fmac_f32_e32 v8, v31, v14
	;; [unrolled: 1-line block ×32, first 2 shown]
	s_cbranch_vccnz .LBB45_2
.LBB45_3:
	s_clause 0x1
	s_load_dword s0, s[4:5], 0x50
	s_load_dword s1, s[4:5], 0x18
	v_add_co_u32 v4, s4, s30, v1
	v_add_co_ci_u32_e64 v7, null, s31, 0, s4
	v_add_co_u32 v0, s4, s6, v0
	v_add_co_ci_u32_e64 v1, null, s7, 0, s4
	v_mul_lo_u32 v5, v7, s8
	v_mul_lo_u32 v6, v4, s9
	s_lshl_b64 s[2:3], s[10:11], 2
	v_lshlrev_b64 v[0:1], 2, v[0:1]
	s_waitcnt lgkmcnt(0)
	s_add_u32 s2, s18, s2
	s_addc_u32 s3, s19, s3
	v_cmp_neq_f32_e64 s4, s0, 0
	s_and_b32 vcc_lo, exec_lo, s4
	s_mov_b32 s4, 0
	s_cbranch_vccnz .LBB45_7
; %bb.4:
	v_mad_u64_u32 v[10:11], null, v4, s8, 0
	s_lshl_b64 s[6:7], s[8:9], 6
	v_mul_f32_e32 v14, s1, v9
	v_mul_f32_e32 v15, s1, v8
	;; [unrolled: 1-line block ×4, first 2 shown]
	v_add3_u32 v11, v11, v6, v5
	v_lshlrev_b64 v[10:11], 2, v[10:11]
	v_add_co_u32 v10, vcc_lo, s2, v10
	v_add_co_ci_u32_e64 v11, null, s3, v11, vcc_lo
	v_add_co_u32 v12, vcc_lo, v10, s6
	v_add_co_ci_u32_e64 v13, null, s7, v11, vcc_lo
	;; [unrolled: 2-line block ×4, first 2 shown]
	flat_store_dword v[10:11], v14
	flat_store_dword v[10:11], v15 offset:64
	flat_store_dword v[12:13], v16
	flat_store_dword v[12:13], v17 offset:64
	s_andn2_b32 vcc_lo, exec_lo, s4
	s_cbranch_vccnz .LBB45_6
.LBB45_5:
	v_mul_lo_u32 v7, v7, s14
	v_mul_lo_u32 v12, v4, s15
	v_mad_u64_u32 v[10:11], null, v4, s14, 0
	s_lshl_b64 s[4:5], s[16:17], 2
	s_add_u32 s4, s12, s4
	s_addc_u32 s5, s13, s5
	v_add3_u32 v11, v11, v12, v7
	v_mad_u64_u32 v[12:13], null, v4, s8, 0
	v_lshlrev_b64 v[10:11], 2, v[10:11]
	v_add3_u32 v13, v13, v6, v5
	v_add_co_u32 v7, vcc_lo, s4, v10
	v_add_co_ci_u32_e64 v14, null, s5, v11, vcc_lo
	v_lshlrev_b64 v[4:5], 2, v[12:13]
	v_add_co_u32 v10, vcc_lo, v7, v0
	v_add_co_ci_u32_e64 v11, null, v14, v1, vcc_lo
	v_add_co_u32 v12, vcc_lo, s2, v4
	flat_load_dword v15, v[10:11]
	v_add_co_ci_u32_e64 v13, null, s3, v5, vcc_lo
	v_add_co_u32 v4, vcc_lo, v12, v0
	s_lshl_b64 s[2:3], s[14:15], 6
	v_add_co_ci_u32_e64 v5, null, v13, v1, vcc_lo
	s_waitcnt vmcnt(0) lgkmcnt(0)
	v_mul_f32_e32 v6, s0, v15
	v_fmac_f32_e32 v6, s1, v9
	flat_store_dword v[4:5], v6
	flat_load_dword v6, v[10:11] offset:64
	s_waitcnt vmcnt(0) lgkmcnt(0)
	v_mul_f32_e32 v9, s0, v6
	v_add_co_u32 v6, vcc_lo, v7, s2
	v_add_co_ci_u32_e64 v7, null, s3, v14, vcc_lo
	v_fmac_f32_e32 v9, s1, v8
	v_add_co_u32 v6, vcc_lo, v6, v0
	v_add_co_ci_u32_e64 v7, null, v7, v1, vcc_lo
	flat_store_dword v[4:5], v9 offset:64
	s_lshl_b64 s[2:3], s[8:9], 6
	flat_load_dword v4, v[6:7]
	v_add_co_u32 v5, vcc_lo, v12, s2
	v_add_co_ci_u32_e64 v8, null, s3, v13, vcc_lo
	v_add_co_u32 v0, vcc_lo, v5, v0
	v_add_co_ci_u32_e64 v1, null, v8, v1, vcc_lo
	s_waitcnt vmcnt(0) lgkmcnt(0)
	v_mul_f32_e32 v4, s0, v4
	v_fmac_f32_e32 v4, s1, v2
	flat_store_dword v[0:1], v4
	flat_load_dword v2, v[6:7] offset:64
	s_waitcnt vmcnt(0) lgkmcnt(0)
	v_mul_f32_e32 v2, s0, v2
	v_fmac_f32_e32 v2, s1, v3
	flat_store_dword v[0:1], v2 offset:64
.LBB45_6:
	s_endpgm
.LBB45_7:
	s_branch .LBB45_5
	.section	.rodata,"a",@progbits
	.p2align	6, 0x0
	.amdhsa_kernel _ZN12_GLOBAL__N_127rocblas_gemm_batched_kernelIfLi16ELi16ELi32ELi32ELi8ELi32ELi8ELi8ELi32ELc78ELc67EKPKfS3_KPfEEvlllT_PT11_llS8_llS6_PT12_llPT13_lli
		.amdhsa_group_segment_fixed_size 2048
		.amdhsa_private_segment_fixed_size 0
		.amdhsa_kernarg_size 140
		.amdhsa_user_sgpr_count 6
		.amdhsa_user_sgpr_private_segment_buffer 1
		.amdhsa_user_sgpr_dispatch_ptr 0
		.amdhsa_user_sgpr_queue_ptr 0
		.amdhsa_user_sgpr_kernarg_segment_ptr 1
		.amdhsa_user_sgpr_dispatch_id 0
		.amdhsa_user_sgpr_flat_scratch_init 0
		.amdhsa_user_sgpr_private_segment_size 0
		.amdhsa_wavefront_size32 1
		.amdhsa_uses_dynamic_stack 0
		.amdhsa_system_sgpr_private_segment_wavefront_offset 0
		.amdhsa_system_sgpr_workgroup_id_x 1
		.amdhsa_system_sgpr_workgroup_id_y 1
		.amdhsa_system_sgpr_workgroup_id_z 1
		.amdhsa_system_sgpr_workgroup_info 0
		.amdhsa_system_vgpr_workitem_id 1
		.amdhsa_next_free_vgpr 46
		.amdhsa_next_free_sgpr 36
		.amdhsa_reserve_vcc 1
		.amdhsa_reserve_flat_scratch 0
		.amdhsa_float_round_mode_32 0
		.amdhsa_float_round_mode_16_64 0
		.amdhsa_float_denorm_mode_32 3
		.amdhsa_float_denorm_mode_16_64 3
		.amdhsa_dx10_clamp 1
		.amdhsa_ieee_mode 1
		.amdhsa_fp16_overflow 0
		.amdhsa_workgroup_processor_mode 1
		.amdhsa_memory_ordered 1
		.amdhsa_forward_progress 1
		.amdhsa_shared_vgpr_count 0
		.amdhsa_exception_fp_ieee_invalid_op 0
		.amdhsa_exception_fp_denorm_src 0
		.amdhsa_exception_fp_ieee_div_zero 0
		.amdhsa_exception_fp_ieee_overflow 0
		.amdhsa_exception_fp_ieee_underflow 0
		.amdhsa_exception_fp_ieee_inexact 0
		.amdhsa_exception_int_div_zero 0
	.end_amdhsa_kernel
	.section	.text._ZN12_GLOBAL__N_127rocblas_gemm_batched_kernelIfLi16ELi16ELi32ELi32ELi8ELi32ELi8ELi8ELi32ELc78ELc67EKPKfS3_KPfEEvlllT_PT11_llS8_llS6_PT12_llPT13_lli,"axG",@progbits,_ZN12_GLOBAL__N_127rocblas_gemm_batched_kernelIfLi16ELi16ELi32ELi32ELi8ELi32ELi8ELi8ELi32ELc78ELc67EKPKfS3_KPfEEvlllT_PT11_llS8_llS6_PT12_llPT13_lli,comdat
.Lfunc_end45:
	.size	_ZN12_GLOBAL__N_127rocblas_gemm_batched_kernelIfLi16ELi16ELi32ELi32ELi8ELi32ELi8ELi8ELi32ELc78ELc67EKPKfS3_KPfEEvlllT_PT11_llS8_llS6_PT12_llPT13_lli, .Lfunc_end45-_ZN12_GLOBAL__N_127rocblas_gemm_batched_kernelIfLi16ELi16ELi32ELi32ELi8ELi32ELi8ELi8ELi32ELc78ELc67EKPKfS3_KPfEEvlllT_PT11_llS8_llS6_PT12_llPT13_lli
                                        ; -- End function
	.set _ZN12_GLOBAL__N_127rocblas_gemm_batched_kernelIfLi16ELi16ELi32ELi32ELi8ELi32ELi8ELi8ELi32ELc78ELc67EKPKfS3_KPfEEvlllT_PT11_llS8_llS6_PT12_llPT13_lli.num_vgpr, 46
	.set _ZN12_GLOBAL__N_127rocblas_gemm_batched_kernelIfLi16ELi16ELi32ELi32ELi8ELi32ELi8ELi8ELi32ELc78ELc67EKPKfS3_KPfEEvlllT_PT11_llS8_llS6_PT12_llPT13_lli.num_agpr, 0
	.set _ZN12_GLOBAL__N_127rocblas_gemm_batched_kernelIfLi16ELi16ELi32ELi32ELi8ELi32ELi8ELi8ELi32ELc78ELc67EKPKfS3_KPfEEvlllT_PT11_llS8_llS6_PT12_llPT13_lli.numbered_sgpr, 36
	.set _ZN12_GLOBAL__N_127rocblas_gemm_batched_kernelIfLi16ELi16ELi32ELi32ELi8ELi32ELi8ELi8ELi32ELc78ELc67EKPKfS3_KPfEEvlllT_PT11_llS8_llS6_PT12_llPT13_lli.num_named_barrier, 0
	.set _ZN12_GLOBAL__N_127rocblas_gemm_batched_kernelIfLi16ELi16ELi32ELi32ELi8ELi32ELi8ELi8ELi32ELc78ELc67EKPKfS3_KPfEEvlllT_PT11_llS8_llS6_PT12_llPT13_lli.private_seg_size, 0
	.set _ZN12_GLOBAL__N_127rocblas_gemm_batched_kernelIfLi16ELi16ELi32ELi32ELi8ELi32ELi8ELi8ELi32ELc78ELc67EKPKfS3_KPfEEvlllT_PT11_llS8_llS6_PT12_llPT13_lli.uses_vcc, 1
	.set _ZN12_GLOBAL__N_127rocblas_gemm_batched_kernelIfLi16ELi16ELi32ELi32ELi8ELi32ELi8ELi8ELi32ELc78ELc67EKPKfS3_KPfEEvlllT_PT11_llS8_llS6_PT12_llPT13_lli.uses_flat_scratch, 0
	.set _ZN12_GLOBAL__N_127rocblas_gemm_batched_kernelIfLi16ELi16ELi32ELi32ELi8ELi32ELi8ELi8ELi32ELc78ELc67EKPKfS3_KPfEEvlllT_PT11_llS8_llS6_PT12_llPT13_lli.has_dyn_sized_stack, 0
	.set _ZN12_GLOBAL__N_127rocblas_gemm_batched_kernelIfLi16ELi16ELi32ELi32ELi8ELi32ELi8ELi8ELi32ELc78ELc67EKPKfS3_KPfEEvlllT_PT11_llS8_llS6_PT12_llPT13_lli.has_recursion, 0
	.set _ZN12_GLOBAL__N_127rocblas_gemm_batched_kernelIfLi16ELi16ELi32ELi32ELi8ELi32ELi8ELi8ELi32ELc78ELc67EKPKfS3_KPfEEvlllT_PT11_llS8_llS6_PT12_llPT13_lli.has_indirect_call, 0
	.section	.AMDGPU.csdata,"",@progbits
; Kernel info:
; codeLenInByte = 1372
; TotalNumSgprs: 38
; NumVgprs: 46
; ScratchSize: 0
; MemoryBound: 0
; FloatMode: 240
; IeeeMode: 1
; LDSByteSize: 2048 bytes/workgroup (compile time only)
; SGPRBlocks: 0
; VGPRBlocks: 5
; NumSGPRsForWavesPerEU: 38
; NumVGPRsForWavesPerEU: 46
; Occupancy: 16
; WaveLimiterHint : 1
; COMPUTE_PGM_RSRC2:SCRATCH_EN: 0
; COMPUTE_PGM_RSRC2:USER_SGPR: 6
; COMPUTE_PGM_RSRC2:TRAP_HANDLER: 0
; COMPUTE_PGM_RSRC2:TGID_X_EN: 1
; COMPUTE_PGM_RSRC2:TGID_Y_EN: 1
; COMPUTE_PGM_RSRC2:TGID_Z_EN: 1
; COMPUTE_PGM_RSRC2:TIDIG_COMP_CNT: 1
	.section	.text._ZN12_GLOBAL__N_127rocblas_gemm_batched_kernelIfLi16ELi16ELi32ELi32ELi8ELi32ELi8ELi8ELi32ELc84ELc67EKPKfS3_KPfEEvlllT_PT11_llS8_llS6_PT12_llPT13_lli,"axG",@progbits,_ZN12_GLOBAL__N_127rocblas_gemm_batched_kernelIfLi16ELi16ELi32ELi32ELi8ELi32ELi8ELi8ELi32ELc84ELc67EKPKfS3_KPfEEvlllT_PT11_llS8_llS6_PT12_llPT13_lli,comdat
	.globl	_ZN12_GLOBAL__N_127rocblas_gemm_batched_kernelIfLi16ELi16ELi32ELi32ELi8ELi32ELi8ELi8ELi32ELc84ELc67EKPKfS3_KPfEEvlllT_PT11_llS8_llS6_PT12_llPT13_lli ; -- Begin function _ZN12_GLOBAL__N_127rocblas_gemm_batched_kernelIfLi16ELi16ELi32ELi32ELi8ELi32ELi8ELi8ELi32ELc84ELc67EKPKfS3_KPfEEvlllT_PT11_llS8_llS6_PT12_llPT13_lli
	.p2align	8
	.type	_ZN12_GLOBAL__N_127rocblas_gemm_batched_kernelIfLi16ELi16ELi32ELi32ELi8ELi32ELi8ELi8ELi32ELc84ELc67EKPKfS3_KPfEEvlllT_PT11_llS8_llS6_PT12_llPT13_lli,@function
_ZN12_GLOBAL__N_127rocblas_gemm_batched_kernelIfLi16ELi16ELi32ELi32ELi8ELi32ELi8ELi8ELi32ELc84ELc67EKPKfS3_KPfEEvlllT_PT11_llS8_llS6_PT12_llPT13_lli: ; @_ZN12_GLOBAL__N_127rocblas_gemm_batched_kernelIfLi16ELi16ELi32ELi32ELi8ELi32ELi8ELi8ELi32ELc84ELc67EKPKfS3_KPfEEvlllT_PT11_llS8_llS6_PT12_llPT13_lli
; %bb.0:
	s_clause 0x1
	s_load_dwordx8 s[12:19], s[4:5], 0x58
	s_load_dwordx2 s[28:29], s[4:5], 0x10
	s_mov_b32 s9, 0
	s_mov_b32 s0, s7
	s_lshl_b64 s[34:35], s[8:9], 3
	s_load_dwordx4 s[8:11], s[4:5], 0x78
	v_mov_b32_e32 v9, 0
	v_mov_b32_e32 v8, 0
	;; [unrolled: 1-line block ×4, first 2 shown]
	s_waitcnt lgkmcnt(0)
	s_add_u32 s2, s12, s34
	s_addc_u32 s3, s13, s35
	s_add_u32 s18, s18, s34
	s_addc_u32 s19, s19, s35
	s_load_dwordx2 s[12:13], s[2:3], 0x0
	s_load_dwordx2 s[18:19], s[18:19], 0x0
	v_cmp_lt_i64_e64 s2, s[28:29], 1
	s_ashr_i32 s7, s6, 31
	s_ashr_i32 s1, s0, 31
	s_lshl_b64 s[6:7], s[6:7], 5
	s_lshl_b64 s[30:31], s[0:1], 5
	s_and_b32 vcc_lo, exec_lo, s2
	s_cbranch_vccnz .LBB46_3
; %bb.1:
	s_clause 0x1
	s_load_dwordx8 s[20:27], s[4:5], 0x20
	s_load_dwordx4 s[0:3], s[4:5], 0x40
	v_lshl_add_u32 v8, v1, 4, v0
	v_and_b32_e32 v9, 7, v0
	v_mov_b32_e32 v3, 0
	v_lshlrev_b32_e32 v10, 2, v0
	v_and_b32_e32 v11, 31, v8
	v_lshrrev_b32_e32 v2, 3, v8
	v_lshlrev_b32_e32 v12, 2, v9
	v_lshrrev_b32_e32 v8, 5, v8
	v_add_co_u32 v6, s33, s6, v11
	v_add_co_ci_u32_e64 v7, null, s7, 0, s33
	v_lshlrev_b32_e32 v15, 2, v11
	v_lshl_or_b32 v16, v2, 5, v12
	v_lshlrev_b32_e32 v17, 2, v8
	v_lshl_add_u32 v11, v1, 5, 0x400
	s_waitcnt lgkmcnt(0)
	s_add_u32 s20, s20, s34
	s_addc_u32 s21, s21, s35
	s_add_u32 s26, s26, s34
	s_addc_u32 s27, s27, s35
	v_mad_u64_u32 v[4:5], null, s0, v9, v[2:3]
	s_load_dwordx2 s[26:27], s[26:27], 0x0
	v_mul_lo_u32 v13, s23, v6
	v_mul_lo_u32 v14, s22, v7
	v_mad_u64_u32 v[6:7], null, s22, v6, 0
	v_lshl_or_b32 v12, v8, 7, v15
	v_mov_b32_e32 v2, v5
	s_load_dwordx2 s[20:21], s[20:21], 0x0
	s_lshl_b64 s[2:3], s[2:3], 2
	v_add3_u32 v7, v7, v14, v13
	v_mad_u64_u32 v[8:9], null, s1, v9, v[2:3]
	v_add_nc_u32_e32 v13, 0x400, v16
	v_mov_b32_e32 v9, v3
	v_lshlrev_b64 v[5:6], 2, v[6:7]
	v_add_co_u32 v7, vcc_lo, v4, s30
	v_add_co_ci_u32_e64 v8, null, s31, v8, vcc_lo
	s_waitcnt lgkmcnt(0)
	s_add_u32 s22, s26, s2
	s_addc_u32 s23, s27, s3
	s_lshl_b64 s[2:3], s[24:25], 2
	v_add_co_u32 v2, vcc_lo, v5, s2
	v_add_co_ci_u32_e64 v6, null, s3, v6, vcc_lo
	v_lshlrev_b64 v[4:5], 2, v[7:8]
	v_add_co_u32 v2, vcc_lo, v2, v17
	v_add_co_ci_u32_e64 v7, null, 0, v6, vcc_lo
	v_mov_b32_e32 v8, v3
	v_add_co_u32 v4, vcc_lo, s22, v4
	v_add_co_ci_u32_e64 v5, null, s23, v5, vcc_lo
	v_add_co_u32 v6, vcc_lo, s20, v2
	v_add_co_ci_u32_e64 v7, null, s21, v7, vcc_lo
	v_mov_b32_e32 v2, v3
	s_lshl_b64 s[2:3], s[0:1], 5
	s_mov_b64 s[20:21], 0
.LBB46_2:                               ; =>This Inner Loop Header: Depth=1
	flat_load_dword v14, v[6:7]
	s_add_u32 s20, s20, 8
	s_addc_u32 s21, s21, 0
	v_add_co_u32 v6, vcc_lo, v6, 32
	v_cmp_lt_i64_e64 s0, s[20:21], s[28:29]
	v_add_co_ci_u32_e64 v7, null, 0, v7, vcc_lo
	s_and_b32 vcc_lo, exec_lo, s0
	s_waitcnt vmcnt(0) lgkmcnt(0)
	ds_write_b32 v12, v14
	flat_load_dword v14, v[4:5]
	v_add_co_u32 v4, s0, v4, s2
	v_add_co_ci_u32_e64 v5, null, s3, v5, s0
	s_waitcnt vmcnt(0) lgkmcnt(0)
	ds_write_b32 v13, v14
	s_waitcnt lgkmcnt(0)
	s_barrier
	buffer_gl0_inv
	ds_read_b128 v[14:17], v11
	ds_read2_b32 v[30:31], v10 offset1:16
	ds_read_b128 v[18:21], v11 offset:512
	ds_read2_b32 v[32:33], v10 offset0:32 offset1:48
	ds_read2_b32 v[34:35], v10 offset0:64 offset1:80
	ds_read_b128 v[22:25], v11 offset:16
	ds_read2_b32 v[36:37], v10 offset0:96 offset1:112
	ds_read2_b32 v[38:39], v10 offset0:128 offset1:144
	;; [unrolled: 3-line block ×3, first 2 shown]
	ds_read2_b32 v[44:45], v10 offset0:224 offset1:240
	s_waitcnt lgkmcnt(0)
	s_barrier
	buffer_gl0_inv
	v_fmac_f32_e32 v9, v30, v14
	v_fmac_f32_e32 v8, v31, v14
	;; [unrolled: 1-line block ×32, first 2 shown]
	s_cbranch_vccnz .LBB46_2
.LBB46_3:
	s_clause 0x1
	s_load_dword s0, s[4:5], 0x50
	s_load_dword s1, s[4:5], 0x18
	v_add_co_u32 v4, s4, s30, v1
	v_add_co_ci_u32_e64 v7, null, s31, 0, s4
	v_add_co_u32 v0, s4, s6, v0
	v_add_co_ci_u32_e64 v1, null, s7, 0, s4
	v_mul_lo_u32 v5, v7, s8
	v_mul_lo_u32 v6, v4, s9
	s_lshl_b64 s[2:3], s[10:11], 2
	v_lshlrev_b64 v[0:1], 2, v[0:1]
	s_waitcnt lgkmcnt(0)
	s_add_u32 s2, s18, s2
	s_addc_u32 s3, s19, s3
	v_cmp_neq_f32_e64 s4, s0, 0
	s_and_b32 vcc_lo, exec_lo, s4
	s_mov_b32 s4, 0
	s_cbranch_vccnz .LBB46_7
; %bb.4:
	v_mad_u64_u32 v[10:11], null, v4, s8, 0
	s_lshl_b64 s[6:7], s[8:9], 6
	v_mul_f32_e32 v14, s1, v9
	v_mul_f32_e32 v15, s1, v8
	;; [unrolled: 1-line block ×4, first 2 shown]
	v_add3_u32 v11, v11, v6, v5
	v_lshlrev_b64 v[10:11], 2, v[10:11]
	v_add_co_u32 v10, vcc_lo, s2, v10
	v_add_co_ci_u32_e64 v11, null, s3, v11, vcc_lo
	v_add_co_u32 v12, vcc_lo, v10, s6
	v_add_co_ci_u32_e64 v13, null, s7, v11, vcc_lo
	;; [unrolled: 2-line block ×4, first 2 shown]
	flat_store_dword v[10:11], v14
	flat_store_dword v[10:11], v15 offset:64
	flat_store_dword v[12:13], v16
	flat_store_dword v[12:13], v17 offset:64
	s_andn2_b32 vcc_lo, exec_lo, s4
	s_cbranch_vccnz .LBB46_6
.LBB46_5:
	v_mul_lo_u32 v7, v7, s14
	v_mul_lo_u32 v12, v4, s15
	v_mad_u64_u32 v[10:11], null, v4, s14, 0
	s_lshl_b64 s[4:5], s[16:17], 2
	s_add_u32 s4, s12, s4
	s_addc_u32 s5, s13, s5
	v_add3_u32 v11, v11, v12, v7
	v_mad_u64_u32 v[12:13], null, v4, s8, 0
	v_lshlrev_b64 v[10:11], 2, v[10:11]
	v_add3_u32 v13, v13, v6, v5
	v_add_co_u32 v7, vcc_lo, s4, v10
	v_add_co_ci_u32_e64 v14, null, s5, v11, vcc_lo
	v_lshlrev_b64 v[4:5], 2, v[12:13]
	v_add_co_u32 v10, vcc_lo, v7, v0
	v_add_co_ci_u32_e64 v11, null, v14, v1, vcc_lo
	v_add_co_u32 v12, vcc_lo, s2, v4
	flat_load_dword v15, v[10:11]
	v_add_co_ci_u32_e64 v13, null, s3, v5, vcc_lo
	v_add_co_u32 v4, vcc_lo, v12, v0
	s_lshl_b64 s[2:3], s[14:15], 6
	v_add_co_ci_u32_e64 v5, null, v13, v1, vcc_lo
	s_waitcnt vmcnt(0) lgkmcnt(0)
	v_mul_f32_e32 v6, s0, v15
	v_fmac_f32_e32 v6, s1, v9
	flat_store_dword v[4:5], v6
	flat_load_dword v6, v[10:11] offset:64
	s_waitcnt vmcnt(0) lgkmcnt(0)
	v_mul_f32_e32 v9, s0, v6
	v_add_co_u32 v6, vcc_lo, v7, s2
	v_add_co_ci_u32_e64 v7, null, s3, v14, vcc_lo
	v_fmac_f32_e32 v9, s1, v8
	v_add_co_u32 v6, vcc_lo, v6, v0
	v_add_co_ci_u32_e64 v7, null, v7, v1, vcc_lo
	flat_store_dword v[4:5], v9 offset:64
	s_lshl_b64 s[2:3], s[8:9], 6
	flat_load_dword v4, v[6:7]
	v_add_co_u32 v5, vcc_lo, v12, s2
	v_add_co_ci_u32_e64 v8, null, s3, v13, vcc_lo
	v_add_co_u32 v0, vcc_lo, v5, v0
	v_add_co_ci_u32_e64 v1, null, v8, v1, vcc_lo
	s_waitcnt vmcnt(0) lgkmcnt(0)
	v_mul_f32_e32 v4, s0, v4
	v_fmac_f32_e32 v4, s1, v2
	flat_store_dword v[0:1], v4
	flat_load_dword v2, v[6:7] offset:64
	s_waitcnt vmcnt(0) lgkmcnt(0)
	v_mul_f32_e32 v2, s0, v2
	v_fmac_f32_e32 v2, s1, v3
	flat_store_dword v[0:1], v2 offset:64
.LBB46_6:
	s_endpgm
.LBB46_7:
	s_branch .LBB46_5
	.section	.rodata,"a",@progbits
	.p2align	6, 0x0
	.amdhsa_kernel _ZN12_GLOBAL__N_127rocblas_gemm_batched_kernelIfLi16ELi16ELi32ELi32ELi8ELi32ELi8ELi8ELi32ELc84ELc67EKPKfS3_KPfEEvlllT_PT11_llS8_llS6_PT12_llPT13_lli
		.amdhsa_group_segment_fixed_size 2048
		.amdhsa_private_segment_fixed_size 0
		.amdhsa_kernarg_size 140
		.amdhsa_user_sgpr_count 6
		.amdhsa_user_sgpr_private_segment_buffer 1
		.amdhsa_user_sgpr_dispatch_ptr 0
		.amdhsa_user_sgpr_queue_ptr 0
		.amdhsa_user_sgpr_kernarg_segment_ptr 1
		.amdhsa_user_sgpr_dispatch_id 0
		.amdhsa_user_sgpr_flat_scratch_init 0
		.amdhsa_user_sgpr_private_segment_size 0
		.amdhsa_wavefront_size32 1
		.amdhsa_uses_dynamic_stack 0
		.amdhsa_system_sgpr_private_segment_wavefront_offset 0
		.amdhsa_system_sgpr_workgroup_id_x 1
		.amdhsa_system_sgpr_workgroup_id_y 1
		.amdhsa_system_sgpr_workgroup_id_z 1
		.amdhsa_system_sgpr_workgroup_info 0
		.amdhsa_system_vgpr_workitem_id 1
		.amdhsa_next_free_vgpr 46
		.amdhsa_next_free_sgpr 36
		.amdhsa_reserve_vcc 1
		.amdhsa_reserve_flat_scratch 0
		.amdhsa_float_round_mode_32 0
		.amdhsa_float_round_mode_16_64 0
		.amdhsa_float_denorm_mode_32 3
		.amdhsa_float_denorm_mode_16_64 3
		.amdhsa_dx10_clamp 1
		.amdhsa_ieee_mode 1
		.amdhsa_fp16_overflow 0
		.amdhsa_workgroup_processor_mode 1
		.amdhsa_memory_ordered 1
		.amdhsa_forward_progress 1
		.amdhsa_shared_vgpr_count 0
		.amdhsa_exception_fp_ieee_invalid_op 0
		.amdhsa_exception_fp_denorm_src 0
		.amdhsa_exception_fp_ieee_div_zero 0
		.amdhsa_exception_fp_ieee_overflow 0
		.amdhsa_exception_fp_ieee_underflow 0
		.amdhsa_exception_fp_ieee_inexact 0
		.amdhsa_exception_int_div_zero 0
	.end_amdhsa_kernel
	.section	.text._ZN12_GLOBAL__N_127rocblas_gemm_batched_kernelIfLi16ELi16ELi32ELi32ELi8ELi32ELi8ELi8ELi32ELc84ELc67EKPKfS3_KPfEEvlllT_PT11_llS8_llS6_PT12_llPT13_lli,"axG",@progbits,_ZN12_GLOBAL__N_127rocblas_gemm_batched_kernelIfLi16ELi16ELi32ELi32ELi8ELi32ELi8ELi8ELi32ELc84ELc67EKPKfS3_KPfEEvlllT_PT11_llS8_llS6_PT12_llPT13_lli,comdat
.Lfunc_end46:
	.size	_ZN12_GLOBAL__N_127rocblas_gemm_batched_kernelIfLi16ELi16ELi32ELi32ELi8ELi32ELi8ELi8ELi32ELc84ELc67EKPKfS3_KPfEEvlllT_PT11_llS8_llS6_PT12_llPT13_lli, .Lfunc_end46-_ZN12_GLOBAL__N_127rocblas_gemm_batched_kernelIfLi16ELi16ELi32ELi32ELi8ELi32ELi8ELi8ELi32ELc84ELc67EKPKfS3_KPfEEvlllT_PT11_llS8_llS6_PT12_llPT13_lli
                                        ; -- End function
	.set _ZN12_GLOBAL__N_127rocblas_gemm_batched_kernelIfLi16ELi16ELi32ELi32ELi8ELi32ELi8ELi8ELi32ELc84ELc67EKPKfS3_KPfEEvlllT_PT11_llS8_llS6_PT12_llPT13_lli.num_vgpr, 46
	.set _ZN12_GLOBAL__N_127rocblas_gemm_batched_kernelIfLi16ELi16ELi32ELi32ELi8ELi32ELi8ELi8ELi32ELc84ELc67EKPKfS3_KPfEEvlllT_PT11_llS8_llS6_PT12_llPT13_lli.num_agpr, 0
	.set _ZN12_GLOBAL__N_127rocblas_gemm_batched_kernelIfLi16ELi16ELi32ELi32ELi8ELi32ELi8ELi8ELi32ELc84ELc67EKPKfS3_KPfEEvlllT_PT11_llS8_llS6_PT12_llPT13_lli.numbered_sgpr, 36
	.set _ZN12_GLOBAL__N_127rocblas_gemm_batched_kernelIfLi16ELi16ELi32ELi32ELi8ELi32ELi8ELi8ELi32ELc84ELc67EKPKfS3_KPfEEvlllT_PT11_llS8_llS6_PT12_llPT13_lli.num_named_barrier, 0
	.set _ZN12_GLOBAL__N_127rocblas_gemm_batched_kernelIfLi16ELi16ELi32ELi32ELi8ELi32ELi8ELi8ELi32ELc84ELc67EKPKfS3_KPfEEvlllT_PT11_llS8_llS6_PT12_llPT13_lli.private_seg_size, 0
	.set _ZN12_GLOBAL__N_127rocblas_gemm_batched_kernelIfLi16ELi16ELi32ELi32ELi8ELi32ELi8ELi8ELi32ELc84ELc67EKPKfS3_KPfEEvlllT_PT11_llS8_llS6_PT12_llPT13_lli.uses_vcc, 1
	.set _ZN12_GLOBAL__N_127rocblas_gemm_batched_kernelIfLi16ELi16ELi32ELi32ELi8ELi32ELi8ELi8ELi32ELc84ELc67EKPKfS3_KPfEEvlllT_PT11_llS8_llS6_PT12_llPT13_lli.uses_flat_scratch, 0
	.set _ZN12_GLOBAL__N_127rocblas_gemm_batched_kernelIfLi16ELi16ELi32ELi32ELi8ELi32ELi8ELi8ELi32ELc84ELc67EKPKfS3_KPfEEvlllT_PT11_llS8_llS6_PT12_llPT13_lli.has_dyn_sized_stack, 0
	.set _ZN12_GLOBAL__N_127rocblas_gemm_batched_kernelIfLi16ELi16ELi32ELi32ELi8ELi32ELi8ELi8ELi32ELc84ELc67EKPKfS3_KPfEEvlllT_PT11_llS8_llS6_PT12_llPT13_lli.has_recursion, 0
	.set _ZN12_GLOBAL__N_127rocblas_gemm_batched_kernelIfLi16ELi16ELi32ELi32ELi8ELi32ELi8ELi8ELi32ELc84ELc67EKPKfS3_KPfEEvlllT_PT11_llS8_llS6_PT12_llPT13_lli.has_indirect_call, 0
	.section	.AMDGPU.csdata,"",@progbits
; Kernel info:
; codeLenInByte = 1408
; TotalNumSgprs: 38
; NumVgprs: 46
; ScratchSize: 0
; MemoryBound: 0
; FloatMode: 240
; IeeeMode: 1
; LDSByteSize: 2048 bytes/workgroup (compile time only)
; SGPRBlocks: 0
; VGPRBlocks: 5
; NumSGPRsForWavesPerEU: 38
; NumVGPRsForWavesPerEU: 46
; Occupancy: 16
; WaveLimiterHint : 1
; COMPUTE_PGM_RSRC2:SCRATCH_EN: 0
; COMPUTE_PGM_RSRC2:USER_SGPR: 6
; COMPUTE_PGM_RSRC2:TRAP_HANDLER: 0
; COMPUTE_PGM_RSRC2:TGID_X_EN: 1
; COMPUTE_PGM_RSRC2:TGID_Y_EN: 1
; COMPUTE_PGM_RSRC2:TGID_Z_EN: 1
; COMPUTE_PGM_RSRC2:TIDIG_COMP_CNT: 1
	.section	.text._ZN12_GLOBAL__N_135rocblas_gemm_batched_general_kernelIfLi16ELi16ELi32ELi32ELi8ELi32ELi8ELi8ELi32ELc78ELc78EKPKfS3_KPfEEvlllT_PT11_llS8_llS6_PT12_llPT13_lli,"axG",@progbits,_ZN12_GLOBAL__N_135rocblas_gemm_batched_general_kernelIfLi16ELi16ELi32ELi32ELi8ELi32ELi8ELi8ELi32ELc78ELc78EKPKfS3_KPfEEvlllT_PT11_llS8_llS6_PT12_llPT13_lli,comdat
	.globl	_ZN12_GLOBAL__N_135rocblas_gemm_batched_general_kernelIfLi16ELi16ELi32ELi32ELi8ELi32ELi8ELi8ELi32ELc78ELc78EKPKfS3_KPfEEvlllT_PT11_llS8_llS6_PT12_llPT13_lli ; -- Begin function _ZN12_GLOBAL__N_135rocblas_gemm_batched_general_kernelIfLi16ELi16ELi32ELi32ELi8ELi32ELi8ELi8ELi32ELc78ELc78EKPKfS3_KPfEEvlllT_PT11_llS8_llS6_PT12_llPT13_lli
	.p2align	8
	.type	_ZN12_GLOBAL__N_135rocblas_gemm_batched_general_kernelIfLi16ELi16ELi32ELi32ELi8ELi32ELi8ELi8ELi32ELc78ELc78EKPKfS3_KPfEEvlllT_PT11_llS8_llS6_PT12_llPT13_lli,@function
_ZN12_GLOBAL__N_135rocblas_gemm_batched_general_kernelIfLi16ELi16ELi32ELi32ELi8ELi32ELi8ELi8ELi32ELc78ELc78EKPKfS3_KPfEEvlllT_PT11_llS8_llS6_PT12_llPT13_lli: ; @_ZN12_GLOBAL__N_135rocblas_gemm_batched_general_kernelIfLi16ELi16ELi32ELi32ELi8ELi32ELi8ELi8ELi32ELc78ELc78EKPKfS3_KPfEEvlllT_PT11_llS8_llS6_PT12_llPT13_lli
; %bb.0:
	s_clause 0x1
	s_load_dwordx8 s[12:19], s[4:5], 0x58
	s_load_dwordx2 s[34:35], s[4:5], 0x10
	s_mov_b32 s9, 0
	s_load_dwordx4 s[28:31], s[4:5], 0x0
	s_lshl_b64 s[42:43], s[8:9], 3
	s_load_dwordx4 s[8:11], s[4:5], 0x78
	s_mov_b32 s0, s7
	v_mov_b32_e32 v10, 0
	v_mov_b32_e32 v9, 0
	;; [unrolled: 1-line block ×4, first 2 shown]
	s_waitcnt lgkmcnt(0)
	s_add_u32 s2, s12, s42
	s_addc_u32 s3, s13, s43
	s_add_u32 s18, s18, s42
	s_addc_u32 s19, s19, s43
	s_load_dwordx2 s[12:13], s[2:3], 0x0
	s_load_dwordx2 s[2:3], s[18:19], 0x0
	v_cmp_lt_i64_e64 s20, s[34:35], 1
	s_ashr_i32 s7, s6, 31
	s_ashr_i32 s1, s0, 31
	s_lshl_b64 s[18:19], s[6:7], 5
	s_lshl_b64 s[40:41], s[0:1], 5
	s_and_b32 vcc_lo, exec_lo, s20
	s_cbranch_vccnz .LBB47_7
; %bb.1:
	s_clause 0x1
	s_load_dwordx8 s[20:27], s[4:5], 0x20
	s_load_dwordx4 s[36:39], s[4:5], 0x40
	v_lshl_add_u32 v2, v1, 4, v0
	v_and_b32_e32 v6, 7, v0
	v_mov_b32_e32 v3, s19
	v_mov_b32_e32 v7, 0
	v_lshlrev_b32_e32 v11, 2, v0
	v_lshrrev_b32_e32 v8, 3, v2
	v_lshrrev_b32_e32 v12, 5, v2
	v_and_b32_e32 v9, 31, v2
	v_lshlrev_b32_e32 v16, 2, v6
	v_lshl_add_u32 v13, v1, 5, 0x400
	v_add_co_u32 v4, s0, v8, s40
	v_add_co_ci_u32_e64 v5, null, 0, s41, s0
	v_or_b32_e32 v2, s18, v9
	v_lshlrev_b32_e32 v17, 2, v9
	v_lshl_or_b32 v10, v8, 5, v16
	v_cmp_gt_i64_e64 s1, s[30:31], v[4:5]
	s_waitcnt lgkmcnt(0)
	v_mad_u64_u32 v[8:9], null, s22, v12, 0
	v_cmp_gt_i64_e64 s0, s[28:29], v[2:3]
	v_mul_lo_u32 v18, s37, v4
	v_mad_u64_u32 v[3:4], null, s36, v4, 0
	v_mul_lo_u32 v5, s36, v5
	s_add_u32 s26, s26, s42
	v_mov_b32_e32 v2, v9
	v_add_nc_u32_e32 v15, 0x400, v10
	s_addc_u32 s27, s27, s43
	s_add_u32 s20, s20, s42
	s_load_dwordx2 s[26:27], s[26:27], 0x0
	v_mad_u64_u32 v[9:10], null, s23, v12, v[2:3]
	v_add3_u32 v4, v4, v5, v18
	s_addc_u32 s21, s21, s43
	s_lshl_b64 s[36:37], s[38:39], 2
	s_load_dwordx2 s[20:21], s[20:21], 0x0
	s_lshl_b64 s[6:7], s[6:7], 7
	v_lshlrev_b64 v[2:3], 2, v[3:4]
	v_lshlrev_b64 v[4:5], 2, v[8:9]
	s_lshl_b64 s[24:25], s[24:25], 2
	v_lshl_or_b32 v14, v12, 7, v17
	s_add_u32 s6, s24, s6
	s_addc_u32 s7, s25, s7
	v_add_co_u32 v2, vcc_lo, v2, s36
	v_add_co_ci_u32_e64 v3, null, s37, v3, vcc_lo
	v_add_co_u32 v4, vcc_lo, s6, v4
	v_add_co_ci_u32_e64 v5, null, s7, v5, vcc_lo
	;; [unrolled: 2-line block ×4, first 2 shown]
	s_waitcnt lgkmcnt(0)
	v_add_co_u32 v2, vcc_lo, s26, v2
	v_add_co_ci_u32_e64 v3, null, s27, v3, vcc_lo
	v_add_co_u32 v4, vcc_lo, s20, v4
	v_add_co_ci_u32_e64 v5, null, s21, v5, vcc_lo
	v_mov_b32_e32 v8, 0
	v_mov_b32_e32 v9, 0
	;; [unrolled: 1-line block ×3, first 2 shown]
	s_lshl_b64 s[6:7], s[22:23], 5
	s_mov_b64 s[20:21], 0
	s_branch .LBB47_3
.LBB47_2:                               ;   in Loop: Header=BB47_3 Depth=1
	s_or_b32 exec_lo, exec_lo, s22
	s_waitcnt vmcnt(0) lgkmcnt(0)
	ds_write_b32 v15, v17
	s_waitcnt lgkmcnt(0)
	s_barrier
	buffer_gl0_inv
	ds_read_b128 v[16:19], v13
	ds_read2_b32 v[32:33], v11 offset1:16
	ds_read_b128 v[20:23], v13 offset:512
	ds_read2_b32 v[34:35], v11 offset0:32 offset1:48
	ds_read2_b32 v[36:37], v11 offset0:64 offset1:80
	;; [unrolled: 1-line block ×3, first 2 shown]
	ds_read_b128 v[24:27], v13 offset:16
	ds_read2_b32 v[40:41], v11 offset0:128 offset1:144
	ds_read_b128 v[28:31], v13 offset:528
	ds_read2_b32 v[42:43], v11 offset0:160 offset1:176
	s_add_u32 s20, s20, 8
	s_addc_u32 s21, s21, 0
	v_add_co_u32 v2, vcc_lo, v2, 32
	v_cmp_lt_i64_e64 s22, s[20:21], s[34:35]
	v_add_co_ci_u32_e64 v3, null, 0, v3, vcc_lo
	v_add_co_u32 v4, vcc_lo, v4, s6
	v_add_co_ci_u32_e64 v5, null, s7, v5, vcc_lo
	s_waitcnt lgkmcnt(8)
	v_fmac_f32_e32 v10, v32, v16
	v_fmac_f32_e32 v9, v33, v16
	s_waitcnt lgkmcnt(7)
	v_fmac_f32_e32 v8, v32, v20
	v_fmac_f32_e32 v7, v33, v20
	ds_read2_b32 v[32:33], v11 offset0:192 offset1:208
	s_waitcnt lgkmcnt(7)
	v_fmac_f32_e32 v10, v34, v17
	v_fmac_f32_e32 v9, v35, v17
	;; [unrolled: 1-line block ×4, first 2 shown]
	ds_read2_b32 v[16:17], v11 offset0:224 offset1:240
	s_waitcnt lgkmcnt(7)
	v_fmac_f32_e32 v10, v36, v18
	v_fmac_f32_e32 v9, v37, v18
	v_fmac_f32_e32 v8, v36, v22
	v_fmac_f32_e32 v7, v37, v22
	s_and_b32 vcc_lo, exec_lo, s22
	s_waitcnt lgkmcnt(6)
	v_fmac_f32_e32 v10, v38, v19
	v_fmac_f32_e32 v9, v39, v19
	;; [unrolled: 1-line block ×4, first 2 shown]
	s_waitcnt lgkmcnt(0)
	v_fmac_f32_e32 v10, v40, v24
	v_fmac_f32_e32 v9, v41, v24
	;; [unrolled: 1-line block ×4, first 2 shown]
	s_barrier
	v_fmac_f32_e32 v10, v42, v25
	v_fmac_f32_e32 v9, v43, v25
	;; [unrolled: 1-line block ×4, first 2 shown]
	buffer_gl0_inv
	v_fmac_f32_e32 v10, v32, v26
	v_fmac_f32_e32 v9, v33, v26
	v_fmac_f32_e32 v8, v32, v30
	v_fmac_f32_e32 v7, v33, v30
	v_fmac_f32_e32 v10, v16, v27
	v_fmac_f32_e32 v9, v17, v27
	v_fmac_f32_e32 v8, v16, v31
	v_fmac_f32_e32 v7, v17, v31
	s_cbranch_vccz .LBB47_7
.LBB47_3:                               ; =>This Inner Loop Header: Depth=1
	v_add_co_u32 v16, s22, v12, s20
	v_add_co_ci_u32_e64 v17, null, 0, s21, s22
	v_cmp_gt_i64_e32 vcc_lo, s[34:35], v[16:17]
	v_mov_b32_e32 v16, 0
	s_and_b32 s23, s0, vcc_lo
	s_and_saveexec_b32 s22, s23
	s_cbranch_execz .LBB47_5
; %bb.4:                                ;   in Loop: Header=BB47_3 Depth=1
	flat_load_dword v16, v[4:5]
.LBB47_5:                               ;   in Loop: Header=BB47_3 Depth=1
	s_or_b32 exec_lo, exec_lo, s22
	v_add_co_u32 v17, s22, v6, s20
	v_add_co_ci_u32_e64 v18, null, 0, s21, s22
	s_waitcnt vmcnt(0) lgkmcnt(0)
	ds_write_b32 v14, v16
	v_cmp_gt_i64_e32 vcc_lo, s[34:35], v[17:18]
	v_mov_b32_e32 v17, 0
	s_and_b32 s23, vcc_lo, s1
	s_and_saveexec_b32 s22, s23
	s_cbranch_execz .LBB47_2
; %bb.6:                                ;   in Loop: Header=BB47_3 Depth=1
	flat_load_dword v17, v[2:3]
	s_branch .LBB47_2
.LBB47_7:
	s_clause 0x1
	s_load_dword s6, s[4:5], 0x50
	s_load_dword s4, s[4:5], 0x18
	v_add_co_u32 v1, s5, s40, v1
	v_add_co_ci_u32_e64 v2, null, s41, 0, s5
	s_lshl_b64 s[0:1], s[10:11], 2
	s_waitcnt lgkmcnt(0)
	s_add_u32 s5, s2, s0
	v_cmp_gt_i64_e64 s0, s[30:31], v[1:2]
	s_addc_u32 s3, s3, s1
	v_cmp_neq_f32_e64 s7, s6, 0
	s_and_b32 vcc_lo, exec_lo, s7
	s_cbranch_vccnz .LBB47_20
; %bb.8:
	s_and_saveexec_b32 s7, s0
	s_cbranch_execz .LBB47_18
; %bb.9:
	v_mul_lo_u32 v5, v2, s8
	v_mul_lo_u32 v6, v1, s9
	v_mad_u64_u32 v[3:4], null, v1, s8, 0
	v_add3_u32 v4, v4, v6, v5
	v_add_co_u32 v5, s1, s18, v0
	v_add_co_ci_u32_e64 v6, null, s19, 0, s1
	v_lshlrev_b64 v[11:12], 2, v[3:4]
	v_cmp_gt_i64_e32 vcc_lo, s[28:29], v[5:6]
	v_lshlrev_b64 v[3:4], 2, v[5:6]
	v_add_co_u32 v11, s1, s5, v11
	v_add_co_ci_u32_e64 v12, null, s3, v12, s1
	s_and_saveexec_b32 s2, vcc_lo
	s_cbranch_execz .LBB47_11
; %bb.10:
	v_add_co_u32 v13, s1, v11, v3
	v_add_co_ci_u32_e64 v14, null, v12, v4, s1
	v_mul_f32_e32 v15, s4, v10
	flat_store_dword v[13:14], v15
.LBB47_11:
	s_or_b32 exec_lo, exec_lo, s2
	v_add_co_u32 v5, s1, v5, 16
	v_add_co_ci_u32_e64 v6, null, 0, v6, s1
	v_cmp_gt_i64_e64 s1, s[28:29], v[5:6]
	s_and_saveexec_b32 s10, s1
	s_cbranch_execz .LBB47_13
; %bb.12:
	v_add_co_u32 v5, s2, v11, v3
	v_add_co_ci_u32_e64 v6, null, v12, v4, s2
	v_mul_f32_e32 v13, s4, v9
	flat_store_dword v[5:6], v13 offset:64
.LBB47_13:
	s_or_b32 exec_lo, exec_lo, s10
	v_add_co_u32 v5, s2, v1, 16
	v_add_co_ci_u32_e64 v6, null, 0, v2, s2
	v_cmp_gt_i64_e64 s2, s[30:31], v[5:6]
	s_and_b32 exec_lo, exec_lo, s2
	s_cbranch_execz .LBB47_18
; %bb.14:
	s_lshl_b64 s[10:11], s[8:9], 6
	v_add_co_u32 v5, s2, v11, s10
	v_add_co_ci_u32_e64 v6, null, s11, v12, s2
	v_add_co_u32 v3, s2, v5, v3
	v_add_co_ci_u32_e64 v4, null, v6, v4, s2
	s_and_saveexec_b32 s2, vcc_lo
	s_cbranch_execz .LBB47_16
; %bb.15:
	v_mul_f32_e32 v5, s4, v8
	flat_store_dword v[3:4], v5
.LBB47_16:
	s_or_b32 exec_lo, exec_lo, s2
	s_and_b32 exec_lo, exec_lo, s1
	s_cbranch_execz .LBB47_18
; %bb.17:
	v_mul_f32_e32 v5, s4, v7
	flat_store_dword v[3:4], v5 offset:64
.LBB47_18:
	s_or_b32 exec_lo, exec_lo, s7
	s_cbranch_execz .LBB47_21
.LBB47_19:
	s_endpgm
.LBB47_20:
.LBB47_21:
	s_and_saveexec_b32 s1, s0
	s_cbranch_execz .LBB47_19
; %bb.22:
	v_mul_lo_u32 v5, v2, s14
	v_mul_lo_u32 v6, v1, s15
	v_mad_u64_u32 v[3:4], null, v1, s14, 0
	v_mul_lo_u32 v13, v2, s8
	v_mul_lo_u32 v14, v1, s9
	v_mad_u64_u32 v[11:12], null, v1, s8, 0
	s_lshl_b64 s[0:1], s[16:17], 2
	v_add3_u32 v4, v4, v6, v5
	v_add_co_u32 v5, s2, s18, v0
	v_add_co_ci_u32_e64 v6, null, s19, 0, s2
	v_add3_u32 v12, v12, v14, v13
	v_lshlrev_b64 v[3:4], 2, v[3:4]
	s_add_u32 s0, s12, s0
	s_addc_u32 s1, s13, s1
	v_cmp_gt_i64_e32 vcc_lo, s[28:29], v[5:6]
	v_lshlrev_b64 v[12:13], 2, v[11:12]
	v_add_co_u32 v0, s0, s0, v3
	v_add_co_ci_u32_e64 v11, null, s1, v4, s0
	v_add_co_u32 v12, s0, s5, v12
	v_lshlrev_b64 v[3:4], 2, v[5:6]
	v_add_co_ci_u32_e64 v13, null, s3, v13, s0
	s_and_saveexec_b32 s1, vcc_lo
	s_cbranch_execz .LBB47_24
; %bb.23:
	v_add_co_u32 v14, s0, v0, v3
	v_add_co_ci_u32_e64 v15, null, v11, v4, s0
	flat_load_dword v14, v[14:15]
	s_waitcnt vmcnt(0) lgkmcnt(0)
	v_mul_f32_e32 v16, s6, v14
	v_add_co_u32 v14, s0, v12, v3
	v_add_co_ci_u32_e64 v15, null, v13, v4, s0
	v_fmac_f32_e32 v16, s4, v10
	flat_store_dword v[14:15], v16
.LBB47_24:
	s_or_b32 exec_lo, exec_lo, s1
	v_add_co_u32 v5, s0, v5, 16
	v_add_co_ci_u32_e64 v6, null, 0, v6, s0
	v_cmp_gt_i64_e64 s0, s[28:29], v[5:6]
	s_and_saveexec_b32 s2, s0
	s_cbranch_execz .LBB47_26
; %bb.25:
	v_add_co_u32 v5, s1, v0, v3
	v_add_co_ci_u32_e64 v6, null, v11, v4, s1
	flat_load_dword v5, v[5:6] offset:64
	s_waitcnt vmcnt(0) lgkmcnt(0)
	v_mul_f32_e32 v10, s6, v5
	v_add_co_u32 v5, s1, v12, v3
	v_add_co_ci_u32_e64 v6, null, v13, v4, s1
	v_fmac_f32_e32 v10, s4, v9
	flat_store_dword v[5:6], v10 offset:64
.LBB47_26:
	s_or_b32 exec_lo, exec_lo, s2
	v_add_co_u32 v1, s1, v1, 16
	v_add_co_ci_u32_e64 v2, null, 0, v2, s1
	v_cmp_gt_i64_e64 s1, s[30:31], v[1:2]
	s_and_b32 exec_lo, exec_lo, s1
	s_cbranch_execz .LBB47_19
; %bb.27:
	s_lshl_b64 s[2:3], s[14:15], 6
	v_add_co_u32 v0, s1, v0, s2
	v_add_co_ci_u32_e64 v1, null, s3, v11, s1
	s_lshl_b64 s[2:3], s[8:9], 6
	v_add_co_u32 v2, s1, v12, s2
	v_add_co_ci_u32_e64 v5, null, s3, v13, s1
	v_add_co_u32 v0, s1, v0, v3
	v_add_co_ci_u32_e64 v1, null, v1, v4, s1
	;; [unrolled: 2-line block ×3, first 2 shown]
	s_and_saveexec_b32 s1, vcc_lo
	s_cbranch_execz .LBB47_29
; %bb.28:
	flat_load_dword v4, v[0:1]
	s_waitcnt vmcnt(0) lgkmcnt(0)
	v_mul_f32_e32 v4, s6, v4
	v_fmac_f32_e32 v4, s4, v8
	flat_store_dword v[2:3], v4
.LBB47_29:
	s_or_b32 exec_lo, exec_lo, s1
	s_and_b32 exec_lo, exec_lo, s0
	s_cbranch_execz .LBB47_19
; %bb.30:
	flat_load_dword v0, v[0:1] offset:64
	s_waitcnt vmcnt(0) lgkmcnt(0)
	v_mul_f32_e32 v0, s6, v0
	v_fmac_f32_e32 v0, s4, v7
	flat_store_dword v[2:3], v0 offset:64
	s_endpgm
	.section	.rodata,"a",@progbits
	.p2align	6, 0x0
	.amdhsa_kernel _ZN12_GLOBAL__N_135rocblas_gemm_batched_general_kernelIfLi16ELi16ELi32ELi32ELi8ELi32ELi8ELi8ELi32ELc78ELc78EKPKfS3_KPfEEvlllT_PT11_llS8_llS6_PT12_llPT13_lli
		.amdhsa_group_segment_fixed_size 2048
		.amdhsa_private_segment_fixed_size 0
		.amdhsa_kernarg_size 140
		.amdhsa_user_sgpr_count 6
		.amdhsa_user_sgpr_private_segment_buffer 1
		.amdhsa_user_sgpr_dispatch_ptr 0
		.amdhsa_user_sgpr_queue_ptr 0
		.amdhsa_user_sgpr_kernarg_segment_ptr 1
		.amdhsa_user_sgpr_dispatch_id 0
		.amdhsa_user_sgpr_flat_scratch_init 0
		.amdhsa_user_sgpr_private_segment_size 0
		.amdhsa_wavefront_size32 1
		.amdhsa_uses_dynamic_stack 0
		.amdhsa_system_sgpr_private_segment_wavefront_offset 0
		.amdhsa_system_sgpr_workgroup_id_x 1
		.amdhsa_system_sgpr_workgroup_id_y 1
		.amdhsa_system_sgpr_workgroup_id_z 1
		.amdhsa_system_sgpr_workgroup_info 0
		.amdhsa_system_vgpr_workitem_id 1
		.amdhsa_next_free_vgpr 44
		.amdhsa_next_free_sgpr 44
		.amdhsa_reserve_vcc 1
		.amdhsa_reserve_flat_scratch 0
		.amdhsa_float_round_mode_32 0
		.amdhsa_float_round_mode_16_64 0
		.amdhsa_float_denorm_mode_32 3
		.amdhsa_float_denorm_mode_16_64 3
		.amdhsa_dx10_clamp 1
		.amdhsa_ieee_mode 1
		.amdhsa_fp16_overflow 0
		.amdhsa_workgroup_processor_mode 1
		.amdhsa_memory_ordered 1
		.amdhsa_forward_progress 1
		.amdhsa_shared_vgpr_count 0
		.amdhsa_exception_fp_ieee_invalid_op 0
		.amdhsa_exception_fp_denorm_src 0
		.amdhsa_exception_fp_ieee_div_zero 0
		.amdhsa_exception_fp_ieee_overflow 0
		.amdhsa_exception_fp_ieee_underflow 0
		.amdhsa_exception_fp_ieee_inexact 0
		.amdhsa_exception_int_div_zero 0
	.end_amdhsa_kernel
	.section	.text._ZN12_GLOBAL__N_135rocblas_gemm_batched_general_kernelIfLi16ELi16ELi32ELi32ELi8ELi32ELi8ELi8ELi32ELc78ELc78EKPKfS3_KPfEEvlllT_PT11_llS8_llS6_PT12_llPT13_lli,"axG",@progbits,_ZN12_GLOBAL__N_135rocblas_gemm_batched_general_kernelIfLi16ELi16ELi32ELi32ELi8ELi32ELi8ELi8ELi32ELc78ELc78EKPKfS3_KPfEEvlllT_PT11_llS8_llS6_PT12_llPT13_lli,comdat
.Lfunc_end47:
	.size	_ZN12_GLOBAL__N_135rocblas_gemm_batched_general_kernelIfLi16ELi16ELi32ELi32ELi8ELi32ELi8ELi8ELi32ELc78ELc78EKPKfS3_KPfEEvlllT_PT11_llS8_llS6_PT12_llPT13_lli, .Lfunc_end47-_ZN12_GLOBAL__N_135rocblas_gemm_batched_general_kernelIfLi16ELi16ELi32ELi32ELi8ELi32ELi8ELi8ELi32ELc78ELc78EKPKfS3_KPfEEvlllT_PT11_llS8_llS6_PT12_llPT13_lli
                                        ; -- End function
	.set _ZN12_GLOBAL__N_135rocblas_gemm_batched_general_kernelIfLi16ELi16ELi32ELi32ELi8ELi32ELi8ELi8ELi32ELc78ELc78EKPKfS3_KPfEEvlllT_PT11_llS8_llS6_PT12_llPT13_lli.num_vgpr, 44
	.set _ZN12_GLOBAL__N_135rocblas_gemm_batched_general_kernelIfLi16ELi16ELi32ELi32ELi8ELi32ELi8ELi8ELi32ELc78ELc78EKPKfS3_KPfEEvlllT_PT11_llS8_llS6_PT12_llPT13_lli.num_agpr, 0
	.set _ZN12_GLOBAL__N_135rocblas_gemm_batched_general_kernelIfLi16ELi16ELi32ELi32ELi8ELi32ELi8ELi8ELi32ELc78ELc78EKPKfS3_KPfEEvlllT_PT11_llS8_llS6_PT12_llPT13_lli.numbered_sgpr, 44
	.set _ZN12_GLOBAL__N_135rocblas_gemm_batched_general_kernelIfLi16ELi16ELi32ELi32ELi8ELi32ELi8ELi8ELi32ELc78ELc78EKPKfS3_KPfEEvlllT_PT11_llS8_llS6_PT12_llPT13_lli.num_named_barrier, 0
	.set _ZN12_GLOBAL__N_135rocblas_gemm_batched_general_kernelIfLi16ELi16ELi32ELi32ELi8ELi32ELi8ELi8ELi32ELc78ELc78EKPKfS3_KPfEEvlllT_PT11_llS8_llS6_PT12_llPT13_lli.private_seg_size, 0
	.set _ZN12_GLOBAL__N_135rocblas_gemm_batched_general_kernelIfLi16ELi16ELi32ELi32ELi8ELi32ELi8ELi8ELi32ELc78ELc78EKPKfS3_KPfEEvlllT_PT11_llS8_llS6_PT12_llPT13_lli.uses_vcc, 1
	.set _ZN12_GLOBAL__N_135rocblas_gemm_batched_general_kernelIfLi16ELi16ELi32ELi32ELi8ELi32ELi8ELi8ELi32ELc78ELc78EKPKfS3_KPfEEvlllT_PT11_llS8_llS6_PT12_llPT13_lli.uses_flat_scratch, 0
	.set _ZN12_GLOBAL__N_135rocblas_gemm_batched_general_kernelIfLi16ELi16ELi32ELi32ELi8ELi32ELi8ELi8ELi32ELc78ELc78EKPKfS3_KPfEEvlllT_PT11_llS8_llS6_PT12_llPT13_lli.has_dyn_sized_stack, 0
	.set _ZN12_GLOBAL__N_135rocblas_gemm_batched_general_kernelIfLi16ELi16ELi32ELi32ELi8ELi32ELi8ELi8ELi32ELc78ELc78EKPKfS3_KPfEEvlllT_PT11_llS8_llS6_PT12_llPT13_lli.has_recursion, 0
	.set _ZN12_GLOBAL__N_135rocblas_gemm_batched_general_kernelIfLi16ELi16ELi32ELi32ELi8ELi32ELi8ELi8ELi32ELc78ELc78EKPKfS3_KPfEEvlllT_PT11_llS8_llS6_PT12_llPT13_lli.has_indirect_call, 0
	.section	.AMDGPU.csdata,"",@progbits
; Kernel info:
; codeLenInByte = 1880
; TotalNumSgprs: 46
; NumVgprs: 44
; ScratchSize: 0
; MemoryBound: 0
; FloatMode: 240
; IeeeMode: 1
; LDSByteSize: 2048 bytes/workgroup (compile time only)
; SGPRBlocks: 0
; VGPRBlocks: 5
; NumSGPRsForWavesPerEU: 46
; NumVGPRsForWavesPerEU: 44
; Occupancy: 16
; WaveLimiterHint : 1
; COMPUTE_PGM_RSRC2:SCRATCH_EN: 0
; COMPUTE_PGM_RSRC2:USER_SGPR: 6
; COMPUTE_PGM_RSRC2:TRAP_HANDLER: 0
; COMPUTE_PGM_RSRC2:TGID_X_EN: 1
; COMPUTE_PGM_RSRC2:TGID_Y_EN: 1
; COMPUTE_PGM_RSRC2:TGID_Z_EN: 1
; COMPUTE_PGM_RSRC2:TIDIG_COMP_CNT: 1
	.section	.text._ZN12_GLOBAL__N_135rocblas_gemm_batched_general_kernelIfLi16ELi16ELi32ELi32ELi8ELi32ELi8ELi8ELi32ELc84ELc78EKPKfS3_KPfEEvlllT_PT11_llS8_llS6_PT12_llPT13_lli,"axG",@progbits,_ZN12_GLOBAL__N_135rocblas_gemm_batched_general_kernelIfLi16ELi16ELi32ELi32ELi8ELi32ELi8ELi8ELi32ELc84ELc78EKPKfS3_KPfEEvlllT_PT11_llS8_llS6_PT12_llPT13_lli,comdat
	.globl	_ZN12_GLOBAL__N_135rocblas_gemm_batched_general_kernelIfLi16ELi16ELi32ELi32ELi8ELi32ELi8ELi8ELi32ELc84ELc78EKPKfS3_KPfEEvlllT_PT11_llS8_llS6_PT12_llPT13_lli ; -- Begin function _ZN12_GLOBAL__N_135rocblas_gemm_batched_general_kernelIfLi16ELi16ELi32ELi32ELi8ELi32ELi8ELi8ELi32ELc84ELc78EKPKfS3_KPfEEvlllT_PT11_llS8_llS6_PT12_llPT13_lli
	.p2align	8
	.type	_ZN12_GLOBAL__N_135rocblas_gemm_batched_general_kernelIfLi16ELi16ELi32ELi32ELi8ELi32ELi8ELi8ELi32ELc84ELc78EKPKfS3_KPfEEvlllT_PT11_llS8_llS6_PT12_llPT13_lli,@function
_ZN12_GLOBAL__N_135rocblas_gemm_batched_general_kernelIfLi16ELi16ELi32ELi32ELi8ELi32ELi8ELi8ELi32ELc84ELc78EKPKfS3_KPfEEvlllT_PT11_llS8_llS6_PT12_llPT13_lli: ; @_ZN12_GLOBAL__N_135rocblas_gemm_batched_general_kernelIfLi16ELi16ELi32ELi32ELi8ELi32ELi8ELi8ELi32ELc84ELc78EKPKfS3_KPfEEvlllT_PT11_llS8_llS6_PT12_llPT13_lli
; %bb.0:
	s_clause 0x1
	s_load_dwordx8 s[12:19], s[4:5], 0x58
	s_load_dwordx2 s[34:35], s[4:5], 0x10
	s_mov_b32 s9, 0
	s_load_dwordx4 s[28:31], s[4:5], 0x0
	s_lshl_b64 s[38:39], s[8:9], 3
	s_load_dwordx4 s[8:11], s[4:5], 0x78
	s_mov_b32 s0, s7
	v_mov_b32_e32 v10, 0
	v_mov_b32_e32 v9, 0
	;; [unrolled: 1-line block ×4, first 2 shown]
	s_waitcnt lgkmcnt(0)
	s_add_u32 s2, s12, s38
	s_addc_u32 s3, s13, s39
	s_add_u32 s18, s18, s38
	s_addc_u32 s19, s19, s39
	s_load_dwordx2 s[12:13], s[2:3], 0x0
	s_load_dwordx2 s[18:19], s[18:19], 0x0
	v_cmp_lt_i64_e64 s2, s[34:35], 1
	s_ashr_i32 s7, s6, 31
	s_ashr_i32 s1, s0, 31
	s_lshl_b64 s[6:7], s[6:7], 5
	s_lshl_b64 s[36:37], s[0:1], 5
	s_and_b32 vcc_lo, exec_lo, s2
	s_cbranch_vccnz .LBB48_7
; %bb.1:
	s_clause 0x1
	s_load_dwordx8 s[20:27], s[4:5], 0x20
	s_load_dwordx4 s[0:3], s[4:5], 0x40
	v_lshl_add_u32 v2, v1, 4, v0
	v_mov_b32_e32 v3, s7
	v_and_b32_e32 v6, 7, v0
	v_mov_b32_e32 v7, 0
	v_lshrrev_b32_e32 v10, 3, v2
	v_and_b32_e32 v8, 31, v2
	v_lshrrev_b32_e32 v11, 5, v2
	v_lshlrev_b32_e32 v18, 2, v6
	v_add_co_u32 v4, s33, v10, s36
	v_add_co_ci_u32_e64 v5, null, 0, s37, s33
	v_or_b32_e32 v2, s6, v8
	v_lshlrev_b32_e32 v12, 2, v8
	v_lshl_or_b32 v10, v10, 5, v18
	s_waitcnt lgkmcnt(0)
	s_add_u32 s26, s26, s38
	v_mul_lo_u32 v13, s1, v4
	v_add_co_u32 v14, s1, s6, v8
	v_add_co_ci_u32_e64 v15, null, s7, 0, s1
	v_mul_lo_u32 v19, s0, v5
	v_mad_u64_u32 v[8:9], null, s0, v4, 0
	v_mul_lo_u32 v20, s23, v14
	v_mul_lo_u32 v15, s22, v15
	v_mad_u64_u32 v[16:17], null, s22, v14, 0
	s_addc_u32 s27, s27, s39
	s_add_u32 s20, s20, s38
	v_add3_u32 v9, v9, v19, v13
	s_load_dwordx2 s[26:27], s[26:27], 0x0
	s_addc_u32 s21, s21, s39
	v_cmp_gt_i64_e64 s0, s[28:29], v[2:3]
	v_add3_u32 v17, v17, v15, v20
	s_load_dwordx2 s[20:21], s[20:21], 0x0
	v_lshlrev_b64 v[2:3], 2, v[8:9]
	v_cmp_gt_i64_e64 s1, s[30:31], v[4:5]
	s_lshl_b64 s[2:3], s[2:3], 2
	v_lshlrev_b64 v[4:5], 2, v[16:17]
	v_lshlrev_b32_e32 v8, 2, v11
	v_lshl_or_b32 v12, v11, 7, v12
	v_add_co_u32 v2, vcc_lo, v2, s2
	v_add_co_ci_u32_e64 v3, null, s3, v3, vcc_lo
	s_lshl_b64 s[2:3], s[24:25], 2
	v_add_nc_u32_e32 v13, 0x400, v10
	v_add_co_u32 v4, vcc_lo, v4, s2
	v_add_co_ci_u32_e64 v5, null, s3, v5, vcc_lo
	v_add_co_u32 v2, vcc_lo, v2, v18
	v_add_co_ci_u32_e64 v3, null, 0, v3, vcc_lo
	;; [unrolled: 2-line block ×3, first 2 shown]
	s_waitcnt lgkmcnt(0)
	v_add_co_u32 v2, vcc_lo, s26, v2
	v_add_co_ci_u32_e64 v3, null, s27, v3, vcc_lo
	v_add_co_u32 v4, vcc_lo, s20, v4
	v_lshlrev_b32_e32 v14, 2, v0
	v_lshl_add_u32 v15, v1, 5, 0x400
	v_add_co_ci_u32_e64 v5, null, s21, v5, vcc_lo
	v_mov_b32_e32 v8, 0
	v_mov_b32_e32 v9, 0
	;; [unrolled: 1-line block ×3, first 2 shown]
	s_mov_b64 s[2:3], 0
	s_branch .LBB48_3
.LBB48_2:                               ;   in Loop: Header=BB48_3 Depth=1
	s_or_b32 exec_lo, exec_lo, s20
	s_waitcnt vmcnt(0) lgkmcnt(0)
	ds_write_b32 v13, v17
	s_waitcnt lgkmcnt(0)
	s_barrier
	buffer_gl0_inv
	ds_read_b128 v[16:19], v15
	ds_read2_b32 v[32:33], v14 offset1:16
	ds_read_b128 v[20:23], v15 offset:512
	ds_read2_b32 v[34:35], v14 offset0:32 offset1:48
	ds_read2_b32 v[36:37], v14 offset0:64 offset1:80
	;; [unrolled: 1-line block ×3, first 2 shown]
	ds_read_b128 v[24:27], v15 offset:16
	ds_read2_b32 v[40:41], v14 offset0:128 offset1:144
	ds_read_b128 v[28:31], v15 offset:528
	ds_read2_b32 v[42:43], v14 offset0:160 offset1:176
	s_add_u32 s2, s2, 8
	s_addc_u32 s3, s3, 0
	v_add_co_u32 v2, vcc_lo, v2, 32
	v_cmp_lt_i64_e64 s20, s[2:3], s[34:35]
	v_add_co_ci_u32_e64 v3, null, 0, v3, vcc_lo
	v_add_co_u32 v4, vcc_lo, v4, 32
	v_add_co_ci_u32_e64 v5, null, 0, v5, vcc_lo
	s_waitcnt lgkmcnt(8)
	v_fmac_f32_e32 v10, v32, v16
	v_fmac_f32_e32 v9, v33, v16
	s_waitcnt lgkmcnt(7)
	v_fmac_f32_e32 v8, v32, v20
	v_fmac_f32_e32 v7, v33, v20
	ds_read2_b32 v[32:33], v14 offset0:192 offset1:208
	s_waitcnt lgkmcnt(7)
	v_fmac_f32_e32 v10, v34, v17
	v_fmac_f32_e32 v9, v35, v17
	;; [unrolled: 1-line block ×4, first 2 shown]
	ds_read2_b32 v[16:17], v14 offset0:224 offset1:240
	s_waitcnt lgkmcnt(7)
	v_fmac_f32_e32 v10, v36, v18
	v_fmac_f32_e32 v9, v37, v18
	v_fmac_f32_e32 v8, v36, v22
	v_fmac_f32_e32 v7, v37, v22
	s_and_b32 vcc_lo, exec_lo, s20
	s_waitcnt lgkmcnt(6)
	v_fmac_f32_e32 v10, v38, v19
	v_fmac_f32_e32 v9, v39, v19
	;; [unrolled: 1-line block ×4, first 2 shown]
	s_waitcnt lgkmcnt(0)
	v_fmac_f32_e32 v10, v40, v24
	v_fmac_f32_e32 v9, v41, v24
	;; [unrolled: 1-line block ×4, first 2 shown]
	s_barrier
	v_fmac_f32_e32 v10, v42, v25
	v_fmac_f32_e32 v9, v43, v25
	;; [unrolled: 1-line block ×4, first 2 shown]
	buffer_gl0_inv
	v_fmac_f32_e32 v10, v32, v26
	v_fmac_f32_e32 v9, v33, v26
	;; [unrolled: 1-line block ×8, first 2 shown]
	s_cbranch_vccz .LBB48_7
.LBB48_3:                               ; =>This Inner Loop Header: Depth=1
	v_add_co_u32 v16, s20, v11, s2
	v_add_co_ci_u32_e64 v17, null, 0, s3, s20
	v_cmp_gt_i64_e32 vcc_lo, s[34:35], v[16:17]
	v_mov_b32_e32 v16, 0
	s_and_b32 s21, s0, vcc_lo
	s_and_saveexec_b32 s20, s21
	s_cbranch_execz .LBB48_5
; %bb.4:                                ;   in Loop: Header=BB48_3 Depth=1
	flat_load_dword v16, v[4:5]
.LBB48_5:                               ;   in Loop: Header=BB48_3 Depth=1
	s_or_b32 exec_lo, exec_lo, s20
	v_add_co_u32 v17, s20, v6, s2
	v_add_co_ci_u32_e64 v18, null, 0, s3, s20
	s_waitcnt vmcnt(0) lgkmcnt(0)
	ds_write_b32 v12, v16
	v_cmp_gt_i64_e32 vcc_lo, s[34:35], v[17:18]
	v_mov_b32_e32 v17, 0
	s_and_b32 s21, vcc_lo, s1
	s_and_saveexec_b32 s20, s21
	s_cbranch_execz .LBB48_2
; %bb.6:                                ;   in Loop: Header=BB48_3 Depth=1
	flat_load_dword v17, v[2:3]
	s_branch .LBB48_2
.LBB48_7:
	s_clause 0x1
	s_load_dword s20, s[4:5], 0x50
	s_load_dword s3, s[4:5], 0x18
	v_add_co_u32 v1, s2, s36, v1
	v_add_co_ci_u32_e64 v2, null, s37, 0, s2
	s_lshl_b64 s[0:1], s[10:11], 2
	s_waitcnt lgkmcnt(0)
	s_add_u32 s4, s18, s0
	v_cmp_gt_i64_e64 s0, s[30:31], v[1:2]
	s_addc_u32 s5, s19, s1
	v_cmp_neq_f32_e64 s2, s20, 0
	s_and_b32 vcc_lo, exec_lo, s2
	s_cbranch_vccnz .LBB48_20
; %bb.8:
	s_and_saveexec_b32 s10, s0
	s_cbranch_execz .LBB48_18
; %bb.9:
	v_mul_lo_u32 v5, v2, s8
	v_mul_lo_u32 v6, v1, s9
	v_mad_u64_u32 v[3:4], null, v1, s8, 0
	v_add3_u32 v4, v4, v6, v5
	v_add_co_u32 v5, s1, s6, v0
	v_add_co_ci_u32_e64 v6, null, s7, 0, s1
	v_lshlrev_b64 v[11:12], 2, v[3:4]
	v_cmp_gt_i64_e32 vcc_lo, s[28:29], v[5:6]
	v_lshlrev_b64 v[3:4], 2, v[5:6]
	v_add_co_u32 v11, s1, s4, v11
	v_add_co_ci_u32_e64 v12, null, s5, v12, s1
	s_and_saveexec_b32 s2, vcc_lo
	s_cbranch_execz .LBB48_11
; %bb.10:
	v_add_co_u32 v13, s1, v11, v3
	v_add_co_ci_u32_e64 v14, null, v12, v4, s1
	v_mul_f32_e32 v15, s3, v10
	flat_store_dword v[13:14], v15
.LBB48_11:
	s_or_b32 exec_lo, exec_lo, s2
	v_add_co_u32 v5, s1, v5, 16
	v_add_co_ci_u32_e64 v6, null, 0, v6, s1
	v_cmp_gt_i64_e64 s1, s[28:29], v[5:6]
	s_and_saveexec_b32 s11, s1
	s_cbranch_execz .LBB48_13
; %bb.12:
	v_add_co_u32 v5, s2, v11, v3
	v_add_co_ci_u32_e64 v6, null, v12, v4, s2
	v_mul_f32_e32 v13, s3, v9
	flat_store_dword v[5:6], v13 offset:64
.LBB48_13:
	s_or_b32 exec_lo, exec_lo, s11
	v_add_co_u32 v5, s2, v1, 16
	v_add_co_ci_u32_e64 v6, null, 0, v2, s2
	v_cmp_gt_i64_e64 s2, s[30:31], v[5:6]
	s_and_b32 exec_lo, exec_lo, s2
	s_cbranch_execz .LBB48_18
; %bb.14:
	s_lshl_b64 s[18:19], s[8:9], 6
	v_add_co_u32 v5, s2, v11, s18
	v_add_co_ci_u32_e64 v6, null, s19, v12, s2
	v_add_co_u32 v3, s2, v5, v3
	v_add_co_ci_u32_e64 v4, null, v6, v4, s2
	s_and_saveexec_b32 s2, vcc_lo
	s_cbranch_execz .LBB48_16
; %bb.15:
	v_mul_f32_e32 v5, s3, v8
	flat_store_dword v[3:4], v5
.LBB48_16:
	s_or_b32 exec_lo, exec_lo, s2
	s_and_b32 exec_lo, exec_lo, s1
	s_cbranch_execz .LBB48_18
; %bb.17:
	v_mul_f32_e32 v5, s3, v7
	flat_store_dword v[3:4], v5 offset:64
.LBB48_18:
	s_or_b32 exec_lo, exec_lo, s10
	s_cbranch_execz .LBB48_21
.LBB48_19:
	s_endpgm
.LBB48_20:
.LBB48_21:
	s_and_saveexec_b32 s1, s0
	s_cbranch_execz .LBB48_19
; %bb.22:
	v_mul_lo_u32 v5, v2, s14
	v_mul_lo_u32 v6, v1, s15
	v_mad_u64_u32 v[3:4], null, v1, s14, 0
	v_mul_lo_u32 v13, v2, s8
	v_mul_lo_u32 v14, v1, s9
	v_mad_u64_u32 v[11:12], null, v1, s8, 0
	s_lshl_b64 s[0:1], s[16:17], 2
	v_add3_u32 v4, v4, v6, v5
	v_add_co_u32 v5, s2, s6, v0
	v_add_co_ci_u32_e64 v6, null, s7, 0, s2
	v_add3_u32 v12, v12, v14, v13
	v_lshlrev_b64 v[3:4], 2, v[3:4]
	s_add_u32 s0, s12, s0
	s_addc_u32 s1, s13, s1
	v_cmp_gt_i64_e32 vcc_lo, s[28:29], v[5:6]
	v_lshlrev_b64 v[12:13], 2, v[11:12]
	v_add_co_u32 v0, s0, s0, v3
	v_add_co_ci_u32_e64 v11, null, s1, v4, s0
	v_add_co_u32 v12, s0, s4, v12
	v_lshlrev_b64 v[3:4], 2, v[5:6]
	v_add_co_ci_u32_e64 v13, null, s5, v13, s0
	s_and_saveexec_b32 s1, vcc_lo
	s_cbranch_execz .LBB48_24
; %bb.23:
	v_add_co_u32 v14, s0, v0, v3
	v_add_co_ci_u32_e64 v15, null, v11, v4, s0
	flat_load_dword v14, v[14:15]
	s_waitcnt vmcnt(0) lgkmcnt(0)
	v_mul_f32_e32 v16, s20, v14
	v_add_co_u32 v14, s0, v12, v3
	v_add_co_ci_u32_e64 v15, null, v13, v4, s0
	v_fmac_f32_e32 v16, s3, v10
	flat_store_dword v[14:15], v16
.LBB48_24:
	s_or_b32 exec_lo, exec_lo, s1
	v_add_co_u32 v5, s0, v5, 16
	v_add_co_ci_u32_e64 v6, null, 0, v6, s0
	v_cmp_gt_i64_e64 s0, s[28:29], v[5:6]
	s_and_saveexec_b32 s2, s0
	s_cbranch_execz .LBB48_26
; %bb.25:
	v_add_co_u32 v5, s1, v0, v3
	v_add_co_ci_u32_e64 v6, null, v11, v4, s1
	flat_load_dword v5, v[5:6] offset:64
	s_waitcnt vmcnt(0) lgkmcnt(0)
	v_mul_f32_e32 v10, s20, v5
	v_add_co_u32 v5, s1, v12, v3
	v_add_co_ci_u32_e64 v6, null, v13, v4, s1
	v_fmac_f32_e32 v10, s3, v9
	flat_store_dword v[5:6], v10 offset:64
.LBB48_26:
	s_or_b32 exec_lo, exec_lo, s2
	v_add_co_u32 v1, s1, v1, 16
	v_add_co_ci_u32_e64 v2, null, 0, v2, s1
	v_cmp_gt_i64_e64 s1, s[30:31], v[1:2]
	s_and_b32 exec_lo, exec_lo, s1
	s_cbranch_execz .LBB48_19
; %bb.27:
	s_lshl_b64 s[4:5], s[14:15], 6
	v_add_co_u32 v0, s1, v0, s4
	v_add_co_ci_u32_e64 v1, null, s5, v11, s1
	s_lshl_b64 s[4:5], s[8:9], 6
	v_add_co_u32 v2, s1, v12, s4
	v_add_co_ci_u32_e64 v5, null, s5, v13, s1
	v_add_co_u32 v0, s1, v0, v3
	v_add_co_ci_u32_e64 v1, null, v1, v4, s1
	v_add_co_u32 v2, s1, v2, v3
	v_add_co_ci_u32_e64 v3, null, v5, v4, s1
	s_and_saveexec_b32 s1, vcc_lo
	s_cbranch_execz .LBB48_29
; %bb.28:
	flat_load_dword v4, v[0:1]
	s_waitcnt vmcnt(0) lgkmcnt(0)
	v_mul_f32_e32 v4, s20, v4
	v_fmac_f32_e32 v4, s3, v8
	flat_store_dword v[2:3], v4
.LBB48_29:
	s_or_b32 exec_lo, exec_lo, s1
	s_and_b32 exec_lo, exec_lo, s0
	s_cbranch_execz .LBB48_19
; %bb.30:
	flat_load_dword v0, v[0:1] offset:64
	s_waitcnt vmcnt(0) lgkmcnt(0)
	v_mul_f32_e32 v0, s20, v0
	v_fmac_f32_e32 v0, s3, v7
	flat_store_dword v[2:3], v0 offset:64
	s_endpgm
	.section	.rodata,"a",@progbits
	.p2align	6, 0x0
	.amdhsa_kernel _ZN12_GLOBAL__N_135rocblas_gemm_batched_general_kernelIfLi16ELi16ELi32ELi32ELi8ELi32ELi8ELi8ELi32ELc84ELc78EKPKfS3_KPfEEvlllT_PT11_llS8_llS6_PT12_llPT13_lli
		.amdhsa_group_segment_fixed_size 2048
		.amdhsa_private_segment_fixed_size 0
		.amdhsa_kernarg_size 140
		.amdhsa_user_sgpr_count 6
		.amdhsa_user_sgpr_private_segment_buffer 1
		.amdhsa_user_sgpr_dispatch_ptr 0
		.amdhsa_user_sgpr_queue_ptr 0
		.amdhsa_user_sgpr_kernarg_segment_ptr 1
		.amdhsa_user_sgpr_dispatch_id 0
		.amdhsa_user_sgpr_flat_scratch_init 0
		.amdhsa_user_sgpr_private_segment_size 0
		.amdhsa_wavefront_size32 1
		.amdhsa_uses_dynamic_stack 0
		.amdhsa_system_sgpr_private_segment_wavefront_offset 0
		.amdhsa_system_sgpr_workgroup_id_x 1
		.amdhsa_system_sgpr_workgroup_id_y 1
		.amdhsa_system_sgpr_workgroup_id_z 1
		.amdhsa_system_sgpr_workgroup_info 0
		.amdhsa_system_vgpr_workitem_id 1
		.amdhsa_next_free_vgpr 44
		.amdhsa_next_free_sgpr 40
		.amdhsa_reserve_vcc 1
		.amdhsa_reserve_flat_scratch 0
		.amdhsa_float_round_mode_32 0
		.amdhsa_float_round_mode_16_64 0
		.amdhsa_float_denorm_mode_32 3
		.amdhsa_float_denorm_mode_16_64 3
		.amdhsa_dx10_clamp 1
		.amdhsa_ieee_mode 1
		.amdhsa_fp16_overflow 0
		.amdhsa_workgroup_processor_mode 1
		.amdhsa_memory_ordered 1
		.amdhsa_forward_progress 1
		.amdhsa_shared_vgpr_count 0
		.amdhsa_exception_fp_ieee_invalid_op 0
		.amdhsa_exception_fp_denorm_src 0
		.amdhsa_exception_fp_ieee_div_zero 0
		.amdhsa_exception_fp_ieee_overflow 0
		.amdhsa_exception_fp_ieee_underflow 0
		.amdhsa_exception_fp_ieee_inexact 0
		.amdhsa_exception_int_div_zero 0
	.end_amdhsa_kernel
	.section	.text._ZN12_GLOBAL__N_135rocblas_gemm_batched_general_kernelIfLi16ELi16ELi32ELi32ELi8ELi32ELi8ELi8ELi32ELc84ELc78EKPKfS3_KPfEEvlllT_PT11_llS8_llS6_PT12_llPT13_lli,"axG",@progbits,_ZN12_GLOBAL__N_135rocblas_gemm_batched_general_kernelIfLi16ELi16ELi32ELi32ELi8ELi32ELi8ELi8ELi32ELc84ELc78EKPKfS3_KPfEEvlllT_PT11_llS8_llS6_PT12_llPT13_lli,comdat
.Lfunc_end48:
	.size	_ZN12_GLOBAL__N_135rocblas_gemm_batched_general_kernelIfLi16ELi16ELi32ELi32ELi8ELi32ELi8ELi8ELi32ELc84ELc78EKPKfS3_KPfEEvlllT_PT11_llS8_llS6_PT12_llPT13_lli, .Lfunc_end48-_ZN12_GLOBAL__N_135rocblas_gemm_batched_general_kernelIfLi16ELi16ELi32ELi32ELi8ELi32ELi8ELi8ELi32ELc84ELc78EKPKfS3_KPfEEvlllT_PT11_llS8_llS6_PT12_llPT13_lli
                                        ; -- End function
	.set _ZN12_GLOBAL__N_135rocblas_gemm_batched_general_kernelIfLi16ELi16ELi32ELi32ELi8ELi32ELi8ELi8ELi32ELc84ELc78EKPKfS3_KPfEEvlllT_PT11_llS8_llS6_PT12_llPT13_lli.num_vgpr, 44
	.set _ZN12_GLOBAL__N_135rocblas_gemm_batched_general_kernelIfLi16ELi16ELi32ELi32ELi8ELi32ELi8ELi8ELi32ELc84ELc78EKPKfS3_KPfEEvlllT_PT11_llS8_llS6_PT12_llPT13_lli.num_agpr, 0
	.set _ZN12_GLOBAL__N_135rocblas_gemm_batched_general_kernelIfLi16ELi16ELi32ELi32ELi8ELi32ELi8ELi8ELi32ELc84ELc78EKPKfS3_KPfEEvlllT_PT11_llS8_llS6_PT12_llPT13_lli.numbered_sgpr, 40
	.set _ZN12_GLOBAL__N_135rocblas_gemm_batched_general_kernelIfLi16ELi16ELi32ELi32ELi8ELi32ELi8ELi8ELi32ELc84ELc78EKPKfS3_KPfEEvlllT_PT11_llS8_llS6_PT12_llPT13_lli.num_named_barrier, 0
	.set _ZN12_GLOBAL__N_135rocblas_gemm_batched_general_kernelIfLi16ELi16ELi32ELi32ELi8ELi32ELi8ELi8ELi32ELc84ELc78EKPKfS3_KPfEEvlllT_PT11_llS8_llS6_PT12_llPT13_lli.private_seg_size, 0
	.set _ZN12_GLOBAL__N_135rocblas_gemm_batched_general_kernelIfLi16ELi16ELi32ELi32ELi8ELi32ELi8ELi8ELi32ELc84ELc78EKPKfS3_KPfEEvlllT_PT11_llS8_llS6_PT12_llPT13_lli.uses_vcc, 1
	.set _ZN12_GLOBAL__N_135rocblas_gemm_batched_general_kernelIfLi16ELi16ELi32ELi32ELi8ELi32ELi8ELi8ELi32ELc84ELc78EKPKfS3_KPfEEvlllT_PT11_llS8_llS6_PT12_llPT13_lli.uses_flat_scratch, 0
	.set _ZN12_GLOBAL__N_135rocblas_gemm_batched_general_kernelIfLi16ELi16ELi32ELi32ELi8ELi32ELi8ELi8ELi32ELc84ELc78EKPKfS3_KPfEEvlllT_PT11_llS8_llS6_PT12_llPT13_lli.has_dyn_sized_stack, 0
	.set _ZN12_GLOBAL__N_135rocblas_gemm_batched_general_kernelIfLi16ELi16ELi32ELi32ELi8ELi32ELi8ELi8ELi32ELc84ELc78EKPKfS3_KPfEEvlllT_PT11_llS8_llS6_PT12_llPT13_lli.has_recursion, 0
	.set _ZN12_GLOBAL__N_135rocblas_gemm_batched_general_kernelIfLi16ELi16ELi32ELi32ELi8ELi32ELi8ELi8ELi32ELc84ELc78EKPKfS3_KPfEEvlllT_PT11_llS8_llS6_PT12_llPT13_lli.has_indirect_call, 0
	.section	.AMDGPU.csdata,"",@progbits
; Kernel info:
; codeLenInByte = 1896
; TotalNumSgprs: 42
; NumVgprs: 44
; ScratchSize: 0
; MemoryBound: 0
; FloatMode: 240
; IeeeMode: 1
; LDSByteSize: 2048 bytes/workgroup (compile time only)
; SGPRBlocks: 0
; VGPRBlocks: 5
; NumSGPRsForWavesPerEU: 42
; NumVGPRsForWavesPerEU: 44
; Occupancy: 16
; WaveLimiterHint : 1
; COMPUTE_PGM_RSRC2:SCRATCH_EN: 0
; COMPUTE_PGM_RSRC2:USER_SGPR: 6
; COMPUTE_PGM_RSRC2:TRAP_HANDLER: 0
; COMPUTE_PGM_RSRC2:TGID_X_EN: 1
; COMPUTE_PGM_RSRC2:TGID_Y_EN: 1
; COMPUTE_PGM_RSRC2:TGID_Z_EN: 1
; COMPUTE_PGM_RSRC2:TIDIG_COMP_CNT: 1
	.section	.text._ZN12_GLOBAL__N_135rocblas_gemm_batched_general_kernelIfLi16ELi16ELi32ELi32ELi8ELi32ELi8ELi8ELi32ELc78ELc84EKPKfS3_KPfEEvlllT_PT11_llS8_llS6_PT12_llPT13_lli,"axG",@progbits,_ZN12_GLOBAL__N_135rocblas_gemm_batched_general_kernelIfLi16ELi16ELi32ELi32ELi8ELi32ELi8ELi8ELi32ELc78ELc84EKPKfS3_KPfEEvlllT_PT11_llS8_llS6_PT12_llPT13_lli,comdat
	.globl	_ZN12_GLOBAL__N_135rocblas_gemm_batched_general_kernelIfLi16ELi16ELi32ELi32ELi8ELi32ELi8ELi8ELi32ELc78ELc84EKPKfS3_KPfEEvlllT_PT11_llS8_llS6_PT12_llPT13_lli ; -- Begin function _ZN12_GLOBAL__N_135rocblas_gemm_batched_general_kernelIfLi16ELi16ELi32ELi32ELi8ELi32ELi8ELi8ELi32ELc78ELc84EKPKfS3_KPfEEvlllT_PT11_llS8_llS6_PT12_llPT13_lli
	.p2align	8
	.type	_ZN12_GLOBAL__N_135rocblas_gemm_batched_general_kernelIfLi16ELi16ELi32ELi32ELi8ELi32ELi8ELi8ELi32ELc78ELc84EKPKfS3_KPfEEvlllT_PT11_llS8_llS6_PT12_llPT13_lli,@function
_ZN12_GLOBAL__N_135rocblas_gemm_batched_general_kernelIfLi16ELi16ELi32ELi32ELi8ELi32ELi8ELi8ELi32ELc78ELc84EKPKfS3_KPfEEvlllT_PT11_llS8_llS6_PT12_llPT13_lli: ; @_ZN12_GLOBAL__N_135rocblas_gemm_batched_general_kernelIfLi16ELi16ELi32ELi32ELi8ELi32ELi8ELi8ELi32ELc78ELc84EKPKfS3_KPfEEvlllT_PT11_llS8_llS6_PT12_llPT13_lli
; %bb.0:
	s_clause 0x1
	s_load_dwordx8 s[12:19], s[4:5], 0x58
	s_load_dwordx2 s[34:35], s[4:5], 0x10
	s_mov_b32 s9, 0
	s_load_dwordx4 s[28:31], s[4:5], 0x0
	s_lshl_b64 s[44:45], s[8:9], 3
	s_load_dwordx4 s[8:11], s[4:5], 0x78
	s_mov_b32 s42, s7
	v_mov_b32_e32 v10, 0
	v_mov_b32_e32 v9, 0
	;; [unrolled: 1-line block ×4, first 2 shown]
	s_waitcnt lgkmcnt(0)
	s_add_u32 s0, s12, s44
	s_addc_u32 s1, s13, s45
	s_add_u32 s2, s18, s44
	s_addc_u32 s3, s19, s45
	s_load_dwordx2 s[12:13], s[0:1], 0x0
	s_load_dwordx2 s[2:3], s[2:3], 0x0
	v_cmp_lt_i64_e64 s0, s[34:35], 1
	s_ashr_i32 s7, s6, 31
	s_ashr_i32 s43, s42, 31
	s_lshl_b64 s[18:19], s[6:7], 5
	s_lshl_b64 s[40:41], s[42:43], 5
	s_and_b32 vcc_lo, exec_lo, s0
	s_cbranch_vccnz .LBB49_7
; %bb.1:
	s_clause 0x1
	s_load_dwordx4 s[36:39], s[4:5], 0x40
	s_load_dwordx8 s[20:27], s[4:5], 0x20
	v_lshl_add_u32 v2, v1, 4, v0
	v_and_b32_e32 v6, 7, v0
	v_mov_b32_e32 v3, s19
	v_mov_b32_e32 v7, 0
	v_lshlrev_b32_e32 v11, 2, v0
	v_lshrrev_b32_e32 v13, 5, v2
	v_and_b32_e32 v14, 31, v2
	v_lshrrev_b32_e32 v10, 3, v2
	v_lshlrev_b32_e32 v15, 2, v6
	v_lshl_add_u32 v12, v1, 5, 0x400
	v_or_b32_e32 v2, s18, v14
	v_add_co_u32 v4, s0, v10, s40
	v_add_co_ci_u32_e64 v5, null, 0, s41, s0
	v_cmp_gt_i64_e64 s0, s[28:29], v[2:3]
	v_lshl_or_b32 v15, v10, 5, v15
	s_waitcnt lgkmcnt(0)
	v_mad_u64_u32 v[8:9], null, s36, v6, 0
	v_mad_u64_u32 v[16:17], null, s22, v13, 0
	v_cmp_gt_i64_e64 s1, s[30:31], v[4:5]
	s_add_u32 s26, s26, s44
	s_addc_u32 s27, s27, s45
	s_add_u32 s20, s20, s44
	v_mov_b32_e32 v2, v9
	s_load_dwordx2 s[26:27], s[26:27], 0x0
	v_mov_b32_e32 v3, v17
	s_addc_u32 s21, s21, s45
	s_lshl_b64 s[42:43], s[42:43], 7
	s_load_dwordx2 s[20:21], s[20:21], 0x0
	s_lshl_b64 s[38:39], s[38:39], 2
	v_mad_u64_u32 v[4:5], null, s37, v6, v[2:3]
	s_add_u32 s33, s38, s42
	s_addc_u32 s42, s39, s43
	s_lshl_b64 s[38:39], s[6:7], 7
	s_lshl_b64 s[24:25], s[24:25], 2
	;; [unrolled: 1-line block ×3, first 2 shown]
	v_lshlrev_b32_e32 v10, 2, v10
	v_mad_u64_u32 v[2:3], null, s23, v13, v[3:4]
	v_mov_b32_e32 v9, v4
	s_add_u32 s24, s24, s38
	v_lshlrev_b32_e32 v18, 2, v14
	s_addc_u32 s25, s25, s39
	v_add_nc_u32_e32 v15, 0x400, v15
	v_mov_b32_e32 v17, v2
	v_lshlrev_b64 v[2:3], 2, v[8:9]
	v_lshl_or_b32 v14, v13, 7, v18
	v_mov_b32_e32 v8, 0
	v_mov_b32_e32 v9, 0
	v_lshlrev_b64 v[4:5], 2, v[16:17]
	v_add_co_u32 v2, vcc_lo, s33, v2
	v_add_co_ci_u32_e64 v3, null, s42, v3, vcc_lo
	v_add_co_u32 v4, vcc_lo, s24, v4
	v_add_co_ci_u32_e64 v5, null, s25, v5, vcc_lo
	;; [unrolled: 2-line block ×4, first 2 shown]
	s_waitcnt lgkmcnt(0)
	v_add_co_u32 v2, vcc_lo, s26, v2
	v_add_co_ci_u32_e64 v3, null, s27, v3, vcc_lo
	v_add_co_u32 v4, vcc_lo, s20, v4
	v_add_co_ci_u32_e64 v5, null, s21, v5, vcc_lo
	v_mov_b32_e32 v10, 0
	s_lshl_b64 s[20:21], s[22:23], 5
	s_mov_b64 s[22:23], 0
	s_branch .LBB49_3
.LBB49_2:                               ;   in Loop: Header=BB49_3 Depth=1
	s_or_b32 exec_lo, exec_lo, s24
	s_waitcnt vmcnt(0) lgkmcnt(0)
	ds_write_b32 v15, v17
	s_waitcnt lgkmcnt(0)
	s_barrier
	buffer_gl0_inv
	ds_read_b128 v[16:19], v12
	ds_read2_b32 v[32:33], v11 offset1:16
	ds_read_b128 v[20:23], v12 offset:512
	ds_read2_b32 v[34:35], v11 offset0:32 offset1:48
	ds_read2_b32 v[36:37], v11 offset0:64 offset1:80
	;; [unrolled: 1-line block ×3, first 2 shown]
	ds_read_b128 v[24:27], v12 offset:16
	ds_read2_b32 v[40:41], v11 offset0:128 offset1:144
	ds_read_b128 v[28:31], v12 offset:528
	ds_read2_b32 v[42:43], v11 offset0:160 offset1:176
	s_add_u32 s22, s22, 8
	s_addc_u32 s23, s23, 0
	v_add_co_u32 v2, vcc_lo, v2, s6
	v_cmp_lt_i64_e64 s24, s[22:23], s[34:35]
	v_add_co_ci_u32_e64 v3, null, s7, v3, vcc_lo
	v_add_co_u32 v4, vcc_lo, v4, s20
	v_add_co_ci_u32_e64 v5, null, s21, v5, vcc_lo
	s_waitcnt lgkmcnt(8)
	v_fmac_f32_e32 v10, v32, v16
	v_fmac_f32_e32 v9, v33, v16
	s_waitcnt lgkmcnt(7)
	v_fmac_f32_e32 v8, v32, v20
	v_fmac_f32_e32 v7, v33, v20
	ds_read2_b32 v[32:33], v11 offset0:192 offset1:208
	s_waitcnt lgkmcnt(7)
	v_fmac_f32_e32 v10, v34, v17
	v_fmac_f32_e32 v9, v35, v17
	;; [unrolled: 1-line block ×4, first 2 shown]
	ds_read2_b32 v[16:17], v11 offset0:224 offset1:240
	s_waitcnt lgkmcnt(7)
	v_fmac_f32_e32 v10, v36, v18
	v_fmac_f32_e32 v9, v37, v18
	;; [unrolled: 1-line block ×4, first 2 shown]
	s_and_b32 vcc_lo, exec_lo, s24
	s_waitcnt lgkmcnt(6)
	v_fmac_f32_e32 v10, v38, v19
	v_fmac_f32_e32 v9, v39, v19
	;; [unrolled: 1-line block ×4, first 2 shown]
	s_waitcnt lgkmcnt(0)
	v_fmac_f32_e32 v10, v40, v24
	v_fmac_f32_e32 v9, v41, v24
	;; [unrolled: 1-line block ×4, first 2 shown]
	s_barrier
	v_fmac_f32_e32 v10, v42, v25
	v_fmac_f32_e32 v9, v43, v25
	;; [unrolled: 1-line block ×4, first 2 shown]
	buffer_gl0_inv
	v_fmac_f32_e32 v10, v32, v26
	v_fmac_f32_e32 v9, v33, v26
	;; [unrolled: 1-line block ×8, first 2 shown]
	s_cbranch_vccz .LBB49_7
.LBB49_3:                               ; =>This Inner Loop Header: Depth=1
	v_add_co_u32 v16, s24, v13, s22
	v_add_co_ci_u32_e64 v17, null, 0, s23, s24
	v_cmp_gt_i64_e32 vcc_lo, s[34:35], v[16:17]
	v_mov_b32_e32 v16, 0
	s_and_b32 s25, s0, vcc_lo
	s_and_saveexec_b32 s24, s25
	s_cbranch_execz .LBB49_5
; %bb.4:                                ;   in Loop: Header=BB49_3 Depth=1
	flat_load_dword v16, v[4:5]
.LBB49_5:                               ;   in Loop: Header=BB49_3 Depth=1
	s_or_b32 exec_lo, exec_lo, s24
	v_add_co_u32 v17, s24, v6, s22
	v_add_co_ci_u32_e64 v18, null, 0, s23, s24
	s_waitcnt vmcnt(0) lgkmcnt(0)
	ds_write_b32 v14, v16
	v_cmp_gt_i64_e32 vcc_lo, s[34:35], v[17:18]
	v_mov_b32_e32 v17, 0
	s_and_b32 s25, vcc_lo, s1
	s_and_saveexec_b32 s24, s25
	s_cbranch_execz .LBB49_2
; %bb.6:                                ;   in Loop: Header=BB49_3 Depth=1
	flat_load_dword v17, v[2:3]
	s_branch .LBB49_2
.LBB49_7:
	s_clause 0x1
	s_load_dword s6, s[4:5], 0x50
	s_load_dword s4, s[4:5], 0x18
	v_add_co_u32 v1, s5, s40, v1
	v_add_co_ci_u32_e64 v2, null, s41, 0, s5
	s_lshl_b64 s[0:1], s[10:11], 2
	s_waitcnt lgkmcnt(0)
	s_add_u32 s5, s2, s0
	v_cmp_gt_i64_e64 s0, s[30:31], v[1:2]
	s_addc_u32 s3, s3, s1
	v_cmp_neq_f32_e64 s7, s6, 0
	s_and_b32 vcc_lo, exec_lo, s7
	s_cbranch_vccnz .LBB49_20
; %bb.8:
	s_and_saveexec_b32 s7, s0
	s_cbranch_execz .LBB49_18
; %bb.9:
	v_mul_lo_u32 v5, v2, s8
	v_mul_lo_u32 v6, v1, s9
	v_mad_u64_u32 v[3:4], null, v1, s8, 0
	v_add3_u32 v4, v4, v6, v5
	v_add_co_u32 v5, s1, s18, v0
	v_add_co_ci_u32_e64 v6, null, s19, 0, s1
	v_lshlrev_b64 v[11:12], 2, v[3:4]
	v_cmp_gt_i64_e32 vcc_lo, s[28:29], v[5:6]
	v_lshlrev_b64 v[3:4], 2, v[5:6]
	v_add_co_u32 v11, s1, s5, v11
	v_add_co_ci_u32_e64 v12, null, s3, v12, s1
	s_and_saveexec_b32 s2, vcc_lo
	s_cbranch_execz .LBB49_11
; %bb.10:
	v_add_co_u32 v13, s1, v11, v3
	v_add_co_ci_u32_e64 v14, null, v12, v4, s1
	v_mul_f32_e32 v15, s4, v10
	flat_store_dword v[13:14], v15
.LBB49_11:
	s_or_b32 exec_lo, exec_lo, s2
	v_add_co_u32 v5, s1, v5, 16
	v_add_co_ci_u32_e64 v6, null, 0, v6, s1
	v_cmp_gt_i64_e64 s1, s[28:29], v[5:6]
	s_and_saveexec_b32 s10, s1
	s_cbranch_execz .LBB49_13
; %bb.12:
	v_add_co_u32 v5, s2, v11, v3
	v_add_co_ci_u32_e64 v6, null, v12, v4, s2
	v_mul_f32_e32 v13, s4, v9
	flat_store_dword v[5:6], v13 offset:64
.LBB49_13:
	s_or_b32 exec_lo, exec_lo, s10
	v_add_co_u32 v5, s2, v1, 16
	v_add_co_ci_u32_e64 v6, null, 0, v2, s2
	v_cmp_gt_i64_e64 s2, s[30:31], v[5:6]
	s_and_b32 exec_lo, exec_lo, s2
	s_cbranch_execz .LBB49_18
; %bb.14:
	s_lshl_b64 s[10:11], s[8:9], 6
	v_add_co_u32 v5, s2, v11, s10
	v_add_co_ci_u32_e64 v6, null, s11, v12, s2
	v_add_co_u32 v3, s2, v5, v3
	v_add_co_ci_u32_e64 v4, null, v6, v4, s2
	s_and_saveexec_b32 s2, vcc_lo
	s_cbranch_execz .LBB49_16
; %bb.15:
	v_mul_f32_e32 v5, s4, v8
	flat_store_dword v[3:4], v5
.LBB49_16:
	s_or_b32 exec_lo, exec_lo, s2
	s_and_b32 exec_lo, exec_lo, s1
	s_cbranch_execz .LBB49_18
; %bb.17:
	v_mul_f32_e32 v5, s4, v7
	flat_store_dword v[3:4], v5 offset:64
.LBB49_18:
	s_or_b32 exec_lo, exec_lo, s7
	s_cbranch_execz .LBB49_21
.LBB49_19:
	s_endpgm
.LBB49_20:
.LBB49_21:
	s_and_saveexec_b32 s1, s0
	s_cbranch_execz .LBB49_19
; %bb.22:
	v_mul_lo_u32 v5, v2, s14
	v_mul_lo_u32 v6, v1, s15
	v_mad_u64_u32 v[3:4], null, v1, s14, 0
	v_mul_lo_u32 v13, v2, s8
	v_mul_lo_u32 v14, v1, s9
	v_mad_u64_u32 v[11:12], null, v1, s8, 0
	s_lshl_b64 s[0:1], s[16:17], 2
	v_add3_u32 v4, v4, v6, v5
	v_add_co_u32 v5, s2, s18, v0
	v_add_co_ci_u32_e64 v6, null, s19, 0, s2
	v_add3_u32 v12, v12, v14, v13
	v_lshlrev_b64 v[3:4], 2, v[3:4]
	s_add_u32 s0, s12, s0
	s_addc_u32 s1, s13, s1
	v_cmp_gt_i64_e32 vcc_lo, s[28:29], v[5:6]
	v_lshlrev_b64 v[12:13], 2, v[11:12]
	v_add_co_u32 v0, s0, s0, v3
	v_add_co_ci_u32_e64 v11, null, s1, v4, s0
	v_add_co_u32 v12, s0, s5, v12
	v_lshlrev_b64 v[3:4], 2, v[5:6]
	v_add_co_ci_u32_e64 v13, null, s3, v13, s0
	s_and_saveexec_b32 s1, vcc_lo
	s_cbranch_execz .LBB49_24
; %bb.23:
	v_add_co_u32 v14, s0, v0, v3
	v_add_co_ci_u32_e64 v15, null, v11, v4, s0
	flat_load_dword v14, v[14:15]
	s_waitcnt vmcnt(0) lgkmcnt(0)
	v_mul_f32_e32 v16, s6, v14
	v_add_co_u32 v14, s0, v12, v3
	v_add_co_ci_u32_e64 v15, null, v13, v4, s0
	v_fmac_f32_e32 v16, s4, v10
	flat_store_dword v[14:15], v16
.LBB49_24:
	s_or_b32 exec_lo, exec_lo, s1
	v_add_co_u32 v5, s0, v5, 16
	v_add_co_ci_u32_e64 v6, null, 0, v6, s0
	v_cmp_gt_i64_e64 s0, s[28:29], v[5:6]
	s_and_saveexec_b32 s2, s0
	s_cbranch_execz .LBB49_26
; %bb.25:
	v_add_co_u32 v5, s1, v0, v3
	v_add_co_ci_u32_e64 v6, null, v11, v4, s1
	flat_load_dword v5, v[5:6] offset:64
	s_waitcnt vmcnt(0) lgkmcnt(0)
	v_mul_f32_e32 v10, s6, v5
	v_add_co_u32 v5, s1, v12, v3
	v_add_co_ci_u32_e64 v6, null, v13, v4, s1
	v_fmac_f32_e32 v10, s4, v9
	flat_store_dword v[5:6], v10 offset:64
.LBB49_26:
	s_or_b32 exec_lo, exec_lo, s2
	v_add_co_u32 v1, s1, v1, 16
	v_add_co_ci_u32_e64 v2, null, 0, v2, s1
	v_cmp_gt_i64_e64 s1, s[30:31], v[1:2]
	s_and_b32 exec_lo, exec_lo, s1
	s_cbranch_execz .LBB49_19
; %bb.27:
	s_lshl_b64 s[2:3], s[14:15], 6
	v_add_co_u32 v0, s1, v0, s2
	v_add_co_ci_u32_e64 v1, null, s3, v11, s1
	s_lshl_b64 s[2:3], s[8:9], 6
	v_add_co_u32 v2, s1, v12, s2
	v_add_co_ci_u32_e64 v5, null, s3, v13, s1
	v_add_co_u32 v0, s1, v0, v3
	v_add_co_ci_u32_e64 v1, null, v1, v4, s1
	;; [unrolled: 2-line block ×3, first 2 shown]
	s_and_saveexec_b32 s1, vcc_lo
	s_cbranch_execz .LBB49_29
; %bb.28:
	flat_load_dword v4, v[0:1]
	s_waitcnt vmcnt(0) lgkmcnt(0)
	v_mul_f32_e32 v4, s6, v4
	v_fmac_f32_e32 v4, s4, v8
	flat_store_dword v[2:3], v4
.LBB49_29:
	s_or_b32 exec_lo, exec_lo, s1
	s_and_b32 exec_lo, exec_lo, s0
	s_cbranch_execz .LBB49_19
; %bb.30:
	flat_load_dword v0, v[0:1] offset:64
	s_waitcnt vmcnt(0) lgkmcnt(0)
	v_mul_f32_e32 v0, s6, v0
	v_fmac_f32_e32 v0, s4, v7
	flat_store_dword v[2:3], v0 offset:64
	s_endpgm
	.section	.rodata,"a",@progbits
	.p2align	6, 0x0
	.amdhsa_kernel _ZN12_GLOBAL__N_135rocblas_gemm_batched_general_kernelIfLi16ELi16ELi32ELi32ELi8ELi32ELi8ELi8ELi32ELc78ELc84EKPKfS3_KPfEEvlllT_PT11_llS8_llS6_PT12_llPT13_lli
		.amdhsa_group_segment_fixed_size 2048
		.amdhsa_private_segment_fixed_size 0
		.amdhsa_kernarg_size 140
		.amdhsa_user_sgpr_count 6
		.amdhsa_user_sgpr_private_segment_buffer 1
		.amdhsa_user_sgpr_dispatch_ptr 0
		.amdhsa_user_sgpr_queue_ptr 0
		.amdhsa_user_sgpr_kernarg_segment_ptr 1
		.amdhsa_user_sgpr_dispatch_id 0
		.amdhsa_user_sgpr_flat_scratch_init 0
		.amdhsa_user_sgpr_private_segment_size 0
		.amdhsa_wavefront_size32 1
		.amdhsa_uses_dynamic_stack 0
		.amdhsa_system_sgpr_private_segment_wavefront_offset 0
		.amdhsa_system_sgpr_workgroup_id_x 1
		.amdhsa_system_sgpr_workgroup_id_y 1
		.amdhsa_system_sgpr_workgroup_id_z 1
		.amdhsa_system_sgpr_workgroup_info 0
		.amdhsa_system_vgpr_workitem_id 1
		.amdhsa_next_free_vgpr 44
		.amdhsa_next_free_sgpr 46
		.amdhsa_reserve_vcc 1
		.amdhsa_reserve_flat_scratch 0
		.amdhsa_float_round_mode_32 0
		.amdhsa_float_round_mode_16_64 0
		.amdhsa_float_denorm_mode_32 3
		.amdhsa_float_denorm_mode_16_64 3
		.amdhsa_dx10_clamp 1
		.amdhsa_ieee_mode 1
		.amdhsa_fp16_overflow 0
		.amdhsa_workgroup_processor_mode 1
		.amdhsa_memory_ordered 1
		.amdhsa_forward_progress 1
		.amdhsa_shared_vgpr_count 0
		.amdhsa_exception_fp_ieee_invalid_op 0
		.amdhsa_exception_fp_denorm_src 0
		.amdhsa_exception_fp_ieee_div_zero 0
		.amdhsa_exception_fp_ieee_overflow 0
		.amdhsa_exception_fp_ieee_underflow 0
		.amdhsa_exception_fp_ieee_inexact 0
		.amdhsa_exception_int_div_zero 0
	.end_amdhsa_kernel
	.section	.text._ZN12_GLOBAL__N_135rocblas_gemm_batched_general_kernelIfLi16ELi16ELi32ELi32ELi8ELi32ELi8ELi8ELi32ELc78ELc84EKPKfS3_KPfEEvlllT_PT11_llS8_llS6_PT12_llPT13_lli,"axG",@progbits,_ZN12_GLOBAL__N_135rocblas_gemm_batched_general_kernelIfLi16ELi16ELi32ELi32ELi8ELi32ELi8ELi8ELi32ELc78ELc84EKPKfS3_KPfEEvlllT_PT11_llS8_llS6_PT12_llPT13_lli,comdat
.Lfunc_end49:
	.size	_ZN12_GLOBAL__N_135rocblas_gemm_batched_general_kernelIfLi16ELi16ELi32ELi32ELi8ELi32ELi8ELi8ELi32ELc78ELc84EKPKfS3_KPfEEvlllT_PT11_llS8_llS6_PT12_llPT13_lli, .Lfunc_end49-_ZN12_GLOBAL__N_135rocblas_gemm_batched_general_kernelIfLi16ELi16ELi32ELi32ELi8ELi32ELi8ELi8ELi32ELc78ELc84EKPKfS3_KPfEEvlllT_PT11_llS8_llS6_PT12_llPT13_lli
                                        ; -- End function
	.set _ZN12_GLOBAL__N_135rocblas_gemm_batched_general_kernelIfLi16ELi16ELi32ELi32ELi8ELi32ELi8ELi8ELi32ELc78ELc84EKPKfS3_KPfEEvlllT_PT11_llS8_llS6_PT12_llPT13_lli.num_vgpr, 44
	.set _ZN12_GLOBAL__N_135rocblas_gemm_batched_general_kernelIfLi16ELi16ELi32ELi32ELi8ELi32ELi8ELi8ELi32ELc78ELc84EKPKfS3_KPfEEvlllT_PT11_llS8_llS6_PT12_llPT13_lli.num_agpr, 0
	.set _ZN12_GLOBAL__N_135rocblas_gemm_batched_general_kernelIfLi16ELi16ELi32ELi32ELi8ELi32ELi8ELi8ELi32ELc78ELc84EKPKfS3_KPfEEvlllT_PT11_llS8_llS6_PT12_llPT13_lli.numbered_sgpr, 46
	.set _ZN12_GLOBAL__N_135rocblas_gemm_batched_general_kernelIfLi16ELi16ELi32ELi32ELi8ELi32ELi8ELi8ELi32ELc78ELc84EKPKfS3_KPfEEvlllT_PT11_llS8_llS6_PT12_llPT13_lli.num_named_barrier, 0
	.set _ZN12_GLOBAL__N_135rocblas_gemm_batched_general_kernelIfLi16ELi16ELi32ELi32ELi8ELi32ELi8ELi8ELi32ELc78ELc84EKPKfS3_KPfEEvlllT_PT11_llS8_llS6_PT12_llPT13_lli.private_seg_size, 0
	.set _ZN12_GLOBAL__N_135rocblas_gemm_batched_general_kernelIfLi16ELi16ELi32ELi32ELi8ELi32ELi8ELi8ELi32ELc78ELc84EKPKfS3_KPfEEvlllT_PT11_llS8_llS6_PT12_llPT13_lli.uses_vcc, 1
	.set _ZN12_GLOBAL__N_135rocblas_gemm_batched_general_kernelIfLi16ELi16ELi32ELi32ELi8ELi32ELi8ELi8ELi32ELc78ELc84EKPKfS3_KPfEEvlllT_PT11_llS8_llS6_PT12_llPT13_lli.uses_flat_scratch, 0
	.set _ZN12_GLOBAL__N_135rocblas_gemm_batched_general_kernelIfLi16ELi16ELi32ELi32ELi8ELi32ELi8ELi8ELi32ELc78ELc84EKPKfS3_KPfEEvlllT_PT11_llS8_llS6_PT12_llPT13_lli.has_dyn_sized_stack, 0
	.set _ZN12_GLOBAL__N_135rocblas_gemm_batched_general_kernelIfLi16ELi16ELi32ELi32ELi8ELi32ELi8ELi8ELi32ELc78ELc84EKPKfS3_KPfEEvlllT_PT11_llS8_llS6_PT12_llPT13_lli.has_recursion, 0
	.set _ZN12_GLOBAL__N_135rocblas_gemm_batched_general_kernelIfLi16ELi16ELi32ELi32ELi8ELi32ELi8ELi8ELi32ELc78ELc84EKPKfS3_KPfEEvlllT_PT11_llS8_llS6_PT12_llPT13_lli.has_indirect_call, 0
	.section	.AMDGPU.csdata,"",@progbits
; Kernel info:
; codeLenInByte = 1896
; TotalNumSgprs: 48
; NumVgprs: 44
; ScratchSize: 0
; MemoryBound: 0
; FloatMode: 240
; IeeeMode: 1
; LDSByteSize: 2048 bytes/workgroup (compile time only)
; SGPRBlocks: 0
; VGPRBlocks: 5
; NumSGPRsForWavesPerEU: 48
; NumVGPRsForWavesPerEU: 44
; Occupancy: 16
; WaveLimiterHint : 1
; COMPUTE_PGM_RSRC2:SCRATCH_EN: 0
; COMPUTE_PGM_RSRC2:USER_SGPR: 6
; COMPUTE_PGM_RSRC2:TRAP_HANDLER: 0
; COMPUTE_PGM_RSRC2:TGID_X_EN: 1
; COMPUTE_PGM_RSRC2:TGID_Y_EN: 1
; COMPUTE_PGM_RSRC2:TGID_Z_EN: 1
; COMPUTE_PGM_RSRC2:TIDIG_COMP_CNT: 1
	.section	.text._ZN12_GLOBAL__N_135rocblas_gemm_batched_general_kernelIfLi16ELi16ELi32ELi32ELi8ELi32ELi8ELi8ELi32ELc84ELc84EKPKfS3_KPfEEvlllT_PT11_llS8_llS6_PT12_llPT13_lli,"axG",@progbits,_ZN12_GLOBAL__N_135rocblas_gemm_batched_general_kernelIfLi16ELi16ELi32ELi32ELi8ELi32ELi8ELi8ELi32ELc84ELc84EKPKfS3_KPfEEvlllT_PT11_llS8_llS6_PT12_llPT13_lli,comdat
	.globl	_ZN12_GLOBAL__N_135rocblas_gemm_batched_general_kernelIfLi16ELi16ELi32ELi32ELi8ELi32ELi8ELi8ELi32ELc84ELc84EKPKfS3_KPfEEvlllT_PT11_llS8_llS6_PT12_llPT13_lli ; -- Begin function _ZN12_GLOBAL__N_135rocblas_gemm_batched_general_kernelIfLi16ELi16ELi32ELi32ELi8ELi32ELi8ELi8ELi32ELc84ELc84EKPKfS3_KPfEEvlllT_PT11_llS8_llS6_PT12_llPT13_lli
	.p2align	8
	.type	_ZN12_GLOBAL__N_135rocblas_gemm_batched_general_kernelIfLi16ELi16ELi32ELi32ELi8ELi32ELi8ELi8ELi32ELc84ELc84EKPKfS3_KPfEEvlllT_PT11_llS8_llS6_PT12_llPT13_lli,@function
_ZN12_GLOBAL__N_135rocblas_gemm_batched_general_kernelIfLi16ELi16ELi32ELi32ELi8ELi32ELi8ELi8ELi32ELc84ELc84EKPKfS3_KPfEEvlllT_PT11_llS8_llS6_PT12_llPT13_lli: ; @_ZN12_GLOBAL__N_135rocblas_gemm_batched_general_kernelIfLi16ELi16ELi32ELi32ELi8ELi32ELi8ELi8ELi32ELc84ELc84EKPKfS3_KPfEEvlllT_PT11_llS8_llS6_PT12_llPT13_lli
; %bb.0:
	s_clause 0x1
	s_load_dwordx8 s[12:19], s[4:5], 0x58
	s_load_dwordx2 s[34:35], s[4:5], 0x10
	s_mov_b32 s9, 0
	s_load_dwordx4 s[28:31], s[4:5], 0x0
	s_lshl_b64 s[42:43], s[8:9], 3
	s_load_dwordx4 s[8:11], s[4:5], 0x78
	s_mov_b32 s40, s7
	v_mov_b32_e32 v10, 0
	v_mov_b32_e32 v9, 0
	;; [unrolled: 1-line block ×4, first 2 shown]
	s_waitcnt lgkmcnt(0)
	s_add_u32 s0, s12, s42
	s_addc_u32 s1, s13, s43
	s_add_u32 s2, s18, s42
	s_addc_u32 s3, s19, s43
	s_load_dwordx2 s[12:13], s[0:1], 0x0
	s_load_dwordx2 s[2:3], s[2:3], 0x0
	v_cmp_lt_i64_e64 s0, s[34:35], 1
	s_ashr_i32 s7, s6, 31
	s_ashr_i32 s41, s40, 31
	s_lshl_b64 s[6:7], s[6:7], 5
	s_lshl_b64 s[18:19], s[40:41], 5
	s_and_b32 vcc_lo, exec_lo, s0
	s_cbranch_vccnz .LBB50_7
; %bb.1:
	s_clause 0x1
	s_load_dwordx4 s[36:39], s[4:5], 0x40
	s_load_dwordx8 s[20:27], s[4:5], 0x20
	v_lshl_add_u32 v2, v1, 4, v0
	v_and_b32_e32 v6, 7, v0
	v_mov_b32_e32 v3, s7
	v_mov_b32_e32 v7, 0
	v_lshlrev_b32_e32 v11, 2, v0
	v_and_b32_e32 v14, 31, v2
	v_lshrrev_b32_e32 v10, 3, v2
	v_lshrrev_b32_e32 v13, 5, v2
	v_lshlrev_b32_e32 v15, 2, v6
	v_lshl_add_u32 v12, v1, 5, 0x400
	v_or_b32_e32 v2, s6, v14
	v_add_co_u32 v4, s0, v10, s18
	v_add_co_ci_u32_e64 v5, null, 0, s19, s0
	v_add_co_u32 v17, s0, s6, v14
	v_add_co_ci_u32_e64 v18, null, s7, 0, s0
	s_waitcnt lgkmcnt(0)
	v_mad_u64_u32 v[8:9], null, s36, v6, 0
	v_cmp_gt_i64_e64 s0, s[28:29], v[2:3]
	v_lshlrev_b32_e32 v16, 2, v14
	v_cmp_gt_i64_e64 s1, s[30:31], v[4:5]
	v_mul_lo_u32 v5, s23, v17
	s_add_u32 s26, s26, s42
	s_addc_u32 s27, s27, s43
	v_mov_b32_e32 v2, v9
	v_lshl_or_b32 v14, v13, 7, v16
	v_mul_lo_u32 v16, s22, v18
	s_add_u32 s20, s20, s42
	s_addc_u32 s21, s21, s43
	v_mad_u64_u32 v[2:3], null, s37, v6, v[2:3]
	v_mad_u64_u32 v[3:4], null, s22, v17, 0
	s_load_dwordx2 s[22:23], s[26:27], 0x0
	s_load_dwordx2 s[20:21], s[20:21], 0x0
	s_lshl_b64 s[26:27], s[40:41], 7
	s_lshl_b64 s[38:39], s[38:39], 2
	v_mov_b32_e32 v9, v2
	s_add_u32 s26, s38, s26
	v_add3_u32 v4, v4, v16, v5
	s_addc_u32 s27, s39, s27
	s_lshl_b64 s[24:25], s[24:25], 2
	v_lshlrev_b64 v[8:9], 2, v[8:9]
	v_lshl_or_b32 v15, v10, 5, v15
	v_lshlrev_b64 v[2:3], 2, v[3:4]
	v_add_nc_u32_e32 v15, 0x400, v15
	v_add_co_u32 v4, vcc_lo, s26, v8
	v_lshlrev_b32_e32 v8, 2, v10
	v_add_co_ci_u32_e64 v5, null, s27, v9, vcc_lo
	v_add_co_u32 v2, vcc_lo, v2, s24
	v_lshlrev_b32_e32 v9, 2, v13
	v_add_co_ci_u32_e64 v3, null, s25, v3, vcc_lo
	v_add_co_u32 v4, vcc_lo, v4, v8
	v_add_co_ci_u32_e64 v5, null, 0, v5, vcc_lo
	v_add_co_u32 v8, vcc_lo, v2, v9
	v_add_co_ci_u32_e64 v9, null, 0, v3, vcc_lo
	s_waitcnt lgkmcnt(0)
	v_add_co_u32 v2, vcc_lo, s22, v4
	v_add_co_ci_u32_e64 v3, null, s23, v5, vcc_lo
	v_add_co_u32 v4, vcc_lo, s20, v8
	v_add_co_ci_u32_e64 v5, null, s21, v9, vcc_lo
	v_mov_b32_e32 v8, 0
	v_mov_b32_e32 v9, 0
	;; [unrolled: 1-line block ×3, first 2 shown]
	s_lshl_b64 s[20:21], s[36:37], 5
	s_mov_b64 s[22:23], 0
	s_branch .LBB50_3
.LBB50_2:                               ;   in Loop: Header=BB50_3 Depth=1
	s_or_b32 exec_lo, exec_lo, s24
	s_waitcnt vmcnt(0) lgkmcnt(0)
	ds_write_b32 v15, v17
	s_waitcnt lgkmcnt(0)
	s_barrier
	buffer_gl0_inv
	ds_read_b128 v[16:19], v12
	ds_read2_b32 v[32:33], v11 offset1:16
	ds_read_b128 v[20:23], v12 offset:512
	ds_read2_b32 v[34:35], v11 offset0:32 offset1:48
	ds_read2_b32 v[36:37], v11 offset0:64 offset1:80
	;; [unrolled: 1-line block ×3, first 2 shown]
	ds_read_b128 v[24:27], v12 offset:16
	ds_read2_b32 v[40:41], v11 offset0:128 offset1:144
	ds_read_b128 v[28:31], v12 offset:528
	ds_read2_b32 v[42:43], v11 offset0:160 offset1:176
	s_add_u32 s22, s22, 8
	s_addc_u32 s23, s23, 0
	v_add_co_u32 v2, vcc_lo, v2, s20
	v_cmp_lt_i64_e64 s24, s[22:23], s[34:35]
	v_add_co_ci_u32_e64 v3, null, s21, v3, vcc_lo
	v_add_co_u32 v4, vcc_lo, v4, 32
	v_add_co_ci_u32_e64 v5, null, 0, v5, vcc_lo
	s_waitcnt lgkmcnt(8)
	v_fmac_f32_e32 v10, v32, v16
	v_fmac_f32_e32 v9, v33, v16
	s_waitcnt lgkmcnt(7)
	v_fmac_f32_e32 v8, v32, v20
	v_fmac_f32_e32 v7, v33, v20
	ds_read2_b32 v[32:33], v11 offset0:192 offset1:208
	s_waitcnt lgkmcnt(7)
	v_fmac_f32_e32 v10, v34, v17
	v_fmac_f32_e32 v9, v35, v17
	;; [unrolled: 1-line block ×4, first 2 shown]
	ds_read2_b32 v[16:17], v11 offset0:224 offset1:240
	s_waitcnt lgkmcnt(7)
	v_fmac_f32_e32 v10, v36, v18
	v_fmac_f32_e32 v9, v37, v18
	;; [unrolled: 1-line block ×4, first 2 shown]
	s_and_b32 vcc_lo, exec_lo, s24
	s_waitcnt lgkmcnt(6)
	v_fmac_f32_e32 v10, v38, v19
	v_fmac_f32_e32 v9, v39, v19
	v_fmac_f32_e32 v8, v38, v23
	v_fmac_f32_e32 v7, v39, v23
	s_waitcnt lgkmcnt(0)
	v_fmac_f32_e32 v10, v40, v24
	v_fmac_f32_e32 v9, v41, v24
	v_fmac_f32_e32 v8, v40, v28
	v_fmac_f32_e32 v7, v41, v28
	s_barrier
	v_fmac_f32_e32 v10, v42, v25
	v_fmac_f32_e32 v9, v43, v25
	;; [unrolled: 1-line block ×4, first 2 shown]
	buffer_gl0_inv
	v_fmac_f32_e32 v10, v32, v26
	v_fmac_f32_e32 v9, v33, v26
	;; [unrolled: 1-line block ×8, first 2 shown]
	s_cbranch_vccz .LBB50_7
.LBB50_3:                               ; =>This Inner Loop Header: Depth=1
	v_add_co_u32 v16, s24, v13, s22
	v_add_co_ci_u32_e64 v17, null, 0, s23, s24
	v_cmp_gt_i64_e32 vcc_lo, s[34:35], v[16:17]
	v_mov_b32_e32 v16, 0
	s_and_b32 s25, s0, vcc_lo
	s_and_saveexec_b32 s24, s25
	s_cbranch_execz .LBB50_5
; %bb.4:                                ;   in Loop: Header=BB50_3 Depth=1
	flat_load_dword v16, v[4:5]
.LBB50_5:                               ;   in Loop: Header=BB50_3 Depth=1
	s_or_b32 exec_lo, exec_lo, s24
	v_add_co_u32 v17, s24, v6, s22
	v_add_co_ci_u32_e64 v18, null, 0, s23, s24
	s_waitcnt vmcnt(0) lgkmcnt(0)
	ds_write_b32 v14, v16
	v_cmp_gt_i64_e32 vcc_lo, s[34:35], v[17:18]
	v_mov_b32_e32 v17, 0
	s_and_b32 s25, vcc_lo, s1
	s_and_saveexec_b32 s24, s25
	s_cbranch_execz .LBB50_2
; %bb.6:                                ;   in Loop: Header=BB50_3 Depth=1
	flat_load_dword v17, v[2:3]
	s_branch .LBB50_2
.LBB50_7:
	s_clause 0x1
	s_load_dword s20, s[4:5], 0x50
	s_load_dword s4, s[4:5], 0x18
	v_add_co_u32 v1, s5, s18, v1
	v_add_co_ci_u32_e64 v2, null, s19, 0, s5
	s_lshl_b64 s[0:1], s[10:11], 2
	s_waitcnt lgkmcnt(0)
	s_add_u32 s5, s2, s0
	v_cmp_gt_i64_e64 s0, s[30:31], v[1:2]
	s_addc_u32 s3, s3, s1
	v_cmp_neq_f32_e64 s10, s20, 0
	s_and_b32 vcc_lo, exec_lo, s10
	s_cbranch_vccnz .LBB50_20
; %bb.8:
	s_and_saveexec_b32 s10, s0
	s_cbranch_execz .LBB50_18
; %bb.9:
	v_mul_lo_u32 v5, v2, s8
	v_mul_lo_u32 v6, v1, s9
	v_mad_u64_u32 v[3:4], null, v1, s8, 0
	v_add3_u32 v4, v4, v6, v5
	v_add_co_u32 v5, s1, s6, v0
	v_add_co_ci_u32_e64 v6, null, s7, 0, s1
	v_lshlrev_b64 v[11:12], 2, v[3:4]
	v_cmp_gt_i64_e32 vcc_lo, s[28:29], v[5:6]
	v_lshlrev_b64 v[3:4], 2, v[5:6]
	v_add_co_u32 v11, s1, s5, v11
	v_add_co_ci_u32_e64 v12, null, s3, v12, s1
	s_and_saveexec_b32 s2, vcc_lo
	s_cbranch_execz .LBB50_11
; %bb.10:
	v_add_co_u32 v13, s1, v11, v3
	v_add_co_ci_u32_e64 v14, null, v12, v4, s1
	v_mul_f32_e32 v15, s4, v10
	flat_store_dword v[13:14], v15
.LBB50_11:
	s_or_b32 exec_lo, exec_lo, s2
	v_add_co_u32 v5, s1, v5, 16
	v_add_co_ci_u32_e64 v6, null, 0, v6, s1
	v_cmp_gt_i64_e64 s1, s[28:29], v[5:6]
	s_and_saveexec_b32 s11, s1
	s_cbranch_execz .LBB50_13
; %bb.12:
	v_add_co_u32 v5, s2, v11, v3
	v_add_co_ci_u32_e64 v6, null, v12, v4, s2
	v_mul_f32_e32 v13, s4, v9
	flat_store_dword v[5:6], v13 offset:64
.LBB50_13:
	s_or_b32 exec_lo, exec_lo, s11
	v_add_co_u32 v5, s2, v1, 16
	v_add_co_ci_u32_e64 v6, null, 0, v2, s2
	v_cmp_gt_i64_e64 s2, s[30:31], v[5:6]
	s_and_b32 exec_lo, exec_lo, s2
	s_cbranch_execz .LBB50_18
; %bb.14:
	s_lshl_b64 s[18:19], s[8:9], 6
	v_add_co_u32 v5, s2, v11, s18
	v_add_co_ci_u32_e64 v6, null, s19, v12, s2
	v_add_co_u32 v3, s2, v5, v3
	v_add_co_ci_u32_e64 v4, null, v6, v4, s2
	s_and_saveexec_b32 s2, vcc_lo
	s_cbranch_execz .LBB50_16
; %bb.15:
	v_mul_f32_e32 v5, s4, v8
	flat_store_dword v[3:4], v5
.LBB50_16:
	s_or_b32 exec_lo, exec_lo, s2
	s_and_b32 exec_lo, exec_lo, s1
	s_cbranch_execz .LBB50_18
; %bb.17:
	v_mul_f32_e32 v5, s4, v7
	flat_store_dword v[3:4], v5 offset:64
.LBB50_18:
	s_or_b32 exec_lo, exec_lo, s10
	s_cbranch_execz .LBB50_21
.LBB50_19:
	s_endpgm
.LBB50_20:
.LBB50_21:
	s_and_saveexec_b32 s1, s0
	s_cbranch_execz .LBB50_19
; %bb.22:
	v_mul_lo_u32 v5, v2, s14
	v_mul_lo_u32 v6, v1, s15
	v_mad_u64_u32 v[3:4], null, v1, s14, 0
	v_mul_lo_u32 v13, v2, s8
	v_mul_lo_u32 v14, v1, s9
	v_mad_u64_u32 v[11:12], null, v1, s8, 0
	s_lshl_b64 s[0:1], s[16:17], 2
	v_add3_u32 v4, v4, v6, v5
	v_add_co_u32 v5, s2, s6, v0
	v_add_co_ci_u32_e64 v6, null, s7, 0, s2
	v_add3_u32 v12, v12, v14, v13
	v_lshlrev_b64 v[3:4], 2, v[3:4]
	s_add_u32 s0, s12, s0
	s_addc_u32 s1, s13, s1
	v_cmp_gt_i64_e32 vcc_lo, s[28:29], v[5:6]
	v_lshlrev_b64 v[12:13], 2, v[11:12]
	v_add_co_u32 v0, s0, s0, v3
	v_add_co_ci_u32_e64 v11, null, s1, v4, s0
	v_add_co_u32 v12, s0, s5, v12
	v_lshlrev_b64 v[3:4], 2, v[5:6]
	v_add_co_ci_u32_e64 v13, null, s3, v13, s0
	s_and_saveexec_b32 s1, vcc_lo
	s_cbranch_execz .LBB50_24
; %bb.23:
	v_add_co_u32 v14, s0, v0, v3
	v_add_co_ci_u32_e64 v15, null, v11, v4, s0
	flat_load_dword v14, v[14:15]
	s_waitcnt vmcnt(0) lgkmcnt(0)
	v_mul_f32_e32 v16, s20, v14
	v_add_co_u32 v14, s0, v12, v3
	v_add_co_ci_u32_e64 v15, null, v13, v4, s0
	v_fmac_f32_e32 v16, s4, v10
	flat_store_dword v[14:15], v16
.LBB50_24:
	s_or_b32 exec_lo, exec_lo, s1
	v_add_co_u32 v5, s0, v5, 16
	v_add_co_ci_u32_e64 v6, null, 0, v6, s0
	v_cmp_gt_i64_e64 s0, s[28:29], v[5:6]
	s_and_saveexec_b32 s2, s0
	s_cbranch_execz .LBB50_26
; %bb.25:
	v_add_co_u32 v5, s1, v0, v3
	v_add_co_ci_u32_e64 v6, null, v11, v4, s1
	flat_load_dword v5, v[5:6] offset:64
	s_waitcnt vmcnt(0) lgkmcnt(0)
	v_mul_f32_e32 v10, s20, v5
	v_add_co_u32 v5, s1, v12, v3
	v_add_co_ci_u32_e64 v6, null, v13, v4, s1
	v_fmac_f32_e32 v10, s4, v9
	flat_store_dword v[5:6], v10 offset:64
.LBB50_26:
	s_or_b32 exec_lo, exec_lo, s2
	v_add_co_u32 v1, s1, v1, 16
	v_add_co_ci_u32_e64 v2, null, 0, v2, s1
	v_cmp_gt_i64_e64 s1, s[30:31], v[1:2]
	s_and_b32 exec_lo, exec_lo, s1
	s_cbranch_execz .LBB50_19
; %bb.27:
	s_lshl_b64 s[2:3], s[14:15], 6
	v_add_co_u32 v0, s1, v0, s2
	v_add_co_ci_u32_e64 v1, null, s3, v11, s1
	s_lshl_b64 s[2:3], s[8:9], 6
	v_add_co_u32 v2, s1, v12, s2
	v_add_co_ci_u32_e64 v5, null, s3, v13, s1
	v_add_co_u32 v0, s1, v0, v3
	v_add_co_ci_u32_e64 v1, null, v1, v4, s1
	;; [unrolled: 2-line block ×3, first 2 shown]
	s_and_saveexec_b32 s1, vcc_lo
	s_cbranch_execz .LBB50_29
; %bb.28:
	flat_load_dword v4, v[0:1]
	s_waitcnt vmcnt(0) lgkmcnt(0)
	v_mul_f32_e32 v4, s20, v4
	v_fmac_f32_e32 v4, s4, v8
	flat_store_dword v[2:3], v4
.LBB50_29:
	s_or_b32 exec_lo, exec_lo, s1
	s_and_b32 exec_lo, exec_lo, s0
	s_cbranch_execz .LBB50_19
; %bb.30:
	flat_load_dword v0, v[0:1] offset:64
	s_waitcnt vmcnt(0) lgkmcnt(0)
	v_mul_f32_e32 v0, s20, v0
	v_fmac_f32_e32 v0, s4, v7
	flat_store_dword v[2:3], v0 offset:64
	s_endpgm
	.section	.rodata,"a",@progbits
	.p2align	6, 0x0
	.amdhsa_kernel _ZN12_GLOBAL__N_135rocblas_gemm_batched_general_kernelIfLi16ELi16ELi32ELi32ELi8ELi32ELi8ELi8ELi32ELc84ELc84EKPKfS3_KPfEEvlllT_PT11_llS8_llS6_PT12_llPT13_lli
		.amdhsa_group_segment_fixed_size 2048
		.amdhsa_private_segment_fixed_size 0
		.amdhsa_kernarg_size 140
		.amdhsa_user_sgpr_count 6
		.amdhsa_user_sgpr_private_segment_buffer 1
		.amdhsa_user_sgpr_dispatch_ptr 0
		.amdhsa_user_sgpr_queue_ptr 0
		.amdhsa_user_sgpr_kernarg_segment_ptr 1
		.amdhsa_user_sgpr_dispatch_id 0
		.amdhsa_user_sgpr_flat_scratch_init 0
		.amdhsa_user_sgpr_private_segment_size 0
		.amdhsa_wavefront_size32 1
		.amdhsa_uses_dynamic_stack 0
		.amdhsa_system_sgpr_private_segment_wavefront_offset 0
		.amdhsa_system_sgpr_workgroup_id_x 1
		.amdhsa_system_sgpr_workgroup_id_y 1
		.amdhsa_system_sgpr_workgroup_id_z 1
		.amdhsa_system_sgpr_workgroup_info 0
		.amdhsa_system_vgpr_workitem_id 1
		.amdhsa_next_free_vgpr 44
		.amdhsa_next_free_sgpr 44
		.amdhsa_reserve_vcc 1
		.amdhsa_reserve_flat_scratch 0
		.amdhsa_float_round_mode_32 0
		.amdhsa_float_round_mode_16_64 0
		.amdhsa_float_denorm_mode_32 3
		.amdhsa_float_denorm_mode_16_64 3
		.amdhsa_dx10_clamp 1
		.amdhsa_ieee_mode 1
		.amdhsa_fp16_overflow 0
		.amdhsa_workgroup_processor_mode 1
		.amdhsa_memory_ordered 1
		.amdhsa_forward_progress 1
		.amdhsa_shared_vgpr_count 0
		.amdhsa_exception_fp_ieee_invalid_op 0
		.amdhsa_exception_fp_denorm_src 0
		.amdhsa_exception_fp_ieee_div_zero 0
		.amdhsa_exception_fp_ieee_overflow 0
		.amdhsa_exception_fp_ieee_underflow 0
		.amdhsa_exception_fp_ieee_inexact 0
		.amdhsa_exception_int_div_zero 0
	.end_amdhsa_kernel
	.section	.text._ZN12_GLOBAL__N_135rocblas_gemm_batched_general_kernelIfLi16ELi16ELi32ELi32ELi8ELi32ELi8ELi8ELi32ELc84ELc84EKPKfS3_KPfEEvlllT_PT11_llS8_llS6_PT12_llPT13_lli,"axG",@progbits,_ZN12_GLOBAL__N_135rocblas_gemm_batched_general_kernelIfLi16ELi16ELi32ELi32ELi8ELi32ELi8ELi8ELi32ELc84ELc84EKPKfS3_KPfEEvlllT_PT11_llS8_llS6_PT12_llPT13_lli,comdat
.Lfunc_end50:
	.size	_ZN12_GLOBAL__N_135rocblas_gemm_batched_general_kernelIfLi16ELi16ELi32ELi32ELi8ELi32ELi8ELi8ELi32ELc84ELc84EKPKfS3_KPfEEvlllT_PT11_llS8_llS6_PT12_llPT13_lli, .Lfunc_end50-_ZN12_GLOBAL__N_135rocblas_gemm_batched_general_kernelIfLi16ELi16ELi32ELi32ELi8ELi32ELi8ELi8ELi32ELc84ELc84EKPKfS3_KPfEEvlllT_PT11_llS8_llS6_PT12_llPT13_lli
                                        ; -- End function
	.set _ZN12_GLOBAL__N_135rocblas_gemm_batched_general_kernelIfLi16ELi16ELi32ELi32ELi8ELi32ELi8ELi8ELi32ELc84ELc84EKPKfS3_KPfEEvlllT_PT11_llS8_llS6_PT12_llPT13_lli.num_vgpr, 44
	.set _ZN12_GLOBAL__N_135rocblas_gemm_batched_general_kernelIfLi16ELi16ELi32ELi32ELi8ELi32ELi8ELi8ELi32ELc84ELc84EKPKfS3_KPfEEvlllT_PT11_llS8_llS6_PT12_llPT13_lli.num_agpr, 0
	.set _ZN12_GLOBAL__N_135rocblas_gemm_batched_general_kernelIfLi16ELi16ELi32ELi32ELi8ELi32ELi8ELi8ELi32ELc84ELc84EKPKfS3_KPfEEvlllT_PT11_llS8_llS6_PT12_llPT13_lli.numbered_sgpr, 44
	.set _ZN12_GLOBAL__N_135rocblas_gemm_batched_general_kernelIfLi16ELi16ELi32ELi32ELi8ELi32ELi8ELi8ELi32ELc84ELc84EKPKfS3_KPfEEvlllT_PT11_llS8_llS6_PT12_llPT13_lli.num_named_barrier, 0
	.set _ZN12_GLOBAL__N_135rocblas_gemm_batched_general_kernelIfLi16ELi16ELi32ELi32ELi8ELi32ELi8ELi8ELi32ELc84ELc84EKPKfS3_KPfEEvlllT_PT11_llS8_llS6_PT12_llPT13_lli.private_seg_size, 0
	.set _ZN12_GLOBAL__N_135rocblas_gemm_batched_general_kernelIfLi16ELi16ELi32ELi32ELi8ELi32ELi8ELi8ELi32ELc84ELc84EKPKfS3_KPfEEvlllT_PT11_llS8_llS6_PT12_llPT13_lli.uses_vcc, 1
	.set _ZN12_GLOBAL__N_135rocblas_gemm_batched_general_kernelIfLi16ELi16ELi32ELi32ELi8ELi32ELi8ELi8ELi32ELc84ELc84EKPKfS3_KPfEEvlllT_PT11_llS8_llS6_PT12_llPT13_lli.uses_flat_scratch, 0
	.set _ZN12_GLOBAL__N_135rocblas_gemm_batched_general_kernelIfLi16ELi16ELi32ELi32ELi8ELi32ELi8ELi8ELi32ELc84ELc84EKPKfS3_KPfEEvlllT_PT11_llS8_llS6_PT12_llPT13_lli.has_dyn_sized_stack, 0
	.set _ZN12_GLOBAL__N_135rocblas_gemm_batched_general_kernelIfLi16ELi16ELi32ELi32ELi8ELi32ELi8ELi8ELi32ELc84ELc84EKPKfS3_KPfEEvlllT_PT11_llS8_llS6_PT12_llPT13_lli.has_recursion, 0
	.set _ZN12_GLOBAL__N_135rocblas_gemm_batched_general_kernelIfLi16ELi16ELi32ELi32ELi8ELi32ELi8ELi8ELi32ELc84ELc84EKPKfS3_KPfEEvlllT_PT11_llS8_llS6_PT12_llPT13_lli.has_indirect_call, 0
	.section	.AMDGPU.csdata,"",@progbits
; Kernel info:
; codeLenInByte = 1908
; TotalNumSgprs: 46
; NumVgprs: 44
; ScratchSize: 0
; MemoryBound: 0
; FloatMode: 240
; IeeeMode: 1
; LDSByteSize: 2048 bytes/workgroup (compile time only)
; SGPRBlocks: 0
; VGPRBlocks: 5
; NumSGPRsForWavesPerEU: 46
; NumVGPRsForWavesPerEU: 44
; Occupancy: 16
; WaveLimiterHint : 1
; COMPUTE_PGM_RSRC2:SCRATCH_EN: 0
; COMPUTE_PGM_RSRC2:USER_SGPR: 6
; COMPUTE_PGM_RSRC2:TRAP_HANDLER: 0
; COMPUTE_PGM_RSRC2:TGID_X_EN: 1
; COMPUTE_PGM_RSRC2:TGID_Y_EN: 1
; COMPUTE_PGM_RSRC2:TGID_Z_EN: 1
; COMPUTE_PGM_RSRC2:TIDIG_COMP_CNT: 1
	.section	.text._ZN12_GLOBAL__N_135rocblas_gemm_batched_general_kernelIfLi16ELi16ELi32ELi32ELi8ELi32ELi8ELi8ELi32ELc67ELc67EKPKfS3_KPfEEvlllT_PT11_llS8_llS6_PT12_llPT13_lli,"axG",@progbits,_ZN12_GLOBAL__N_135rocblas_gemm_batched_general_kernelIfLi16ELi16ELi32ELi32ELi8ELi32ELi8ELi8ELi32ELc67ELc67EKPKfS3_KPfEEvlllT_PT11_llS8_llS6_PT12_llPT13_lli,comdat
	.globl	_ZN12_GLOBAL__N_135rocblas_gemm_batched_general_kernelIfLi16ELi16ELi32ELi32ELi8ELi32ELi8ELi8ELi32ELc67ELc67EKPKfS3_KPfEEvlllT_PT11_llS8_llS6_PT12_llPT13_lli ; -- Begin function _ZN12_GLOBAL__N_135rocblas_gemm_batched_general_kernelIfLi16ELi16ELi32ELi32ELi8ELi32ELi8ELi8ELi32ELc67ELc67EKPKfS3_KPfEEvlllT_PT11_llS8_llS6_PT12_llPT13_lli
	.p2align	8
	.type	_ZN12_GLOBAL__N_135rocblas_gemm_batched_general_kernelIfLi16ELi16ELi32ELi32ELi8ELi32ELi8ELi8ELi32ELc67ELc67EKPKfS3_KPfEEvlllT_PT11_llS8_llS6_PT12_llPT13_lli,@function
_ZN12_GLOBAL__N_135rocblas_gemm_batched_general_kernelIfLi16ELi16ELi32ELi32ELi8ELi32ELi8ELi8ELi32ELc67ELc67EKPKfS3_KPfEEvlllT_PT11_llS8_llS6_PT12_llPT13_lli: ; @_ZN12_GLOBAL__N_135rocblas_gemm_batched_general_kernelIfLi16ELi16ELi32ELi32ELi8ELi32ELi8ELi8ELi32ELc67ELc67EKPKfS3_KPfEEvlllT_PT11_llS8_llS6_PT12_llPT13_lli
; %bb.0:
	s_clause 0x1
	s_load_dwordx8 s[12:19], s[4:5], 0x58
	s_load_dwordx2 s[34:35], s[4:5], 0x10
	s_mov_b32 s9, 0
	s_load_dwordx4 s[28:31], s[4:5], 0x0
	s_lshl_b64 s[42:43], s[8:9], 3
	s_load_dwordx4 s[8:11], s[4:5], 0x78
	s_mov_b32 s40, s7
	v_mov_b32_e32 v10, 0
	v_mov_b32_e32 v9, 0
	;; [unrolled: 1-line block ×4, first 2 shown]
	s_waitcnt lgkmcnt(0)
	s_add_u32 s0, s12, s42
	s_addc_u32 s1, s13, s43
	s_add_u32 s2, s18, s42
	s_addc_u32 s3, s19, s43
	s_load_dwordx2 s[12:13], s[0:1], 0x0
	s_load_dwordx2 s[2:3], s[2:3], 0x0
	v_cmp_lt_i64_e64 s0, s[34:35], 1
	s_ashr_i32 s7, s6, 31
	s_ashr_i32 s41, s40, 31
	s_lshl_b64 s[6:7], s[6:7], 5
	s_lshl_b64 s[18:19], s[40:41], 5
	s_and_b32 vcc_lo, exec_lo, s0
	s_cbranch_vccnz .LBB51_7
; %bb.1:
	s_clause 0x1
	s_load_dwordx4 s[36:39], s[4:5], 0x40
	s_load_dwordx8 s[20:27], s[4:5], 0x20
	v_lshl_add_u32 v2, v1, 4, v0
	v_and_b32_e32 v6, 7, v0
	v_mov_b32_e32 v3, s7
	v_mov_b32_e32 v7, 0
	v_lshlrev_b32_e32 v11, 2, v0
	v_and_b32_e32 v14, 31, v2
	v_lshrrev_b32_e32 v10, 3, v2
	v_lshrrev_b32_e32 v13, 5, v2
	v_lshlrev_b32_e32 v15, 2, v6
	v_lshl_add_u32 v12, v1, 5, 0x400
	v_or_b32_e32 v2, s6, v14
	v_add_co_u32 v4, s0, v10, s18
	v_add_co_ci_u32_e64 v5, null, 0, s19, s0
	v_add_co_u32 v17, s0, s6, v14
	v_add_co_ci_u32_e64 v18, null, s7, 0, s0
	s_waitcnt lgkmcnt(0)
	v_mad_u64_u32 v[8:9], null, s36, v6, 0
	v_cmp_gt_i64_e64 s0, s[28:29], v[2:3]
	v_lshlrev_b32_e32 v16, 2, v14
	v_cmp_gt_i64_e64 s1, s[30:31], v[4:5]
	v_mul_lo_u32 v5, s23, v17
	s_add_u32 s26, s26, s42
	s_addc_u32 s27, s27, s43
	v_mov_b32_e32 v2, v9
	v_lshl_or_b32 v14, v13, 7, v16
	v_mul_lo_u32 v16, s22, v18
	s_add_u32 s20, s20, s42
	s_addc_u32 s21, s21, s43
	v_mad_u64_u32 v[2:3], null, s37, v6, v[2:3]
	v_mad_u64_u32 v[3:4], null, s22, v17, 0
	s_load_dwordx2 s[22:23], s[26:27], 0x0
	s_load_dwordx2 s[20:21], s[20:21], 0x0
	s_lshl_b64 s[26:27], s[40:41], 7
	s_lshl_b64 s[38:39], s[38:39], 2
	v_mov_b32_e32 v9, v2
	s_add_u32 s26, s38, s26
	v_add3_u32 v4, v4, v16, v5
	s_addc_u32 s27, s39, s27
	s_lshl_b64 s[24:25], s[24:25], 2
	v_lshlrev_b64 v[8:9], 2, v[8:9]
	v_lshl_or_b32 v15, v10, 5, v15
	v_lshlrev_b64 v[2:3], 2, v[3:4]
	v_add_nc_u32_e32 v15, 0x400, v15
	v_add_co_u32 v4, vcc_lo, s26, v8
	v_lshlrev_b32_e32 v8, 2, v10
	v_add_co_ci_u32_e64 v5, null, s27, v9, vcc_lo
	v_add_co_u32 v2, vcc_lo, v2, s24
	v_lshlrev_b32_e32 v9, 2, v13
	v_add_co_ci_u32_e64 v3, null, s25, v3, vcc_lo
	v_add_co_u32 v4, vcc_lo, v4, v8
	v_add_co_ci_u32_e64 v5, null, 0, v5, vcc_lo
	v_add_co_u32 v8, vcc_lo, v2, v9
	v_add_co_ci_u32_e64 v9, null, 0, v3, vcc_lo
	s_waitcnt lgkmcnt(0)
	v_add_co_u32 v2, vcc_lo, s22, v4
	v_add_co_ci_u32_e64 v3, null, s23, v5, vcc_lo
	v_add_co_u32 v4, vcc_lo, s20, v8
	v_add_co_ci_u32_e64 v5, null, s21, v9, vcc_lo
	v_mov_b32_e32 v8, 0
	v_mov_b32_e32 v9, 0
	;; [unrolled: 1-line block ×3, first 2 shown]
	s_lshl_b64 s[20:21], s[36:37], 5
	s_mov_b64 s[22:23], 0
	s_branch .LBB51_3
.LBB51_2:                               ;   in Loop: Header=BB51_3 Depth=1
	s_or_b32 exec_lo, exec_lo, s24
	s_waitcnt vmcnt(0) lgkmcnt(0)
	ds_write_b32 v15, v17
	s_waitcnt lgkmcnt(0)
	s_barrier
	buffer_gl0_inv
	ds_read_b128 v[16:19], v12
	ds_read2_b32 v[32:33], v11 offset1:16
	ds_read_b128 v[20:23], v12 offset:512
	ds_read2_b32 v[34:35], v11 offset0:32 offset1:48
	ds_read2_b32 v[36:37], v11 offset0:64 offset1:80
	ds_read2_b32 v[38:39], v11 offset0:96 offset1:112
	ds_read_b128 v[24:27], v12 offset:16
	ds_read2_b32 v[40:41], v11 offset0:128 offset1:144
	ds_read_b128 v[28:31], v12 offset:528
	ds_read2_b32 v[42:43], v11 offset0:160 offset1:176
	s_add_u32 s22, s22, 8
	s_addc_u32 s23, s23, 0
	v_add_co_u32 v2, vcc_lo, v2, s20
	v_cmp_lt_i64_e64 s24, s[22:23], s[34:35]
	v_add_co_ci_u32_e64 v3, null, s21, v3, vcc_lo
	v_add_co_u32 v4, vcc_lo, v4, 32
	v_add_co_ci_u32_e64 v5, null, 0, v5, vcc_lo
	s_waitcnt lgkmcnt(8)
	v_fmac_f32_e32 v10, v32, v16
	v_fmac_f32_e32 v9, v33, v16
	s_waitcnt lgkmcnt(7)
	v_fmac_f32_e32 v8, v32, v20
	v_fmac_f32_e32 v7, v33, v20
	ds_read2_b32 v[32:33], v11 offset0:192 offset1:208
	s_waitcnt lgkmcnt(7)
	v_fmac_f32_e32 v10, v34, v17
	v_fmac_f32_e32 v9, v35, v17
	;; [unrolled: 1-line block ×4, first 2 shown]
	ds_read2_b32 v[16:17], v11 offset0:224 offset1:240
	s_waitcnt lgkmcnt(7)
	v_fmac_f32_e32 v10, v36, v18
	v_fmac_f32_e32 v9, v37, v18
	;; [unrolled: 1-line block ×4, first 2 shown]
	s_and_b32 vcc_lo, exec_lo, s24
	s_waitcnt lgkmcnt(6)
	v_fmac_f32_e32 v10, v38, v19
	v_fmac_f32_e32 v9, v39, v19
	;; [unrolled: 1-line block ×4, first 2 shown]
	s_waitcnt lgkmcnt(0)
	v_fmac_f32_e32 v10, v40, v24
	v_fmac_f32_e32 v9, v41, v24
	;; [unrolled: 1-line block ×4, first 2 shown]
	s_barrier
	v_fmac_f32_e32 v10, v42, v25
	v_fmac_f32_e32 v9, v43, v25
	;; [unrolled: 1-line block ×4, first 2 shown]
	buffer_gl0_inv
	v_fmac_f32_e32 v10, v32, v26
	v_fmac_f32_e32 v9, v33, v26
	v_fmac_f32_e32 v8, v32, v30
	v_fmac_f32_e32 v7, v33, v30
	v_fmac_f32_e32 v10, v16, v27
	v_fmac_f32_e32 v9, v17, v27
	v_fmac_f32_e32 v8, v16, v31
	v_fmac_f32_e32 v7, v17, v31
	s_cbranch_vccz .LBB51_7
.LBB51_3:                               ; =>This Inner Loop Header: Depth=1
	v_add_co_u32 v16, s24, v13, s22
	v_add_co_ci_u32_e64 v17, null, 0, s23, s24
	v_cmp_gt_i64_e32 vcc_lo, s[34:35], v[16:17]
	v_mov_b32_e32 v16, 0
	s_and_b32 s25, s0, vcc_lo
	s_and_saveexec_b32 s24, s25
	s_cbranch_execz .LBB51_5
; %bb.4:                                ;   in Loop: Header=BB51_3 Depth=1
	flat_load_dword v16, v[4:5]
.LBB51_5:                               ;   in Loop: Header=BB51_3 Depth=1
	s_or_b32 exec_lo, exec_lo, s24
	v_add_co_u32 v17, s24, v6, s22
	v_add_co_ci_u32_e64 v18, null, 0, s23, s24
	s_waitcnt vmcnt(0) lgkmcnt(0)
	ds_write_b32 v14, v16
	v_cmp_gt_i64_e32 vcc_lo, s[34:35], v[17:18]
	v_mov_b32_e32 v17, 0
	s_and_b32 s25, vcc_lo, s1
	s_and_saveexec_b32 s24, s25
	s_cbranch_execz .LBB51_2
; %bb.6:                                ;   in Loop: Header=BB51_3 Depth=1
	flat_load_dword v17, v[2:3]
	s_branch .LBB51_2
.LBB51_7:
	s_clause 0x1
	s_load_dword s20, s[4:5], 0x50
	s_load_dword s4, s[4:5], 0x18
	v_add_co_u32 v1, s5, s18, v1
	v_add_co_ci_u32_e64 v2, null, s19, 0, s5
	s_lshl_b64 s[0:1], s[10:11], 2
	s_waitcnt lgkmcnt(0)
	s_add_u32 s5, s2, s0
	v_cmp_gt_i64_e64 s0, s[30:31], v[1:2]
	s_addc_u32 s3, s3, s1
	v_cmp_neq_f32_e64 s10, s20, 0
	s_and_b32 vcc_lo, exec_lo, s10
	s_cbranch_vccnz .LBB51_20
; %bb.8:
	s_and_saveexec_b32 s10, s0
	s_cbranch_execz .LBB51_18
; %bb.9:
	v_mul_lo_u32 v5, v2, s8
	v_mul_lo_u32 v6, v1, s9
	v_mad_u64_u32 v[3:4], null, v1, s8, 0
	v_add3_u32 v4, v4, v6, v5
	v_add_co_u32 v5, s1, s6, v0
	v_add_co_ci_u32_e64 v6, null, s7, 0, s1
	v_lshlrev_b64 v[11:12], 2, v[3:4]
	v_cmp_gt_i64_e32 vcc_lo, s[28:29], v[5:6]
	v_lshlrev_b64 v[3:4], 2, v[5:6]
	v_add_co_u32 v11, s1, s5, v11
	v_add_co_ci_u32_e64 v12, null, s3, v12, s1
	s_and_saveexec_b32 s2, vcc_lo
	s_cbranch_execz .LBB51_11
; %bb.10:
	v_add_co_u32 v13, s1, v11, v3
	v_add_co_ci_u32_e64 v14, null, v12, v4, s1
	v_mul_f32_e32 v15, s4, v10
	flat_store_dword v[13:14], v15
.LBB51_11:
	s_or_b32 exec_lo, exec_lo, s2
	v_add_co_u32 v5, s1, v5, 16
	v_add_co_ci_u32_e64 v6, null, 0, v6, s1
	v_cmp_gt_i64_e64 s1, s[28:29], v[5:6]
	s_and_saveexec_b32 s11, s1
	s_cbranch_execz .LBB51_13
; %bb.12:
	v_add_co_u32 v5, s2, v11, v3
	v_add_co_ci_u32_e64 v6, null, v12, v4, s2
	v_mul_f32_e32 v13, s4, v9
	flat_store_dword v[5:6], v13 offset:64
.LBB51_13:
	s_or_b32 exec_lo, exec_lo, s11
	v_add_co_u32 v5, s2, v1, 16
	v_add_co_ci_u32_e64 v6, null, 0, v2, s2
	v_cmp_gt_i64_e64 s2, s[30:31], v[5:6]
	s_and_b32 exec_lo, exec_lo, s2
	s_cbranch_execz .LBB51_18
; %bb.14:
	s_lshl_b64 s[18:19], s[8:9], 6
	v_add_co_u32 v5, s2, v11, s18
	v_add_co_ci_u32_e64 v6, null, s19, v12, s2
	v_add_co_u32 v3, s2, v5, v3
	v_add_co_ci_u32_e64 v4, null, v6, v4, s2
	s_and_saveexec_b32 s2, vcc_lo
	s_cbranch_execz .LBB51_16
; %bb.15:
	v_mul_f32_e32 v5, s4, v8
	flat_store_dword v[3:4], v5
.LBB51_16:
	s_or_b32 exec_lo, exec_lo, s2
	s_and_b32 exec_lo, exec_lo, s1
	s_cbranch_execz .LBB51_18
; %bb.17:
	v_mul_f32_e32 v5, s4, v7
	flat_store_dword v[3:4], v5 offset:64
.LBB51_18:
	s_or_b32 exec_lo, exec_lo, s10
	s_cbranch_execz .LBB51_21
.LBB51_19:
	s_endpgm
.LBB51_20:
.LBB51_21:
	s_and_saveexec_b32 s1, s0
	s_cbranch_execz .LBB51_19
; %bb.22:
	v_mul_lo_u32 v5, v2, s14
	v_mul_lo_u32 v6, v1, s15
	v_mad_u64_u32 v[3:4], null, v1, s14, 0
	v_mul_lo_u32 v13, v2, s8
	v_mul_lo_u32 v14, v1, s9
	v_mad_u64_u32 v[11:12], null, v1, s8, 0
	s_lshl_b64 s[0:1], s[16:17], 2
	v_add3_u32 v4, v4, v6, v5
	v_add_co_u32 v5, s2, s6, v0
	v_add_co_ci_u32_e64 v6, null, s7, 0, s2
	v_add3_u32 v12, v12, v14, v13
	v_lshlrev_b64 v[3:4], 2, v[3:4]
	s_add_u32 s0, s12, s0
	s_addc_u32 s1, s13, s1
	v_cmp_gt_i64_e32 vcc_lo, s[28:29], v[5:6]
	v_lshlrev_b64 v[12:13], 2, v[11:12]
	v_add_co_u32 v0, s0, s0, v3
	v_add_co_ci_u32_e64 v11, null, s1, v4, s0
	v_add_co_u32 v12, s0, s5, v12
	v_lshlrev_b64 v[3:4], 2, v[5:6]
	v_add_co_ci_u32_e64 v13, null, s3, v13, s0
	s_and_saveexec_b32 s1, vcc_lo
	s_cbranch_execz .LBB51_24
; %bb.23:
	v_add_co_u32 v14, s0, v0, v3
	v_add_co_ci_u32_e64 v15, null, v11, v4, s0
	flat_load_dword v14, v[14:15]
	s_waitcnt vmcnt(0) lgkmcnt(0)
	v_mul_f32_e32 v16, s20, v14
	v_add_co_u32 v14, s0, v12, v3
	v_add_co_ci_u32_e64 v15, null, v13, v4, s0
	v_fmac_f32_e32 v16, s4, v10
	flat_store_dword v[14:15], v16
.LBB51_24:
	s_or_b32 exec_lo, exec_lo, s1
	v_add_co_u32 v5, s0, v5, 16
	v_add_co_ci_u32_e64 v6, null, 0, v6, s0
	v_cmp_gt_i64_e64 s0, s[28:29], v[5:6]
	s_and_saveexec_b32 s2, s0
	s_cbranch_execz .LBB51_26
; %bb.25:
	v_add_co_u32 v5, s1, v0, v3
	v_add_co_ci_u32_e64 v6, null, v11, v4, s1
	flat_load_dword v5, v[5:6] offset:64
	s_waitcnt vmcnt(0) lgkmcnt(0)
	v_mul_f32_e32 v10, s20, v5
	v_add_co_u32 v5, s1, v12, v3
	v_add_co_ci_u32_e64 v6, null, v13, v4, s1
	v_fmac_f32_e32 v10, s4, v9
	flat_store_dword v[5:6], v10 offset:64
.LBB51_26:
	s_or_b32 exec_lo, exec_lo, s2
	v_add_co_u32 v1, s1, v1, 16
	v_add_co_ci_u32_e64 v2, null, 0, v2, s1
	v_cmp_gt_i64_e64 s1, s[30:31], v[1:2]
	s_and_b32 exec_lo, exec_lo, s1
	s_cbranch_execz .LBB51_19
; %bb.27:
	s_lshl_b64 s[2:3], s[14:15], 6
	v_add_co_u32 v0, s1, v0, s2
	v_add_co_ci_u32_e64 v1, null, s3, v11, s1
	s_lshl_b64 s[2:3], s[8:9], 6
	v_add_co_u32 v2, s1, v12, s2
	v_add_co_ci_u32_e64 v5, null, s3, v13, s1
	v_add_co_u32 v0, s1, v0, v3
	v_add_co_ci_u32_e64 v1, null, v1, v4, s1
	;; [unrolled: 2-line block ×3, first 2 shown]
	s_and_saveexec_b32 s1, vcc_lo
	s_cbranch_execz .LBB51_29
; %bb.28:
	flat_load_dword v4, v[0:1]
	s_waitcnt vmcnt(0) lgkmcnt(0)
	v_mul_f32_e32 v4, s20, v4
	v_fmac_f32_e32 v4, s4, v8
	flat_store_dword v[2:3], v4
.LBB51_29:
	s_or_b32 exec_lo, exec_lo, s1
	s_and_b32 exec_lo, exec_lo, s0
	s_cbranch_execz .LBB51_19
; %bb.30:
	flat_load_dword v0, v[0:1] offset:64
	s_waitcnt vmcnt(0) lgkmcnt(0)
	v_mul_f32_e32 v0, s20, v0
	v_fmac_f32_e32 v0, s4, v7
	flat_store_dword v[2:3], v0 offset:64
	s_endpgm
	.section	.rodata,"a",@progbits
	.p2align	6, 0x0
	.amdhsa_kernel _ZN12_GLOBAL__N_135rocblas_gemm_batched_general_kernelIfLi16ELi16ELi32ELi32ELi8ELi32ELi8ELi8ELi32ELc67ELc67EKPKfS3_KPfEEvlllT_PT11_llS8_llS6_PT12_llPT13_lli
		.amdhsa_group_segment_fixed_size 2048
		.amdhsa_private_segment_fixed_size 0
		.amdhsa_kernarg_size 140
		.amdhsa_user_sgpr_count 6
		.amdhsa_user_sgpr_private_segment_buffer 1
		.amdhsa_user_sgpr_dispatch_ptr 0
		.amdhsa_user_sgpr_queue_ptr 0
		.amdhsa_user_sgpr_kernarg_segment_ptr 1
		.amdhsa_user_sgpr_dispatch_id 0
		.amdhsa_user_sgpr_flat_scratch_init 0
		.amdhsa_user_sgpr_private_segment_size 0
		.amdhsa_wavefront_size32 1
		.amdhsa_uses_dynamic_stack 0
		.amdhsa_system_sgpr_private_segment_wavefront_offset 0
		.amdhsa_system_sgpr_workgroup_id_x 1
		.amdhsa_system_sgpr_workgroup_id_y 1
		.amdhsa_system_sgpr_workgroup_id_z 1
		.amdhsa_system_sgpr_workgroup_info 0
		.amdhsa_system_vgpr_workitem_id 1
		.amdhsa_next_free_vgpr 44
		.amdhsa_next_free_sgpr 44
		.amdhsa_reserve_vcc 1
		.amdhsa_reserve_flat_scratch 0
		.amdhsa_float_round_mode_32 0
		.amdhsa_float_round_mode_16_64 0
		.amdhsa_float_denorm_mode_32 3
		.amdhsa_float_denorm_mode_16_64 3
		.amdhsa_dx10_clamp 1
		.amdhsa_ieee_mode 1
		.amdhsa_fp16_overflow 0
		.amdhsa_workgroup_processor_mode 1
		.amdhsa_memory_ordered 1
		.amdhsa_forward_progress 1
		.amdhsa_shared_vgpr_count 0
		.amdhsa_exception_fp_ieee_invalid_op 0
		.amdhsa_exception_fp_denorm_src 0
		.amdhsa_exception_fp_ieee_div_zero 0
		.amdhsa_exception_fp_ieee_overflow 0
		.amdhsa_exception_fp_ieee_underflow 0
		.amdhsa_exception_fp_ieee_inexact 0
		.amdhsa_exception_int_div_zero 0
	.end_amdhsa_kernel
	.section	.text._ZN12_GLOBAL__N_135rocblas_gemm_batched_general_kernelIfLi16ELi16ELi32ELi32ELi8ELi32ELi8ELi8ELi32ELc67ELc67EKPKfS3_KPfEEvlllT_PT11_llS8_llS6_PT12_llPT13_lli,"axG",@progbits,_ZN12_GLOBAL__N_135rocblas_gemm_batched_general_kernelIfLi16ELi16ELi32ELi32ELi8ELi32ELi8ELi8ELi32ELc67ELc67EKPKfS3_KPfEEvlllT_PT11_llS8_llS6_PT12_llPT13_lli,comdat
.Lfunc_end51:
	.size	_ZN12_GLOBAL__N_135rocblas_gemm_batched_general_kernelIfLi16ELi16ELi32ELi32ELi8ELi32ELi8ELi8ELi32ELc67ELc67EKPKfS3_KPfEEvlllT_PT11_llS8_llS6_PT12_llPT13_lli, .Lfunc_end51-_ZN12_GLOBAL__N_135rocblas_gemm_batched_general_kernelIfLi16ELi16ELi32ELi32ELi8ELi32ELi8ELi8ELi32ELc67ELc67EKPKfS3_KPfEEvlllT_PT11_llS8_llS6_PT12_llPT13_lli
                                        ; -- End function
	.set _ZN12_GLOBAL__N_135rocblas_gemm_batched_general_kernelIfLi16ELi16ELi32ELi32ELi8ELi32ELi8ELi8ELi32ELc67ELc67EKPKfS3_KPfEEvlllT_PT11_llS8_llS6_PT12_llPT13_lli.num_vgpr, 44
	.set _ZN12_GLOBAL__N_135rocblas_gemm_batched_general_kernelIfLi16ELi16ELi32ELi32ELi8ELi32ELi8ELi8ELi32ELc67ELc67EKPKfS3_KPfEEvlllT_PT11_llS8_llS6_PT12_llPT13_lli.num_agpr, 0
	.set _ZN12_GLOBAL__N_135rocblas_gemm_batched_general_kernelIfLi16ELi16ELi32ELi32ELi8ELi32ELi8ELi8ELi32ELc67ELc67EKPKfS3_KPfEEvlllT_PT11_llS8_llS6_PT12_llPT13_lli.numbered_sgpr, 44
	.set _ZN12_GLOBAL__N_135rocblas_gemm_batched_general_kernelIfLi16ELi16ELi32ELi32ELi8ELi32ELi8ELi8ELi32ELc67ELc67EKPKfS3_KPfEEvlllT_PT11_llS8_llS6_PT12_llPT13_lli.num_named_barrier, 0
	.set _ZN12_GLOBAL__N_135rocblas_gemm_batched_general_kernelIfLi16ELi16ELi32ELi32ELi8ELi32ELi8ELi8ELi32ELc67ELc67EKPKfS3_KPfEEvlllT_PT11_llS8_llS6_PT12_llPT13_lli.private_seg_size, 0
	.set _ZN12_GLOBAL__N_135rocblas_gemm_batched_general_kernelIfLi16ELi16ELi32ELi32ELi8ELi32ELi8ELi8ELi32ELc67ELc67EKPKfS3_KPfEEvlllT_PT11_llS8_llS6_PT12_llPT13_lli.uses_vcc, 1
	.set _ZN12_GLOBAL__N_135rocblas_gemm_batched_general_kernelIfLi16ELi16ELi32ELi32ELi8ELi32ELi8ELi8ELi32ELc67ELc67EKPKfS3_KPfEEvlllT_PT11_llS8_llS6_PT12_llPT13_lli.uses_flat_scratch, 0
	.set _ZN12_GLOBAL__N_135rocblas_gemm_batched_general_kernelIfLi16ELi16ELi32ELi32ELi8ELi32ELi8ELi8ELi32ELc67ELc67EKPKfS3_KPfEEvlllT_PT11_llS8_llS6_PT12_llPT13_lli.has_dyn_sized_stack, 0
	.set _ZN12_GLOBAL__N_135rocblas_gemm_batched_general_kernelIfLi16ELi16ELi32ELi32ELi8ELi32ELi8ELi8ELi32ELc67ELc67EKPKfS3_KPfEEvlllT_PT11_llS8_llS6_PT12_llPT13_lli.has_recursion, 0
	.set _ZN12_GLOBAL__N_135rocblas_gemm_batched_general_kernelIfLi16ELi16ELi32ELi32ELi8ELi32ELi8ELi8ELi32ELc67ELc67EKPKfS3_KPfEEvlllT_PT11_llS8_llS6_PT12_llPT13_lli.has_indirect_call, 0
	.section	.AMDGPU.csdata,"",@progbits
; Kernel info:
; codeLenInByte = 1908
; TotalNumSgprs: 46
; NumVgprs: 44
; ScratchSize: 0
; MemoryBound: 0
; FloatMode: 240
; IeeeMode: 1
; LDSByteSize: 2048 bytes/workgroup (compile time only)
; SGPRBlocks: 0
; VGPRBlocks: 5
; NumSGPRsForWavesPerEU: 46
; NumVGPRsForWavesPerEU: 44
; Occupancy: 16
; WaveLimiterHint : 1
; COMPUTE_PGM_RSRC2:SCRATCH_EN: 0
; COMPUTE_PGM_RSRC2:USER_SGPR: 6
; COMPUTE_PGM_RSRC2:TRAP_HANDLER: 0
; COMPUTE_PGM_RSRC2:TGID_X_EN: 1
; COMPUTE_PGM_RSRC2:TGID_Y_EN: 1
; COMPUTE_PGM_RSRC2:TGID_Z_EN: 1
; COMPUTE_PGM_RSRC2:TIDIG_COMP_CNT: 1
	.section	.text._ZN12_GLOBAL__N_135rocblas_gemm_batched_general_kernelIfLi16ELi16ELi32ELi32ELi8ELi32ELi8ELi8ELi32ELc67ELc78EKPKfS3_KPfEEvlllT_PT11_llS8_llS6_PT12_llPT13_lli,"axG",@progbits,_ZN12_GLOBAL__N_135rocblas_gemm_batched_general_kernelIfLi16ELi16ELi32ELi32ELi8ELi32ELi8ELi8ELi32ELc67ELc78EKPKfS3_KPfEEvlllT_PT11_llS8_llS6_PT12_llPT13_lli,comdat
	.globl	_ZN12_GLOBAL__N_135rocblas_gemm_batched_general_kernelIfLi16ELi16ELi32ELi32ELi8ELi32ELi8ELi8ELi32ELc67ELc78EKPKfS3_KPfEEvlllT_PT11_llS8_llS6_PT12_llPT13_lli ; -- Begin function _ZN12_GLOBAL__N_135rocblas_gemm_batched_general_kernelIfLi16ELi16ELi32ELi32ELi8ELi32ELi8ELi8ELi32ELc67ELc78EKPKfS3_KPfEEvlllT_PT11_llS8_llS6_PT12_llPT13_lli
	.p2align	8
	.type	_ZN12_GLOBAL__N_135rocblas_gemm_batched_general_kernelIfLi16ELi16ELi32ELi32ELi8ELi32ELi8ELi8ELi32ELc67ELc78EKPKfS3_KPfEEvlllT_PT11_llS8_llS6_PT12_llPT13_lli,@function
_ZN12_GLOBAL__N_135rocblas_gemm_batched_general_kernelIfLi16ELi16ELi32ELi32ELi8ELi32ELi8ELi8ELi32ELc67ELc78EKPKfS3_KPfEEvlllT_PT11_llS8_llS6_PT12_llPT13_lli: ; @_ZN12_GLOBAL__N_135rocblas_gemm_batched_general_kernelIfLi16ELi16ELi32ELi32ELi8ELi32ELi8ELi8ELi32ELc67ELc78EKPKfS3_KPfEEvlllT_PT11_llS8_llS6_PT12_llPT13_lli
; %bb.0:
	s_clause 0x1
	s_load_dwordx8 s[12:19], s[4:5], 0x58
	s_load_dwordx2 s[34:35], s[4:5], 0x10
	s_mov_b32 s9, 0
	s_load_dwordx4 s[28:31], s[4:5], 0x0
	s_lshl_b64 s[38:39], s[8:9], 3
	s_load_dwordx4 s[8:11], s[4:5], 0x78
	s_mov_b32 s0, s7
	v_mov_b32_e32 v10, 0
	v_mov_b32_e32 v9, 0
	;; [unrolled: 1-line block ×4, first 2 shown]
	s_waitcnt lgkmcnt(0)
	s_add_u32 s2, s12, s38
	s_addc_u32 s3, s13, s39
	s_add_u32 s18, s18, s38
	s_addc_u32 s19, s19, s39
	s_load_dwordx2 s[12:13], s[2:3], 0x0
	s_load_dwordx2 s[18:19], s[18:19], 0x0
	v_cmp_lt_i64_e64 s2, s[34:35], 1
	s_ashr_i32 s7, s6, 31
	s_ashr_i32 s1, s0, 31
	s_lshl_b64 s[6:7], s[6:7], 5
	s_lshl_b64 s[36:37], s[0:1], 5
	s_and_b32 vcc_lo, exec_lo, s2
	s_cbranch_vccnz .LBB52_7
; %bb.1:
	s_clause 0x1
	s_load_dwordx8 s[20:27], s[4:5], 0x20
	s_load_dwordx4 s[0:3], s[4:5], 0x40
	v_lshl_add_u32 v2, v1, 4, v0
	v_mov_b32_e32 v3, s7
	v_and_b32_e32 v6, 7, v0
	v_mov_b32_e32 v7, 0
	v_lshrrev_b32_e32 v10, 3, v2
	v_and_b32_e32 v8, 31, v2
	v_lshrrev_b32_e32 v11, 5, v2
	v_lshlrev_b32_e32 v18, 2, v6
	v_add_co_u32 v4, s33, v10, s36
	v_add_co_ci_u32_e64 v5, null, 0, s37, s33
	v_or_b32_e32 v2, s6, v8
	v_lshlrev_b32_e32 v12, 2, v8
	v_lshl_or_b32 v10, v10, 5, v18
	s_waitcnt lgkmcnt(0)
	s_add_u32 s26, s26, s38
	v_mul_lo_u32 v13, s1, v4
	v_add_co_u32 v14, s1, s6, v8
	v_add_co_ci_u32_e64 v15, null, s7, 0, s1
	v_mul_lo_u32 v19, s0, v5
	v_mad_u64_u32 v[8:9], null, s0, v4, 0
	v_mul_lo_u32 v20, s23, v14
	v_mul_lo_u32 v15, s22, v15
	v_mad_u64_u32 v[16:17], null, s22, v14, 0
	s_addc_u32 s27, s27, s39
	s_add_u32 s20, s20, s38
	v_add3_u32 v9, v9, v19, v13
	s_load_dwordx2 s[26:27], s[26:27], 0x0
	s_addc_u32 s21, s21, s39
	v_cmp_gt_i64_e64 s0, s[28:29], v[2:3]
	v_add3_u32 v17, v17, v15, v20
	s_load_dwordx2 s[20:21], s[20:21], 0x0
	v_lshlrev_b64 v[2:3], 2, v[8:9]
	v_cmp_gt_i64_e64 s1, s[30:31], v[4:5]
	s_lshl_b64 s[2:3], s[2:3], 2
	v_lshlrev_b64 v[4:5], 2, v[16:17]
	v_lshlrev_b32_e32 v8, 2, v11
	v_lshl_or_b32 v12, v11, 7, v12
	v_add_co_u32 v2, vcc_lo, v2, s2
	v_add_co_ci_u32_e64 v3, null, s3, v3, vcc_lo
	s_lshl_b64 s[2:3], s[24:25], 2
	v_add_nc_u32_e32 v13, 0x400, v10
	v_add_co_u32 v4, vcc_lo, v4, s2
	v_add_co_ci_u32_e64 v5, null, s3, v5, vcc_lo
	v_add_co_u32 v2, vcc_lo, v2, v18
	v_add_co_ci_u32_e64 v3, null, 0, v3, vcc_lo
	;; [unrolled: 2-line block ×3, first 2 shown]
	s_waitcnt lgkmcnt(0)
	v_add_co_u32 v2, vcc_lo, s26, v2
	v_add_co_ci_u32_e64 v3, null, s27, v3, vcc_lo
	v_add_co_u32 v4, vcc_lo, s20, v4
	v_lshlrev_b32_e32 v14, 2, v0
	v_lshl_add_u32 v15, v1, 5, 0x400
	v_add_co_ci_u32_e64 v5, null, s21, v5, vcc_lo
	v_mov_b32_e32 v8, 0
	v_mov_b32_e32 v9, 0
	;; [unrolled: 1-line block ×3, first 2 shown]
	s_mov_b64 s[2:3], 0
	s_branch .LBB52_3
.LBB52_2:                               ;   in Loop: Header=BB52_3 Depth=1
	s_or_b32 exec_lo, exec_lo, s20
	s_waitcnt vmcnt(0) lgkmcnt(0)
	ds_write_b32 v13, v17
	s_waitcnt lgkmcnt(0)
	s_barrier
	buffer_gl0_inv
	ds_read_b128 v[16:19], v15
	ds_read2_b32 v[32:33], v14 offset1:16
	ds_read_b128 v[20:23], v15 offset:512
	ds_read2_b32 v[34:35], v14 offset0:32 offset1:48
	ds_read2_b32 v[36:37], v14 offset0:64 offset1:80
	;; [unrolled: 1-line block ×3, first 2 shown]
	ds_read_b128 v[24:27], v15 offset:16
	ds_read2_b32 v[40:41], v14 offset0:128 offset1:144
	ds_read_b128 v[28:31], v15 offset:528
	ds_read2_b32 v[42:43], v14 offset0:160 offset1:176
	s_add_u32 s2, s2, 8
	s_addc_u32 s3, s3, 0
	v_add_co_u32 v2, vcc_lo, v2, 32
	v_cmp_lt_i64_e64 s20, s[2:3], s[34:35]
	v_add_co_ci_u32_e64 v3, null, 0, v3, vcc_lo
	v_add_co_u32 v4, vcc_lo, v4, 32
	v_add_co_ci_u32_e64 v5, null, 0, v5, vcc_lo
	s_waitcnt lgkmcnt(8)
	v_fmac_f32_e32 v10, v32, v16
	v_fmac_f32_e32 v9, v33, v16
	s_waitcnt lgkmcnt(7)
	v_fmac_f32_e32 v8, v32, v20
	v_fmac_f32_e32 v7, v33, v20
	ds_read2_b32 v[32:33], v14 offset0:192 offset1:208
	s_waitcnt lgkmcnt(7)
	v_fmac_f32_e32 v10, v34, v17
	v_fmac_f32_e32 v9, v35, v17
	;; [unrolled: 1-line block ×4, first 2 shown]
	ds_read2_b32 v[16:17], v14 offset0:224 offset1:240
	s_waitcnt lgkmcnt(7)
	v_fmac_f32_e32 v10, v36, v18
	v_fmac_f32_e32 v9, v37, v18
	;; [unrolled: 1-line block ×4, first 2 shown]
	s_and_b32 vcc_lo, exec_lo, s20
	s_waitcnt lgkmcnt(6)
	v_fmac_f32_e32 v10, v38, v19
	v_fmac_f32_e32 v9, v39, v19
	;; [unrolled: 1-line block ×4, first 2 shown]
	s_waitcnt lgkmcnt(0)
	v_fmac_f32_e32 v10, v40, v24
	v_fmac_f32_e32 v9, v41, v24
	;; [unrolled: 1-line block ×4, first 2 shown]
	s_barrier
	v_fmac_f32_e32 v10, v42, v25
	v_fmac_f32_e32 v9, v43, v25
	;; [unrolled: 1-line block ×4, first 2 shown]
	buffer_gl0_inv
	v_fmac_f32_e32 v10, v32, v26
	v_fmac_f32_e32 v9, v33, v26
	;; [unrolled: 1-line block ×8, first 2 shown]
	s_cbranch_vccz .LBB52_7
.LBB52_3:                               ; =>This Inner Loop Header: Depth=1
	v_add_co_u32 v16, s20, v11, s2
	v_add_co_ci_u32_e64 v17, null, 0, s3, s20
	v_cmp_gt_i64_e32 vcc_lo, s[34:35], v[16:17]
	v_mov_b32_e32 v16, 0
	s_and_b32 s21, s0, vcc_lo
	s_and_saveexec_b32 s20, s21
	s_cbranch_execz .LBB52_5
; %bb.4:                                ;   in Loop: Header=BB52_3 Depth=1
	flat_load_dword v16, v[4:5]
.LBB52_5:                               ;   in Loop: Header=BB52_3 Depth=1
	s_or_b32 exec_lo, exec_lo, s20
	v_add_co_u32 v17, s20, v6, s2
	v_add_co_ci_u32_e64 v18, null, 0, s3, s20
	s_waitcnt vmcnt(0) lgkmcnt(0)
	ds_write_b32 v12, v16
	v_cmp_gt_i64_e32 vcc_lo, s[34:35], v[17:18]
	v_mov_b32_e32 v17, 0
	s_and_b32 s21, vcc_lo, s1
	s_and_saveexec_b32 s20, s21
	s_cbranch_execz .LBB52_2
; %bb.6:                                ;   in Loop: Header=BB52_3 Depth=1
	flat_load_dword v17, v[2:3]
	s_branch .LBB52_2
.LBB52_7:
	s_clause 0x1
	s_load_dword s20, s[4:5], 0x50
	s_load_dword s3, s[4:5], 0x18
	v_add_co_u32 v1, s2, s36, v1
	v_add_co_ci_u32_e64 v2, null, s37, 0, s2
	s_lshl_b64 s[0:1], s[10:11], 2
	s_waitcnt lgkmcnt(0)
	s_add_u32 s4, s18, s0
	v_cmp_gt_i64_e64 s0, s[30:31], v[1:2]
	s_addc_u32 s5, s19, s1
	v_cmp_neq_f32_e64 s2, s20, 0
	s_and_b32 vcc_lo, exec_lo, s2
	s_cbranch_vccnz .LBB52_20
; %bb.8:
	s_and_saveexec_b32 s10, s0
	s_cbranch_execz .LBB52_18
; %bb.9:
	v_mul_lo_u32 v5, v2, s8
	v_mul_lo_u32 v6, v1, s9
	v_mad_u64_u32 v[3:4], null, v1, s8, 0
	v_add3_u32 v4, v4, v6, v5
	v_add_co_u32 v5, s1, s6, v0
	v_add_co_ci_u32_e64 v6, null, s7, 0, s1
	v_lshlrev_b64 v[11:12], 2, v[3:4]
	v_cmp_gt_i64_e32 vcc_lo, s[28:29], v[5:6]
	v_lshlrev_b64 v[3:4], 2, v[5:6]
	v_add_co_u32 v11, s1, s4, v11
	v_add_co_ci_u32_e64 v12, null, s5, v12, s1
	s_and_saveexec_b32 s2, vcc_lo
	s_cbranch_execz .LBB52_11
; %bb.10:
	v_add_co_u32 v13, s1, v11, v3
	v_add_co_ci_u32_e64 v14, null, v12, v4, s1
	v_mul_f32_e32 v15, s3, v10
	flat_store_dword v[13:14], v15
.LBB52_11:
	s_or_b32 exec_lo, exec_lo, s2
	v_add_co_u32 v5, s1, v5, 16
	v_add_co_ci_u32_e64 v6, null, 0, v6, s1
	v_cmp_gt_i64_e64 s1, s[28:29], v[5:6]
	s_and_saveexec_b32 s11, s1
	s_cbranch_execz .LBB52_13
; %bb.12:
	v_add_co_u32 v5, s2, v11, v3
	v_add_co_ci_u32_e64 v6, null, v12, v4, s2
	v_mul_f32_e32 v13, s3, v9
	flat_store_dword v[5:6], v13 offset:64
.LBB52_13:
	s_or_b32 exec_lo, exec_lo, s11
	v_add_co_u32 v5, s2, v1, 16
	v_add_co_ci_u32_e64 v6, null, 0, v2, s2
	v_cmp_gt_i64_e64 s2, s[30:31], v[5:6]
	s_and_b32 exec_lo, exec_lo, s2
	s_cbranch_execz .LBB52_18
; %bb.14:
	s_lshl_b64 s[18:19], s[8:9], 6
	v_add_co_u32 v5, s2, v11, s18
	v_add_co_ci_u32_e64 v6, null, s19, v12, s2
	v_add_co_u32 v3, s2, v5, v3
	v_add_co_ci_u32_e64 v4, null, v6, v4, s2
	s_and_saveexec_b32 s2, vcc_lo
	s_cbranch_execz .LBB52_16
; %bb.15:
	v_mul_f32_e32 v5, s3, v8
	flat_store_dword v[3:4], v5
.LBB52_16:
	s_or_b32 exec_lo, exec_lo, s2
	s_and_b32 exec_lo, exec_lo, s1
	s_cbranch_execz .LBB52_18
; %bb.17:
	v_mul_f32_e32 v5, s3, v7
	flat_store_dword v[3:4], v5 offset:64
.LBB52_18:
	s_or_b32 exec_lo, exec_lo, s10
	s_cbranch_execz .LBB52_21
.LBB52_19:
	s_endpgm
.LBB52_20:
.LBB52_21:
	s_and_saveexec_b32 s1, s0
	s_cbranch_execz .LBB52_19
; %bb.22:
	v_mul_lo_u32 v5, v2, s14
	v_mul_lo_u32 v6, v1, s15
	v_mad_u64_u32 v[3:4], null, v1, s14, 0
	v_mul_lo_u32 v13, v2, s8
	v_mul_lo_u32 v14, v1, s9
	v_mad_u64_u32 v[11:12], null, v1, s8, 0
	s_lshl_b64 s[0:1], s[16:17], 2
	v_add3_u32 v4, v4, v6, v5
	v_add_co_u32 v5, s2, s6, v0
	v_add_co_ci_u32_e64 v6, null, s7, 0, s2
	v_add3_u32 v12, v12, v14, v13
	v_lshlrev_b64 v[3:4], 2, v[3:4]
	s_add_u32 s0, s12, s0
	s_addc_u32 s1, s13, s1
	v_cmp_gt_i64_e32 vcc_lo, s[28:29], v[5:6]
	v_lshlrev_b64 v[12:13], 2, v[11:12]
	v_add_co_u32 v0, s0, s0, v3
	v_add_co_ci_u32_e64 v11, null, s1, v4, s0
	v_add_co_u32 v12, s0, s4, v12
	v_lshlrev_b64 v[3:4], 2, v[5:6]
	v_add_co_ci_u32_e64 v13, null, s5, v13, s0
	s_and_saveexec_b32 s1, vcc_lo
	s_cbranch_execz .LBB52_24
; %bb.23:
	v_add_co_u32 v14, s0, v0, v3
	v_add_co_ci_u32_e64 v15, null, v11, v4, s0
	flat_load_dword v14, v[14:15]
	s_waitcnt vmcnt(0) lgkmcnt(0)
	v_mul_f32_e32 v16, s20, v14
	v_add_co_u32 v14, s0, v12, v3
	v_add_co_ci_u32_e64 v15, null, v13, v4, s0
	v_fmac_f32_e32 v16, s3, v10
	flat_store_dword v[14:15], v16
.LBB52_24:
	s_or_b32 exec_lo, exec_lo, s1
	v_add_co_u32 v5, s0, v5, 16
	v_add_co_ci_u32_e64 v6, null, 0, v6, s0
	v_cmp_gt_i64_e64 s0, s[28:29], v[5:6]
	s_and_saveexec_b32 s2, s0
	s_cbranch_execz .LBB52_26
; %bb.25:
	v_add_co_u32 v5, s1, v0, v3
	v_add_co_ci_u32_e64 v6, null, v11, v4, s1
	flat_load_dword v5, v[5:6] offset:64
	s_waitcnt vmcnt(0) lgkmcnt(0)
	v_mul_f32_e32 v10, s20, v5
	v_add_co_u32 v5, s1, v12, v3
	v_add_co_ci_u32_e64 v6, null, v13, v4, s1
	v_fmac_f32_e32 v10, s3, v9
	flat_store_dword v[5:6], v10 offset:64
.LBB52_26:
	s_or_b32 exec_lo, exec_lo, s2
	v_add_co_u32 v1, s1, v1, 16
	v_add_co_ci_u32_e64 v2, null, 0, v2, s1
	v_cmp_gt_i64_e64 s1, s[30:31], v[1:2]
	s_and_b32 exec_lo, exec_lo, s1
	s_cbranch_execz .LBB52_19
; %bb.27:
	s_lshl_b64 s[4:5], s[14:15], 6
	v_add_co_u32 v0, s1, v0, s4
	v_add_co_ci_u32_e64 v1, null, s5, v11, s1
	s_lshl_b64 s[4:5], s[8:9], 6
	v_add_co_u32 v2, s1, v12, s4
	v_add_co_ci_u32_e64 v5, null, s5, v13, s1
	v_add_co_u32 v0, s1, v0, v3
	v_add_co_ci_u32_e64 v1, null, v1, v4, s1
	;; [unrolled: 2-line block ×3, first 2 shown]
	s_and_saveexec_b32 s1, vcc_lo
	s_cbranch_execz .LBB52_29
; %bb.28:
	flat_load_dword v4, v[0:1]
	s_waitcnt vmcnt(0) lgkmcnt(0)
	v_mul_f32_e32 v4, s20, v4
	v_fmac_f32_e32 v4, s3, v8
	flat_store_dword v[2:3], v4
.LBB52_29:
	s_or_b32 exec_lo, exec_lo, s1
	s_and_b32 exec_lo, exec_lo, s0
	s_cbranch_execz .LBB52_19
; %bb.30:
	flat_load_dword v0, v[0:1] offset:64
	s_waitcnt vmcnt(0) lgkmcnt(0)
	v_mul_f32_e32 v0, s20, v0
	v_fmac_f32_e32 v0, s3, v7
	flat_store_dword v[2:3], v0 offset:64
	s_endpgm
	.section	.rodata,"a",@progbits
	.p2align	6, 0x0
	.amdhsa_kernel _ZN12_GLOBAL__N_135rocblas_gemm_batched_general_kernelIfLi16ELi16ELi32ELi32ELi8ELi32ELi8ELi8ELi32ELc67ELc78EKPKfS3_KPfEEvlllT_PT11_llS8_llS6_PT12_llPT13_lli
		.amdhsa_group_segment_fixed_size 2048
		.amdhsa_private_segment_fixed_size 0
		.amdhsa_kernarg_size 140
		.amdhsa_user_sgpr_count 6
		.amdhsa_user_sgpr_private_segment_buffer 1
		.amdhsa_user_sgpr_dispatch_ptr 0
		.amdhsa_user_sgpr_queue_ptr 0
		.amdhsa_user_sgpr_kernarg_segment_ptr 1
		.amdhsa_user_sgpr_dispatch_id 0
		.amdhsa_user_sgpr_flat_scratch_init 0
		.amdhsa_user_sgpr_private_segment_size 0
		.amdhsa_wavefront_size32 1
		.amdhsa_uses_dynamic_stack 0
		.amdhsa_system_sgpr_private_segment_wavefront_offset 0
		.amdhsa_system_sgpr_workgroup_id_x 1
		.amdhsa_system_sgpr_workgroup_id_y 1
		.amdhsa_system_sgpr_workgroup_id_z 1
		.amdhsa_system_sgpr_workgroup_info 0
		.amdhsa_system_vgpr_workitem_id 1
		.amdhsa_next_free_vgpr 44
		.amdhsa_next_free_sgpr 40
		.amdhsa_reserve_vcc 1
		.amdhsa_reserve_flat_scratch 0
		.amdhsa_float_round_mode_32 0
		.amdhsa_float_round_mode_16_64 0
		.amdhsa_float_denorm_mode_32 3
		.amdhsa_float_denorm_mode_16_64 3
		.amdhsa_dx10_clamp 1
		.amdhsa_ieee_mode 1
		.amdhsa_fp16_overflow 0
		.amdhsa_workgroup_processor_mode 1
		.amdhsa_memory_ordered 1
		.amdhsa_forward_progress 1
		.amdhsa_shared_vgpr_count 0
		.amdhsa_exception_fp_ieee_invalid_op 0
		.amdhsa_exception_fp_denorm_src 0
		.amdhsa_exception_fp_ieee_div_zero 0
		.amdhsa_exception_fp_ieee_overflow 0
		.amdhsa_exception_fp_ieee_underflow 0
		.amdhsa_exception_fp_ieee_inexact 0
		.amdhsa_exception_int_div_zero 0
	.end_amdhsa_kernel
	.section	.text._ZN12_GLOBAL__N_135rocblas_gemm_batched_general_kernelIfLi16ELi16ELi32ELi32ELi8ELi32ELi8ELi8ELi32ELc67ELc78EKPKfS3_KPfEEvlllT_PT11_llS8_llS6_PT12_llPT13_lli,"axG",@progbits,_ZN12_GLOBAL__N_135rocblas_gemm_batched_general_kernelIfLi16ELi16ELi32ELi32ELi8ELi32ELi8ELi8ELi32ELc67ELc78EKPKfS3_KPfEEvlllT_PT11_llS8_llS6_PT12_llPT13_lli,comdat
.Lfunc_end52:
	.size	_ZN12_GLOBAL__N_135rocblas_gemm_batched_general_kernelIfLi16ELi16ELi32ELi32ELi8ELi32ELi8ELi8ELi32ELc67ELc78EKPKfS3_KPfEEvlllT_PT11_llS8_llS6_PT12_llPT13_lli, .Lfunc_end52-_ZN12_GLOBAL__N_135rocblas_gemm_batched_general_kernelIfLi16ELi16ELi32ELi32ELi8ELi32ELi8ELi8ELi32ELc67ELc78EKPKfS3_KPfEEvlllT_PT11_llS8_llS6_PT12_llPT13_lli
                                        ; -- End function
	.set _ZN12_GLOBAL__N_135rocblas_gemm_batched_general_kernelIfLi16ELi16ELi32ELi32ELi8ELi32ELi8ELi8ELi32ELc67ELc78EKPKfS3_KPfEEvlllT_PT11_llS8_llS6_PT12_llPT13_lli.num_vgpr, 44
	.set _ZN12_GLOBAL__N_135rocblas_gemm_batched_general_kernelIfLi16ELi16ELi32ELi32ELi8ELi32ELi8ELi8ELi32ELc67ELc78EKPKfS3_KPfEEvlllT_PT11_llS8_llS6_PT12_llPT13_lli.num_agpr, 0
	.set _ZN12_GLOBAL__N_135rocblas_gemm_batched_general_kernelIfLi16ELi16ELi32ELi32ELi8ELi32ELi8ELi8ELi32ELc67ELc78EKPKfS3_KPfEEvlllT_PT11_llS8_llS6_PT12_llPT13_lli.numbered_sgpr, 40
	.set _ZN12_GLOBAL__N_135rocblas_gemm_batched_general_kernelIfLi16ELi16ELi32ELi32ELi8ELi32ELi8ELi8ELi32ELc67ELc78EKPKfS3_KPfEEvlllT_PT11_llS8_llS6_PT12_llPT13_lli.num_named_barrier, 0
	.set _ZN12_GLOBAL__N_135rocblas_gemm_batched_general_kernelIfLi16ELi16ELi32ELi32ELi8ELi32ELi8ELi8ELi32ELc67ELc78EKPKfS3_KPfEEvlllT_PT11_llS8_llS6_PT12_llPT13_lli.private_seg_size, 0
	.set _ZN12_GLOBAL__N_135rocblas_gemm_batched_general_kernelIfLi16ELi16ELi32ELi32ELi8ELi32ELi8ELi8ELi32ELc67ELc78EKPKfS3_KPfEEvlllT_PT11_llS8_llS6_PT12_llPT13_lli.uses_vcc, 1
	.set _ZN12_GLOBAL__N_135rocblas_gemm_batched_general_kernelIfLi16ELi16ELi32ELi32ELi8ELi32ELi8ELi8ELi32ELc67ELc78EKPKfS3_KPfEEvlllT_PT11_llS8_llS6_PT12_llPT13_lli.uses_flat_scratch, 0
	.set _ZN12_GLOBAL__N_135rocblas_gemm_batched_general_kernelIfLi16ELi16ELi32ELi32ELi8ELi32ELi8ELi8ELi32ELc67ELc78EKPKfS3_KPfEEvlllT_PT11_llS8_llS6_PT12_llPT13_lli.has_dyn_sized_stack, 0
	.set _ZN12_GLOBAL__N_135rocblas_gemm_batched_general_kernelIfLi16ELi16ELi32ELi32ELi8ELi32ELi8ELi8ELi32ELc67ELc78EKPKfS3_KPfEEvlllT_PT11_llS8_llS6_PT12_llPT13_lli.has_recursion, 0
	.set _ZN12_GLOBAL__N_135rocblas_gemm_batched_general_kernelIfLi16ELi16ELi32ELi32ELi8ELi32ELi8ELi8ELi32ELc67ELc78EKPKfS3_KPfEEvlllT_PT11_llS8_llS6_PT12_llPT13_lli.has_indirect_call, 0
	.section	.AMDGPU.csdata,"",@progbits
; Kernel info:
; codeLenInByte = 1896
; TotalNumSgprs: 42
; NumVgprs: 44
; ScratchSize: 0
; MemoryBound: 0
; FloatMode: 240
; IeeeMode: 1
; LDSByteSize: 2048 bytes/workgroup (compile time only)
; SGPRBlocks: 0
; VGPRBlocks: 5
; NumSGPRsForWavesPerEU: 42
; NumVGPRsForWavesPerEU: 44
; Occupancy: 16
; WaveLimiterHint : 1
; COMPUTE_PGM_RSRC2:SCRATCH_EN: 0
; COMPUTE_PGM_RSRC2:USER_SGPR: 6
; COMPUTE_PGM_RSRC2:TRAP_HANDLER: 0
; COMPUTE_PGM_RSRC2:TGID_X_EN: 1
; COMPUTE_PGM_RSRC2:TGID_Y_EN: 1
; COMPUTE_PGM_RSRC2:TGID_Z_EN: 1
; COMPUTE_PGM_RSRC2:TIDIG_COMP_CNT: 1
	.section	.text._ZN12_GLOBAL__N_135rocblas_gemm_batched_general_kernelIfLi16ELi16ELi32ELi32ELi8ELi32ELi8ELi8ELi32ELc67ELc84EKPKfS3_KPfEEvlllT_PT11_llS8_llS6_PT12_llPT13_lli,"axG",@progbits,_ZN12_GLOBAL__N_135rocblas_gemm_batched_general_kernelIfLi16ELi16ELi32ELi32ELi8ELi32ELi8ELi8ELi32ELc67ELc84EKPKfS3_KPfEEvlllT_PT11_llS8_llS6_PT12_llPT13_lli,comdat
	.globl	_ZN12_GLOBAL__N_135rocblas_gemm_batched_general_kernelIfLi16ELi16ELi32ELi32ELi8ELi32ELi8ELi8ELi32ELc67ELc84EKPKfS3_KPfEEvlllT_PT11_llS8_llS6_PT12_llPT13_lli ; -- Begin function _ZN12_GLOBAL__N_135rocblas_gemm_batched_general_kernelIfLi16ELi16ELi32ELi32ELi8ELi32ELi8ELi8ELi32ELc67ELc84EKPKfS3_KPfEEvlllT_PT11_llS8_llS6_PT12_llPT13_lli
	.p2align	8
	.type	_ZN12_GLOBAL__N_135rocblas_gemm_batched_general_kernelIfLi16ELi16ELi32ELi32ELi8ELi32ELi8ELi8ELi32ELc67ELc84EKPKfS3_KPfEEvlllT_PT11_llS8_llS6_PT12_llPT13_lli,@function
_ZN12_GLOBAL__N_135rocblas_gemm_batched_general_kernelIfLi16ELi16ELi32ELi32ELi8ELi32ELi8ELi8ELi32ELc67ELc84EKPKfS3_KPfEEvlllT_PT11_llS8_llS6_PT12_llPT13_lli: ; @_ZN12_GLOBAL__N_135rocblas_gemm_batched_general_kernelIfLi16ELi16ELi32ELi32ELi8ELi32ELi8ELi8ELi32ELc67ELc84EKPKfS3_KPfEEvlllT_PT11_llS8_llS6_PT12_llPT13_lli
; %bb.0:
	s_clause 0x1
	s_load_dwordx8 s[12:19], s[4:5], 0x58
	s_load_dwordx2 s[34:35], s[4:5], 0x10
	s_mov_b32 s9, 0
	s_load_dwordx4 s[28:31], s[4:5], 0x0
	s_lshl_b64 s[42:43], s[8:9], 3
	s_load_dwordx4 s[8:11], s[4:5], 0x78
	s_mov_b32 s40, s7
	v_mov_b32_e32 v10, 0
	v_mov_b32_e32 v9, 0
	;; [unrolled: 1-line block ×4, first 2 shown]
	s_waitcnt lgkmcnt(0)
	s_add_u32 s0, s12, s42
	s_addc_u32 s1, s13, s43
	s_add_u32 s2, s18, s42
	s_addc_u32 s3, s19, s43
	s_load_dwordx2 s[12:13], s[0:1], 0x0
	s_load_dwordx2 s[2:3], s[2:3], 0x0
	v_cmp_lt_i64_e64 s0, s[34:35], 1
	s_ashr_i32 s7, s6, 31
	s_ashr_i32 s41, s40, 31
	s_lshl_b64 s[6:7], s[6:7], 5
	s_lshl_b64 s[18:19], s[40:41], 5
	s_and_b32 vcc_lo, exec_lo, s0
	s_cbranch_vccnz .LBB53_7
; %bb.1:
	s_clause 0x1
	s_load_dwordx4 s[36:39], s[4:5], 0x40
	s_load_dwordx8 s[20:27], s[4:5], 0x20
	v_lshl_add_u32 v2, v1, 4, v0
	v_and_b32_e32 v6, 7, v0
	v_mov_b32_e32 v3, s7
	v_mov_b32_e32 v7, 0
	v_lshlrev_b32_e32 v11, 2, v0
	v_and_b32_e32 v14, 31, v2
	v_lshrrev_b32_e32 v10, 3, v2
	v_lshrrev_b32_e32 v13, 5, v2
	v_lshlrev_b32_e32 v15, 2, v6
	v_lshl_add_u32 v12, v1, 5, 0x400
	v_or_b32_e32 v2, s6, v14
	v_add_co_u32 v4, s0, v10, s18
	v_add_co_ci_u32_e64 v5, null, 0, s19, s0
	v_add_co_u32 v17, s0, s6, v14
	v_add_co_ci_u32_e64 v18, null, s7, 0, s0
	s_waitcnt lgkmcnt(0)
	v_mad_u64_u32 v[8:9], null, s36, v6, 0
	v_cmp_gt_i64_e64 s0, s[28:29], v[2:3]
	v_lshlrev_b32_e32 v16, 2, v14
	v_cmp_gt_i64_e64 s1, s[30:31], v[4:5]
	v_mul_lo_u32 v5, s23, v17
	s_add_u32 s26, s26, s42
	s_addc_u32 s27, s27, s43
	v_mov_b32_e32 v2, v9
	v_lshl_or_b32 v14, v13, 7, v16
	v_mul_lo_u32 v16, s22, v18
	s_add_u32 s20, s20, s42
	s_addc_u32 s21, s21, s43
	v_mad_u64_u32 v[2:3], null, s37, v6, v[2:3]
	v_mad_u64_u32 v[3:4], null, s22, v17, 0
	s_load_dwordx2 s[22:23], s[26:27], 0x0
	s_load_dwordx2 s[20:21], s[20:21], 0x0
	s_lshl_b64 s[26:27], s[40:41], 7
	s_lshl_b64 s[38:39], s[38:39], 2
	v_mov_b32_e32 v9, v2
	s_add_u32 s26, s38, s26
	v_add3_u32 v4, v4, v16, v5
	s_addc_u32 s27, s39, s27
	s_lshl_b64 s[24:25], s[24:25], 2
	v_lshlrev_b64 v[8:9], 2, v[8:9]
	v_lshl_or_b32 v15, v10, 5, v15
	v_lshlrev_b64 v[2:3], 2, v[3:4]
	v_add_nc_u32_e32 v15, 0x400, v15
	v_add_co_u32 v4, vcc_lo, s26, v8
	v_lshlrev_b32_e32 v8, 2, v10
	v_add_co_ci_u32_e64 v5, null, s27, v9, vcc_lo
	v_add_co_u32 v2, vcc_lo, v2, s24
	v_lshlrev_b32_e32 v9, 2, v13
	v_add_co_ci_u32_e64 v3, null, s25, v3, vcc_lo
	v_add_co_u32 v4, vcc_lo, v4, v8
	v_add_co_ci_u32_e64 v5, null, 0, v5, vcc_lo
	v_add_co_u32 v8, vcc_lo, v2, v9
	v_add_co_ci_u32_e64 v9, null, 0, v3, vcc_lo
	s_waitcnt lgkmcnt(0)
	v_add_co_u32 v2, vcc_lo, s22, v4
	v_add_co_ci_u32_e64 v3, null, s23, v5, vcc_lo
	v_add_co_u32 v4, vcc_lo, s20, v8
	v_add_co_ci_u32_e64 v5, null, s21, v9, vcc_lo
	v_mov_b32_e32 v8, 0
	v_mov_b32_e32 v9, 0
	v_mov_b32_e32 v10, 0
	s_lshl_b64 s[20:21], s[36:37], 5
	s_mov_b64 s[22:23], 0
	s_branch .LBB53_3
.LBB53_2:                               ;   in Loop: Header=BB53_3 Depth=1
	s_or_b32 exec_lo, exec_lo, s24
	s_waitcnt vmcnt(0) lgkmcnt(0)
	ds_write_b32 v15, v17
	s_waitcnt lgkmcnt(0)
	s_barrier
	buffer_gl0_inv
	ds_read_b128 v[16:19], v12
	ds_read2_b32 v[32:33], v11 offset1:16
	ds_read_b128 v[20:23], v12 offset:512
	ds_read2_b32 v[34:35], v11 offset0:32 offset1:48
	ds_read2_b32 v[36:37], v11 offset0:64 offset1:80
	;; [unrolled: 1-line block ×3, first 2 shown]
	ds_read_b128 v[24:27], v12 offset:16
	ds_read2_b32 v[40:41], v11 offset0:128 offset1:144
	ds_read_b128 v[28:31], v12 offset:528
	ds_read2_b32 v[42:43], v11 offset0:160 offset1:176
	s_add_u32 s22, s22, 8
	s_addc_u32 s23, s23, 0
	v_add_co_u32 v2, vcc_lo, v2, s20
	v_cmp_lt_i64_e64 s24, s[22:23], s[34:35]
	v_add_co_ci_u32_e64 v3, null, s21, v3, vcc_lo
	v_add_co_u32 v4, vcc_lo, v4, 32
	v_add_co_ci_u32_e64 v5, null, 0, v5, vcc_lo
	s_waitcnt lgkmcnt(8)
	v_fmac_f32_e32 v10, v32, v16
	v_fmac_f32_e32 v9, v33, v16
	s_waitcnt lgkmcnt(7)
	v_fmac_f32_e32 v8, v32, v20
	v_fmac_f32_e32 v7, v33, v20
	ds_read2_b32 v[32:33], v11 offset0:192 offset1:208
	s_waitcnt lgkmcnt(7)
	v_fmac_f32_e32 v10, v34, v17
	v_fmac_f32_e32 v9, v35, v17
	;; [unrolled: 1-line block ×4, first 2 shown]
	ds_read2_b32 v[16:17], v11 offset0:224 offset1:240
	s_waitcnt lgkmcnt(7)
	v_fmac_f32_e32 v10, v36, v18
	v_fmac_f32_e32 v9, v37, v18
	;; [unrolled: 1-line block ×4, first 2 shown]
	s_and_b32 vcc_lo, exec_lo, s24
	s_waitcnt lgkmcnt(6)
	v_fmac_f32_e32 v10, v38, v19
	v_fmac_f32_e32 v9, v39, v19
	;; [unrolled: 1-line block ×4, first 2 shown]
	s_waitcnt lgkmcnt(0)
	v_fmac_f32_e32 v10, v40, v24
	v_fmac_f32_e32 v9, v41, v24
	;; [unrolled: 1-line block ×4, first 2 shown]
	s_barrier
	v_fmac_f32_e32 v10, v42, v25
	v_fmac_f32_e32 v9, v43, v25
	;; [unrolled: 1-line block ×4, first 2 shown]
	buffer_gl0_inv
	v_fmac_f32_e32 v10, v32, v26
	v_fmac_f32_e32 v9, v33, v26
	;; [unrolled: 1-line block ×8, first 2 shown]
	s_cbranch_vccz .LBB53_7
.LBB53_3:                               ; =>This Inner Loop Header: Depth=1
	v_add_co_u32 v16, s24, v13, s22
	v_add_co_ci_u32_e64 v17, null, 0, s23, s24
	v_cmp_gt_i64_e32 vcc_lo, s[34:35], v[16:17]
	v_mov_b32_e32 v16, 0
	s_and_b32 s25, s0, vcc_lo
	s_and_saveexec_b32 s24, s25
	s_cbranch_execz .LBB53_5
; %bb.4:                                ;   in Loop: Header=BB53_3 Depth=1
	flat_load_dword v16, v[4:5]
.LBB53_5:                               ;   in Loop: Header=BB53_3 Depth=1
	s_or_b32 exec_lo, exec_lo, s24
	v_add_co_u32 v17, s24, v6, s22
	v_add_co_ci_u32_e64 v18, null, 0, s23, s24
	s_waitcnt vmcnt(0) lgkmcnt(0)
	ds_write_b32 v14, v16
	v_cmp_gt_i64_e32 vcc_lo, s[34:35], v[17:18]
	v_mov_b32_e32 v17, 0
	s_and_b32 s25, vcc_lo, s1
	s_and_saveexec_b32 s24, s25
	s_cbranch_execz .LBB53_2
; %bb.6:                                ;   in Loop: Header=BB53_3 Depth=1
	flat_load_dword v17, v[2:3]
	s_branch .LBB53_2
.LBB53_7:
	s_clause 0x1
	s_load_dword s20, s[4:5], 0x50
	s_load_dword s4, s[4:5], 0x18
	v_add_co_u32 v1, s5, s18, v1
	v_add_co_ci_u32_e64 v2, null, s19, 0, s5
	s_lshl_b64 s[0:1], s[10:11], 2
	s_waitcnt lgkmcnt(0)
	s_add_u32 s5, s2, s0
	v_cmp_gt_i64_e64 s0, s[30:31], v[1:2]
	s_addc_u32 s3, s3, s1
	v_cmp_neq_f32_e64 s10, s20, 0
	s_and_b32 vcc_lo, exec_lo, s10
	s_cbranch_vccnz .LBB53_20
; %bb.8:
	s_and_saveexec_b32 s10, s0
	s_cbranch_execz .LBB53_18
; %bb.9:
	v_mul_lo_u32 v5, v2, s8
	v_mul_lo_u32 v6, v1, s9
	v_mad_u64_u32 v[3:4], null, v1, s8, 0
	v_add3_u32 v4, v4, v6, v5
	v_add_co_u32 v5, s1, s6, v0
	v_add_co_ci_u32_e64 v6, null, s7, 0, s1
	v_lshlrev_b64 v[11:12], 2, v[3:4]
	v_cmp_gt_i64_e32 vcc_lo, s[28:29], v[5:6]
	v_lshlrev_b64 v[3:4], 2, v[5:6]
	v_add_co_u32 v11, s1, s5, v11
	v_add_co_ci_u32_e64 v12, null, s3, v12, s1
	s_and_saveexec_b32 s2, vcc_lo
	s_cbranch_execz .LBB53_11
; %bb.10:
	v_add_co_u32 v13, s1, v11, v3
	v_add_co_ci_u32_e64 v14, null, v12, v4, s1
	v_mul_f32_e32 v15, s4, v10
	flat_store_dword v[13:14], v15
.LBB53_11:
	s_or_b32 exec_lo, exec_lo, s2
	v_add_co_u32 v5, s1, v5, 16
	v_add_co_ci_u32_e64 v6, null, 0, v6, s1
	v_cmp_gt_i64_e64 s1, s[28:29], v[5:6]
	s_and_saveexec_b32 s11, s1
	s_cbranch_execz .LBB53_13
; %bb.12:
	v_add_co_u32 v5, s2, v11, v3
	v_add_co_ci_u32_e64 v6, null, v12, v4, s2
	v_mul_f32_e32 v13, s4, v9
	flat_store_dword v[5:6], v13 offset:64
.LBB53_13:
	s_or_b32 exec_lo, exec_lo, s11
	v_add_co_u32 v5, s2, v1, 16
	v_add_co_ci_u32_e64 v6, null, 0, v2, s2
	v_cmp_gt_i64_e64 s2, s[30:31], v[5:6]
	s_and_b32 exec_lo, exec_lo, s2
	s_cbranch_execz .LBB53_18
; %bb.14:
	s_lshl_b64 s[18:19], s[8:9], 6
	v_add_co_u32 v5, s2, v11, s18
	v_add_co_ci_u32_e64 v6, null, s19, v12, s2
	v_add_co_u32 v3, s2, v5, v3
	v_add_co_ci_u32_e64 v4, null, v6, v4, s2
	s_and_saveexec_b32 s2, vcc_lo
	s_cbranch_execz .LBB53_16
; %bb.15:
	v_mul_f32_e32 v5, s4, v8
	flat_store_dword v[3:4], v5
.LBB53_16:
	s_or_b32 exec_lo, exec_lo, s2
	s_and_b32 exec_lo, exec_lo, s1
	s_cbranch_execz .LBB53_18
; %bb.17:
	v_mul_f32_e32 v5, s4, v7
	flat_store_dword v[3:4], v5 offset:64
.LBB53_18:
	s_or_b32 exec_lo, exec_lo, s10
	s_cbranch_execz .LBB53_21
.LBB53_19:
	s_endpgm
.LBB53_20:
.LBB53_21:
	s_and_saveexec_b32 s1, s0
	s_cbranch_execz .LBB53_19
; %bb.22:
	v_mul_lo_u32 v5, v2, s14
	v_mul_lo_u32 v6, v1, s15
	v_mad_u64_u32 v[3:4], null, v1, s14, 0
	v_mul_lo_u32 v13, v2, s8
	v_mul_lo_u32 v14, v1, s9
	v_mad_u64_u32 v[11:12], null, v1, s8, 0
	s_lshl_b64 s[0:1], s[16:17], 2
	v_add3_u32 v4, v4, v6, v5
	v_add_co_u32 v5, s2, s6, v0
	v_add_co_ci_u32_e64 v6, null, s7, 0, s2
	v_add3_u32 v12, v12, v14, v13
	v_lshlrev_b64 v[3:4], 2, v[3:4]
	s_add_u32 s0, s12, s0
	s_addc_u32 s1, s13, s1
	v_cmp_gt_i64_e32 vcc_lo, s[28:29], v[5:6]
	v_lshlrev_b64 v[12:13], 2, v[11:12]
	v_add_co_u32 v0, s0, s0, v3
	v_add_co_ci_u32_e64 v11, null, s1, v4, s0
	v_add_co_u32 v12, s0, s5, v12
	v_lshlrev_b64 v[3:4], 2, v[5:6]
	v_add_co_ci_u32_e64 v13, null, s3, v13, s0
	s_and_saveexec_b32 s1, vcc_lo
	s_cbranch_execz .LBB53_24
; %bb.23:
	v_add_co_u32 v14, s0, v0, v3
	v_add_co_ci_u32_e64 v15, null, v11, v4, s0
	flat_load_dword v14, v[14:15]
	s_waitcnt vmcnt(0) lgkmcnt(0)
	v_mul_f32_e32 v16, s20, v14
	v_add_co_u32 v14, s0, v12, v3
	v_add_co_ci_u32_e64 v15, null, v13, v4, s0
	v_fmac_f32_e32 v16, s4, v10
	flat_store_dword v[14:15], v16
.LBB53_24:
	s_or_b32 exec_lo, exec_lo, s1
	v_add_co_u32 v5, s0, v5, 16
	v_add_co_ci_u32_e64 v6, null, 0, v6, s0
	v_cmp_gt_i64_e64 s0, s[28:29], v[5:6]
	s_and_saveexec_b32 s2, s0
	s_cbranch_execz .LBB53_26
; %bb.25:
	v_add_co_u32 v5, s1, v0, v3
	v_add_co_ci_u32_e64 v6, null, v11, v4, s1
	flat_load_dword v5, v[5:6] offset:64
	s_waitcnt vmcnt(0) lgkmcnt(0)
	v_mul_f32_e32 v10, s20, v5
	v_add_co_u32 v5, s1, v12, v3
	v_add_co_ci_u32_e64 v6, null, v13, v4, s1
	v_fmac_f32_e32 v10, s4, v9
	flat_store_dword v[5:6], v10 offset:64
.LBB53_26:
	s_or_b32 exec_lo, exec_lo, s2
	v_add_co_u32 v1, s1, v1, 16
	v_add_co_ci_u32_e64 v2, null, 0, v2, s1
	v_cmp_gt_i64_e64 s1, s[30:31], v[1:2]
	s_and_b32 exec_lo, exec_lo, s1
	s_cbranch_execz .LBB53_19
; %bb.27:
	s_lshl_b64 s[2:3], s[14:15], 6
	v_add_co_u32 v0, s1, v0, s2
	v_add_co_ci_u32_e64 v1, null, s3, v11, s1
	s_lshl_b64 s[2:3], s[8:9], 6
	v_add_co_u32 v2, s1, v12, s2
	v_add_co_ci_u32_e64 v5, null, s3, v13, s1
	v_add_co_u32 v0, s1, v0, v3
	v_add_co_ci_u32_e64 v1, null, v1, v4, s1
	v_add_co_u32 v2, s1, v2, v3
	v_add_co_ci_u32_e64 v3, null, v5, v4, s1
	s_and_saveexec_b32 s1, vcc_lo
	s_cbranch_execz .LBB53_29
; %bb.28:
	flat_load_dword v4, v[0:1]
	s_waitcnt vmcnt(0) lgkmcnt(0)
	v_mul_f32_e32 v4, s20, v4
	v_fmac_f32_e32 v4, s4, v8
	flat_store_dword v[2:3], v4
.LBB53_29:
	s_or_b32 exec_lo, exec_lo, s1
	s_and_b32 exec_lo, exec_lo, s0
	s_cbranch_execz .LBB53_19
; %bb.30:
	flat_load_dword v0, v[0:1] offset:64
	s_waitcnt vmcnt(0) lgkmcnt(0)
	v_mul_f32_e32 v0, s20, v0
	v_fmac_f32_e32 v0, s4, v7
	flat_store_dword v[2:3], v0 offset:64
	s_endpgm
	.section	.rodata,"a",@progbits
	.p2align	6, 0x0
	.amdhsa_kernel _ZN12_GLOBAL__N_135rocblas_gemm_batched_general_kernelIfLi16ELi16ELi32ELi32ELi8ELi32ELi8ELi8ELi32ELc67ELc84EKPKfS3_KPfEEvlllT_PT11_llS8_llS6_PT12_llPT13_lli
		.amdhsa_group_segment_fixed_size 2048
		.amdhsa_private_segment_fixed_size 0
		.amdhsa_kernarg_size 140
		.amdhsa_user_sgpr_count 6
		.amdhsa_user_sgpr_private_segment_buffer 1
		.amdhsa_user_sgpr_dispatch_ptr 0
		.amdhsa_user_sgpr_queue_ptr 0
		.amdhsa_user_sgpr_kernarg_segment_ptr 1
		.amdhsa_user_sgpr_dispatch_id 0
		.amdhsa_user_sgpr_flat_scratch_init 0
		.amdhsa_user_sgpr_private_segment_size 0
		.amdhsa_wavefront_size32 1
		.amdhsa_uses_dynamic_stack 0
		.amdhsa_system_sgpr_private_segment_wavefront_offset 0
		.amdhsa_system_sgpr_workgroup_id_x 1
		.amdhsa_system_sgpr_workgroup_id_y 1
		.amdhsa_system_sgpr_workgroup_id_z 1
		.amdhsa_system_sgpr_workgroup_info 0
		.amdhsa_system_vgpr_workitem_id 1
		.amdhsa_next_free_vgpr 44
		.amdhsa_next_free_sgpr 44
		.amdhsa_reserve_vcc 1
		.amdhsa_reserve_flat_scratch 0
		.amdhsa_float_round_mode_32 0
		.amdhsa_float_round_mode_16_64 0
		.amdhsa_float_denorm_mode_32 3
		.amdhsa_float_denorm_mode_16_64 3
		.amdhsa_dx10_clamp 1
		.amdhsa_ieee_mode 1
		.amdhsa_fp16_overflow 0
		.amdhsa_workgroup_processor_mode 1
		.amdhsa_memory_ordered 1
		.amdhsa_forward_progress 1
		.amdhsa_shared_vgpr_count 0
		.amdhsa_exception_fp_ieee_invalid_op 0
		.amdhsa_exception_fp_denorm_src 0
		.amdhsa_exception_fp_ieee_div_zero 0
		.amdhsa_exception_fp_ieee_overflow 0
		.amdhsa_exception_fp_ieee_underflow 0
		.amdhsa_exception_fp_ieee_inexact 0
		.amdhsa_exception_int_div_zero 0
	.end_amdhsa_kernel
	.section	.text._ZN12_GLOBAL__N_135rocblas_gemm_batched_general_kernelIfLi16ELi16ELi32ELi32ELi8ELi32ELi8ELi8ELi32ELc67ELc84EKPKfS3_KPfEEvlllT_PT11_llS8_llS6_PT12_llPT13_lli,"axG",@progbits,_ZN12_GLOBAL__N_135rocblas_gemm_batched_general_kernelIfLi16ELi16ELi32ELi32ELi8ELi32ELi8ELi8ELi32ELc67ELc84EKPKfS3_KPfEEvlllT_PT11_llS8_llS6_PT12_llPT13_lli,comdat
.Lfunc_end53:
	.size	_ZN12_GLOBAL__N_135rocblas_gemm_batched_general_kernelIfLi16ELi16ELi32ELi32ELi8ELi32ELi8ELi8ELi32ELc67ELc84EKPKfS3_KPfEEvlllT_PT11_llS8_llS6_PT12_llPT13_lli, .Lfunc_end53-_ZN12_GLOBAL__N_135rocblas_gemm_batched_general_kernelIfLi16ELi16ELi32ELi32ELi8ELi32ELi8ELi8ELi32ELc67ELc84EKPKfS3_KPfEEvlllT_PT11_llS8_llS6_PT12_llPT13_lli
                                        ; -- End function
	.set _ZN12_GLOBAL__N_135rocblas_gemm_batched_general_kernelIfLi16ELi16ELi32ELi32ELi8ELi32ELi8ELi8ELi32ELc67ELc84EKPKfS3_KPfEEvlllT_PT11_llS8_llS6_PT12_llPT13_lli.num_vgpr, 44
	.set _ZN12_GLOBAL__N_135rocblas_gemm_batched_general_kernelIfLi16ELi16ELi32ELi32ELi8ELi32ELi8ELi8ELi32ELc67ELc84EKPKfS3_KPfEEvlllT_PT11_llS8_llS6_PT12_llPT13_lli.num_agpr, 0
	.set _ZN12_GLOBAL__N_135rocblas_gemm_batched_general_kernelIfLi16ELi16ELi32ELi32ELi8ELi32ELi8ELi8ELi32ELc67ELc84EKPKfS3_KPfEEvlllT_PT11_llS8_llS6_PT12_llPT13_lli.numbered_sgpr, 44
	.set _ZN12_GLOBAL__N_135rocblas_gemm_batched_general_kernelIfLi16ELi16ELi32ELi32ELi8ELi32ELi8ELi8ELi32ELc67ELc84EKPKfS3_KPfEEvlllT_PT11_llS8_llS6_PT12_llPT13_lli.num_named_barrier, 0
	.set _ZN12_GLOBAL__N_135rocblas_gemm_batched_general_kernelIfLi16ELi16ELi32ELi32ELi8ELi32ELi8ELi8ELi32ELc67ELc84EKPKfS3_KPfEEvlllT_PT11_llS8_llS6_PT12_llPT13_lli.private_seg_size, 0
	.set _ZN12_GLOBAL__N_135rocblas_gemm_batched_general_kernelIfLi16ELi16ELi32ELi32ELi8ELi32ELi8ELi8ELi32ELc67ELc84EKPKfS3_KPfEEvlllT_PT11_llS8_llS6_PT12_llPT13_lli.uses_vcc, 1
	.set _ZN12_GLOBAL__N_135rocblas_gemm_batched_general_kernelIfLi16ELi16ELi32ELi32ELi8ELi32ELi8ELi8ELi32ELc67ELc84EKPKfS3_KPfEEvlllT_PT11_llS8_llS6_PT12_llPT13_lli.uses_flat_scratch, 0
	.set _ZN12_GLOBAL__N_135rocblas_gemm_batched_general_kernelIfLi16ELi16ELi32ELi32ELi8ELi32ELi8ELi8ELi32ELc67ELc84EKPKfS3_KPfEEvlllT_PT11_llS8_llS6_PT12_llPT13_lli.has_dyn_sized_stack, 0
	.set _ZN12_GLOBAL__N_135rocblas_gemm_batched_general_kernelIfLi16ELi16ELi32ELi32ELi8ELi32ELi8ELi8ELi32ELc67ELc84EKPKfS3_KPfEEvlllT_PT11_llS8_llS6_PT12_llPT13_lli.has_recursion, 0
	.set _ZN12_GLOBAL__N_135rocblas_gemm_batched_general_kernelIfLi16ELi16ELi32ELi32ELi8ELi32ELi8ELi8ELi32ELc67ELc84EKPKfS3_KPfEEvlllT_PT11_llS8_llS6_PT12_llPT13_lli.has_indirect_call, 0
	.section	.AMDGPU.csdata,"",@progbits
; Kernel info:
; codeLenInByte = 1908
; TotalNumSgprs: 46
; NumVgprs: 44
; ScratchSize: 0
; MemoryBound: 0
; FloatMode: 240
; IeeeMode: 1
; LDSByteSize: 2048 bytes/workgroup (compile time only)
; SGPRBlocks: 0
; VGPRBlocks: 5
; NumSGPRsForWavesPerEU: 46
; NumVGPRsForWavesPerEU: 44
; Occupancy: 16
; WaveLimiterHint : 1
; COMPUTE_PGM_RSRC2:SCRATCH_EN: 0
; COMPUTE_PGM_RSRC2:USER_SGPR: 6
; COMPUTE_PGM_RSRC2:TRAP_HANDLER: 0
; COMPUTE_PGM_RSRC2:TGID_X_EN: 1
; COMPUTE_PGM_RSRC2:TGID_Y_EN: 1
; COMPUTE_PGM_RSRC2:TGID_Z_EN: 1
; COMPUTE_PGM_RSRC2:TIDIG_COMP_CNT: 1
	.section	.text._ZN12_GLOBAL__N_135rocblas_gemm_batched_general_kernelIfLi16ELi16ELi32ELi32ELi8ELi32ELi8ELi8ELi32ELc78ELc67EKPKfS3_KPfEEvlllT_PT11_llS8_llS6_PT12_llPT13_lli,"axG",@progbits,_ZN12_GLOBAL__N_135rocblas_gemm_batched_general_kernelIfLi16ELi16ELi32ELi32ELi8ELi32ELi8ELi8ELi32ELc78ELc67EKPKfS3_KPfEEvlllT_PT11_llS8_llS6_PT12_llPT13_lli,comdat
	.globl	_ZN12_GLOBAL__N_135rocblas_gemm_batched_general_kernelIfLi16ELi16ELi32ELi32ELi8ELi32ELi8ELi8ELi32ELc78ELc67EKPKfS3_KPfEEvlllT_PT11_llS8_llS6_PT12_llPT13_lli ; -- Begin function _ZN12_GLOBAL__N_135rocblas_gemm_batched_general_kernelIfLi16ELi16ELi32ELi32ELi8ELi32ELi8ELi8ELi32ELc78ELc67EKPKfS3_KPfEEvlllT_PT11_llS8_llS6_PT12_llPT13_lli
	.p2align	8
	.type	_ZN12_GLOBAL__N_135rocblas_gemm_batched_general_kernelIfLi16ELi16ELi32ELi32ELi8ELi32ELi8ELi8ELi32ELc78ELc67EKPKfS3_KPfEEvlllT_PT11_llS8_llS6_PT12_llPT13_lli,@function
_ZN12_GLOBAL__N_135rocblas_gemm_batched_general_kernelIfLi16ELi16ELi32ELi32ELi8ELi32ELi8ELi8ELi32ELc78ELc67EKPKfS3_KPfEEvlllT_PT11_llS8_llS6_PT12_llPT13_lli: ; @_ZN12_GLOBAL__N_135rocblas_gemm_batched_general_kernelIfLi16ELi16ELi32ELi32ELi8ELi32ELi8ELi8ELi32ELc78ELc67EKPKfS3_KPfEEvlllT_PT11_llS8_llS6_PT12_llPT13_lli
; %bb.0:
	s_clause 0x1
	s_load_dwordx8 s[12:19], s[4:5], 0x58
	s_load_dwordx2 s[34:35], s[4:5], 0x10
	s_mov_b32 s9, 0
	s_load_dwordx4 s[28:31], s[4:5], 0x0
	s_lshl_b64 s[44:45], s[8:9], 3
	s_load_dwordx4 s[8:11], s[4:5], 0x78
	s_mov_b32 s42, s7
	v_mov_b32_e32 v10, 0
	v_mov_b32_e32 v9, 0
	;; [unrolled: 1-line block ×4, first 2 shown]
	s_waitcnt lgkmcnt(0)
	s_add_u32 s0, s12, s44
	s_addc_u32 s1, s13, s45
	s_add_u32 s2, s18, s44
	s_addc_u32 s3, s19, s45
	s_load_dwordx2 s[12:13], s[0:1], 0x0
	s_load_dwordx2 s[2:3], s[2:3], 0x0
	v_cmp_lt_i64_e64 s0, s[34:35], 1
	s_ashr_i32 s7, s6, 31
	s_ashr_i32 s43, s42, 31
	s_lshl_b64 s[18:19], s[6:7], 5
	s_lshl_b64 s[40:41], s[42:43], 5
	s_and_b32 vcc_lo, exec_lo, s0
	s_cbranch_vccnz .LBB54_7
; %bb.1:
	s_clause 0x1
	s_load_dwordx4 s[36:39], s[4:5], 0x40
	s_load_dwordx8 s[20:27], s[4:5], 0x20
	v_lshl_add_u32 v2, v1, 4, v0
	v_and_b32_e32 v6, 7, v0
	v_mov_b32_e32 v3, s19
	v_mov_b32_e32 v7, 0
	v_lshlrev_b32_e32 v11, 2, v0
	v_lshrrev_b32_e32 v13, 5, v2
	v_and_b32_e32 v14, 31, v2
	v_lshrrev_b32_e32 v10, 3, v2
	v_lshlrev_b32_e32 v15, 2, v6
	v_lshl_add_u32 v12, v1, 5, 0x400
	v_or_b32_e32 v2, s18, v14
	v_add_co_u32 v4, s0, v10, s40
	v_add_co_ci_u32_e64 v5, null, 0, s41, s0
	v_cmp_gt_i64_e64 s0, s[28:29], v[2:3]
	v_lshl_or_b32 v15, v10, 5, v15
	s_waitcnt lgkmcnt(0)
	v_mad_u64_u32 v[8:9], null, s36, v6, 0
	v_mad_u64_u32 v[16:17], null, s22, v13, 0
	v_cmp_gt_i64_e64 s1, s[30:31], v[4:5]
	s_add_u32 s26, s26, s44
	s_addc_u32 s27, s27, s45
	s_add_u32 s20, s20, s44
	v_mov_b32_e32 v2, v9
	s_load_dwordx2 s[26:27], s[26:27], 0x0
	v_mov_b32_e32 v3, v17
	s_addc_u32 s21, s21, s45
	s_lshl_b64 s[42:43], s[42:43], 7
	s_load_dwordx2 s[20:21], s[20:21], 0x0
	s_lshl_b64 s[38:39], s[38:39], 2
	v_mad_u64_u32 v[4:5], null, s37, v6, v[2:3]
	s_add_u32 s33, s38, s42
	s_addc_u32 s42, s39, s43
	s_lshl_b64 s[38:39], s[6:7], 7
	s_lshl_b64 s[24:25], s[24:25], 2
	;; [unrolled: 1-line block ×3, first 2 shown]
	v_lshlrev_b32_e32 v10, 2, v10
	v_mad_u64_u32 v[2:3], null, s23, v13, v[3:4]
	v_mov_b32_e32 v9, v4
	s_add_u32 s24, s24, s38
	v_lshlrev_b32_e32 v18, 2, v14
	s_addc_u32 s25, s25, s39
	v_add_nc_u32_e32 v15, 0x400, v15
	v_mov_b32_e32 v17, v2
	v_lshlrev_b64 v[2:3], 2, v[8:9]
	v_lshl_or_b32 v14, v13, 7, v18
	v_mov_b32_e32 v8, 0
	v_mov_b32_e32 v9, 0
	v_lshlrev_b64 v[4:5], 2, v[16:17]
	v_add_co_u32 v2, vcc_lo, s33, v2
	v_add_co_ci_u32_e64 v3, null, s42, v3, vcc_lo
	v_add_co_u32 v4, vcc_lo, s24, v4
	v_add_co_ci_u32_e64 v5, null, s25, v5, vcc_lo
	;; [unrolled: 2-line block ×4, first 2 shown]
	s_waitcnt lgkmcnt(0)
	v_add_co_u32 v2, vcc_lo, s26, v2
	v_add_co_ci_u32_e64 v3, null, s27, v3, vcc_lo
	v_add_co_u32 v4, vcc_lo, s20, v4
	v_add_co_ci_u32_e64 v5, null, s21, v5, vcc_lo
	v_mov_b32_e32 v10, 0
	s_lshl_b64 s[20:21], s[22:23], 5
	s_mov_b64 s[22:23], 0
	s_branch .LBB54_3
.LBB54_2:                               ;   in Loop: Header=BB54_3 Depth=1
	s_or_b32 exec_lo, exec_lo, s24
	s_waitcnt vmcnt(0) lgkmcnt(0)
	ds_write_b32 v15, v17
	s_waitcnt lgkmcnt(0)
	s_barrier
	buffer_gl0_inv
	ds_read_b128 v[16:19], v12
	ds_read2_b32 v[32:33], v11 offset1:16
	ds_read_b128 v[20:23], v12 offset:512
	ds_read2_b32 v[34:35], v11 offset0:32 offset1:48
	ds_read2_b32 v[36:37], v11 offset0:64 offset1:80
	ds_read2_b32 v[38:39], v11 offset0:96 offset1:112
	ds_read_b128 v[24:27], v12 offset:16
	ds_read2_b32 v[40:41], v11 offset0:128 offset1:144
	ds_read_b128 v[28:31], v12 offset:528
	ds_read2_b32 v[42:43], v11 offset0:160 offset1:176
	s_add_u32 s22, s22, 8
	s_addc_u32 s23, s23, 0
	v_add_co_u32 v2, vcc_lo, v2, s6
	v_cmp_lt_i64_e64 s24, s[22:23], s[34:35]
	v_add_co_ci_u32_e64 v3, null, s7, v3, vcc_lo
	v_add_co_u32 v4, vcc_lo, v4, s20
	v_add_co_ci_u32_e64 v5, null, s21, v5, vcc_lo
	s_waitcnt lgkmcnt(8)
	v_fmac_f32_e32 v10, v32, v16
	v_fmac_f32_e32 v9, v33, v16
	s_waitcnt lgkmcnt(7)
	v_fmac_f32_e32 v8, v32, v20
	v_fmac_f32_e32 v7, v33, v20
	ds_read2_b32 v[32:33], v11 offset0:192 offset1:208
	s_waitcnt lgkmcnt(7)
	v_fmac_f32_e32 v10, v34, v17
	v_fmac_f32_e32 v9, v35, v17
	;; [unrolled: 1-line block ×4, first 2 shown]
	ds_read2_b32 v[16:17], v11 offset0:224 offset1:240
	s_waitcnt lgkmcnt(7)
	v_fmac_f32_e32 v10, v36, v18
	v_fmac_f32_e32 v9, v37, v18
	;; [unrolled: 1-line block ×4, first 2 shown]
	s_and_b32 vcc_lo, exec_lo, s24
	s_waitcnt lgkmcnt(6)
	v_fmac_f32_e32 v10, v38, v19
	v_fmac_f32_e32 v9, v39, v19
	;; [unrolled: 1-line block ×4, first 2 shown]
	s_waitcnt lgkmcnt(0)
	v_fmac_f32_e32 v10, v40, v24
	v_fmac_f32_e32 v9, v41, v24
	;; [unrolled: 1-line block ×4, first 2 shown]
	s_barrier
	v_fmac_f32_e32 v10, v42, v25
	v_fmac_f32_e32 v9, v43, v25
	;; [unrolled: 1-line block ×4, first 2 shown]
	buffer_gl0_inv
	v_fmac_f32_e32 v10, v32, v26
	v_fmac_f32_e32 v9, v33, v26
	;; [unrolled: 1-line block ×8, first 2 shown]
	s_cbranch_vccz .LBB54_7
.LBB54_3:                               ; =>This Inner Loop Header: Depth=1
	v_add_co_u32 v16, s24, v13, s22
	v_add_co_ci_u32_e64 v17, null, 0, s23, s24
	v_cmp_gt_i64_e32 vcc_lo, s[34:35], v[16:17]
	v_mov_b32_e32 v16, 0
	s_and_b32 s25, s0, vcc_lo
	s_and_saveexec_b32 s24, s25
	s_cbranch_execz .LBB54_5
; %bb.4:                                ;   in Loop: Header=BB54_3 Depth=1
	flat_load_dword v16, v[4:5]
.LBB54_5:                               ;   in Loop: Header=BB54_3 Depth=1
	s_or_b32 exec_lo, exec_lo, s24
	v_add_co_u32 v17, s24, v6, s22
	v_add_co_ci_u32_e64 v18, null, 0, s23, s24
	s_waitcnt vmcnt(0) lgkmcnt(0)
	ds_write_b32 v14, v16
	v_cmp_gt_i64_e32 vcc_lo, s[34:35], v[17:18]
	v_mov_b32_e32 v17, 0
	s_and_b32 s25, vcc_lo, s1
	s_and_saveexec_b32 s24, s25
	s_cbranch_execz .LBB54_2
; %bb.6:                                ;   in Loop: Header=BB54_3 Depth=1
	flat_load_dword v17, v[2:3]
	s_branch .LBB54_2
.LBB54_7:
	s_clause 0x1
	s_load_dword s6, s[4:5], 0x50
	s_load_dword s4, s[4:5], 0x18
	v_add_co_u32 v1, s5, s40, v1
	v_add_co_ci_u32_e64 v2, null, s41, 0, s5
	s_lshl_b64 s[0:1], s[10:11], 2
	s_waitcnt lgkmcnt(0)
	s_add_u32 s5, s2, s0
	v_cmp_gt_i64_e64 s0, s[30:31], v[1:2]
	s_addc_u32 s3, s3, s1
	v_cmp_neq_f32_e64 s7, s6, 0
	s_and_b32 vcc_lo, exec_lo, s7
	s_cbranch_vccnz .LBB54_20
; %bb.8:
	s_and_saveexec_b32 s7, s0
	s_cbranch_execz .LBB54_18
; %bb.9:
	v_mul_lo_u32 v5, v2, s8
	v_mul_lo_u32 v6, v1, s9
	v_mad_u64_u32 v[3:4], null, v1, s8, 0
	v_add3_u32 v4, v4, v6, v5
	v_add_co_u32 v5, s1, s18, v0
	v_add_co_ci_u32_e64 v6, null, s19, 0, s1
	v_lshlrev_b64 v[11:12], 2, v[3:4]
	v_cmp_gt_i64_e32 vcc_lo, s[28:29], v[5:6]
	v_lshlrev_b64 v[3:4], 2, v[5:6]
	v_add_co_u32 v11, s1, s5, v11
	v_add_co_ci_u32_e64 v12, null, s3, v12, s1
	s_and_saveexec_b32 s2, vcc_lo
	s_cbranch_execz .LBB54_11
; %bb.10:
	v_add_co_u32 v13, s1, v11, v3
	v_add_co_ci_u32_e64 v14, null, v12, v4, s1
	v_mul_f32_e32 v15, s4, v10
	flat_store_dword v[13:14], v15
.LBB54_11:
	s_or_b32 exec_lo, exec_lo, s2
	v_add_co_u32 v5, s1, v5, 16
	v_add_co_ci_u32_e64 v6, null, 0, v6, s1
	v_cmp_gt_i64_e64 s1, s[28:29], v[5:6]
	s_and_saveexec_b32 s10, s1
	s_cbranch_execz .LBB54_13
; %bb.12:
	v_add_co_u32 v5, s2, v11, v3
	v_add_co_ci_u32_e64 v6, null, v12, v4, s2
	v_mul_f32_e32 v13, s4, v9
	flat_store_dword v[5:6], v13 offset:64
.LBB54_13:
	s_or_b32 exec_lo, exec_lo, s10
	v_add_co_u32 v5, s2, v1, 16
	v_add_co_ci_u32_e64 v6, null, 0, v2, s2
	v_cmp_gt_i64_e64 s2, s[30:31], v[5:6]
	s_and_b32 exec_lo, exec_lo, s2
	s_cbranch_execz .LBB54_18
; %bb.14:
	s_lshl_b64 s[10:11], s[8:9], 6
	v_add_co_u32 v5, s2, v11, s10
	v_add_co_ci_u32_e64 v6, null, s11, v12, s2
	v_add_co_u32 v3, s2, v5, v3
	v_add_co_ci_u32_e64 v4, null, v6, v4, s2
	s_and_saveexec_b32 s2, vcc_lo
	s_cbranch_execz .LBB54_16
; %bb.15:
	v_mul_f32_e32 v5, s4, v8
	flat_store_dword v[3:4], v5
.LBB54_16:
	s_or_b32 exec_lo, exec_lo, s2
	s_and_b32 exec_lo, exec_lo, s1
	s_cbranch_execz .LBB54_18
; %bb.17:
	v_mul_f32_e32 v5, s4, v7
	flat_store_dword v[3:4], v5 offset:64
.LBB54_18:
	s_or_b32 exec_lo, exec_lo, s7
	s_cbranch_execz .LBB54_21
.LBB54_19:
	s_endpgm
.LBB54_20:
.LBB54_21:
	s_and_saveexec_b32 s1, s0
	s_cbranch_execz .LBB54_19
; %bb.22:
	v_mul_lo_u32 v5, v2, s14
	v_mul_lo_u32 v6, v1, s15
	v_mad_u64_u32 v[3:4], null, v1, s14, 0
	v_mul_lo_u32 v13, v2, s8
	v_mul_lo_u32 v14, v1, s9
	v_mad_u64_u32 v[11:12], null, v1, s8, 0
	s_lshl_b64 s[0:1], s[16:17], 2
	v_add3_u32 v4, v4, v6, v5
	v_add_co_u32 v5, s2, s18, v0
	v_add_co_ci_u32_e64 v6, null, s19, 0, s2
	v_add3_u32 v12, v12, v14, v13
	v_lshlrev_b64 v[3:4], 2, v[3:4]
	s_add_u32 s0, s12, s0
	s_addc_u32 s1, s13, s1
	v_cmp_gt_i64_e32 vcc_lo, s[28:29], v[5:6]
	v_lshlrev_b64 v[12:13], 2, v[11:12]
	v_add_co_u32 v0, s0, s0, v3
	v_add_co_ci_u32_e64 v11, null, s1, v4, s0
	v_add_co_u32 v12, s0, s5, v12
	v_lshlrev_b64 v[3:4], 2, v[5:6]
	v_add_co_ci_u32_e64 v13, null, s3, v13, s0
	s_and_saveexec_b32 s1, vcc_lo
	s_cbranch_execz .LBB54_24
; %bb.23:
	v_add_co_u32 v14, s0, v0, v3
	v_add_co_ci_u32_e64 v15, null, v11, v4, s0
	flat_load_dword v14, v[14:15]
	s_waitcnt vmcnt(0) lgkmcnt(0)
	v_mul_f32_e32 v16, s6, v14
	v_add_co_u32 v14, s0, v12, v3
	v_add_co_ci_u32_e64 v15, null, v13, v4, s0
	v_fmac_f32_e32 v16, s4, v10
	flat_store_dword v[14:15], v16
.LBB54_24:
	s_or_b32 exec_lo, exec_lo, s1
	v_add_co_u32 v5, s0, v5, 16
	v_add_co_ci_u32_e64 v6, null, 0, v6, s0
	v_cmp_gt_i64_e64 s0, s[28:29], v[5:6]
	s_and_saveexec_b32 s2, s0
	s_cbranch_execz .LBB54_26
; %bb.25:
	v_add_co_u32 v5, s1, v0, v3
	v_add_co_ci_u32_e64 v6, null, v11, v4, s1
	flat_load_dword v5, v[5:6] offset:64
	s_waitcnt vmcnt(0) lgkmcnt(0)
	v_mul_f32_e32 v10, s6, v5
	v_add_co_u32 v5, s1, v12, v3
	v_add_co_ci_u32_e64 v6, null, v13, v4, s1
	v_fmac_f32_e32 v10, s4, v9
	flat_store_dword v[5:6], v10 offset:64
.LBB54_26:
	s_or_b32 exec_lo, exec_lo, s2
	v_add_co_u32 v1, s1, v1, 16
	v_add_co_ci_u32_e64 v2, null, 0, v2, s1
	v_cmp_gt_i64_e64 s1, s[30:31], v[1:2]
	s_and_b32 exec_lo, exec_lo, s1
	s_cbranch_execz .LBB54_19
; %bb.27:
	s_lshl_b64 s[2:3], s[14:15], 6
	v_add_co_u32 v0, s1, v0, s2
	v_add_co_ci_u32_e64 v1, null, s3, v11, s1
	s_lshl_b64 s[2:3], s[8:9], 6
	v_add_co_u32 v2, s1, v12, s2
	v_add_co_ci_u32_e64 v5, null, s3, v13, s1
	v_add_co_u32 v0, s1, v0, v3
	v_add_co_ci_u32_e64 v1, null, v1, v4, s1
	;; [unrolled: 2-line block ×3, first 2 shown]
	s_and_saveexec_b32 s1, vcc_lo
	s_cbranch_execz .LBB54_29
; %bb.28:
	flat_load_dword v4, v[0:1]
	s_waitcnt vmcnt(0) lgkmcnt(0)
	v_mul_f32_e32 v4, s6, v4
	v_fmac_f32_e32 v4, s4, v8
	flat_store_dword v[2:3], v4
.LBB54_29:
	s_or_b32 exec_lo, exec_lo, s1
	s_and_b32 exec_lo, exec_lo, s0
	s_cbranch_execz .LBB54_19
; %bb.30:
	flat_load_dword v0, v[0:1] offset:64
	s_waitcnt vmcnt(0) lgkmcnt(0)
	v_mul_f32_e32 v0, s6, v0
	v_fmac_f32_e32 v0, s4, v7
	flat_store_dword v[2:3], v0 offset:64
	s_endpgm
	.section	.rodata,"a",@progbits
	.p2align	6, 0x0
	.amdhsa_kernel _ZN12_GLOBAL__N_135rocblas_gemm_batched_general_kernelIfLi16ELi16ELi32ELi32ELi8ELi32ELi8ELi8ELi32ELc78ELc67EKPKfS3_KPfEEvlllT_PT11_llS8_llS6_PT12_llPT13_lli
		.amdhsa_group_segment_fixed_size 2048
		.amdhsa_private_segment_fixed_size 0
		.amdhsa_kernarg_size 140
		.amdhsa_user_sgpr_count 6
		.amdhsa_user_sgpr_private_segment_buffer 1
		.amdhsa_user_sgpr_dispatch_ptr 0
		.amdhsa_user_sgpr_queue_ptr 0
		.amdhsa_user_sgpr_kernarg_segment_ptr 1
		.amdhsa_user_sgpr_dispatch_id 0
		.amdhsa_user_sgpr_flat_scratch_init 0
		.amdhsa_user_sgpr_private_segment_size 0
		.amdhsa_wavefront_size32 1
		.amdhsa_uses_dynamic_stack 0
		.amdhsa_system_sgpr_private_segment_wavefront_offset 0
		.amdhsa_system_sgpr_workgroup_id_x 1
		.amdhsa_system_sgpr_workgroup_id_y 1
		.amdhsa_system_sgpr_workgroup_id_z 1
		.amdhsa_system_sgpr_workgroup_info 0
		.amdhsa_system_vgpr_workitem_id 1
		.amdhsa_next_free_vgpr 44
		.amdhsa_next_free_sgpr 46
		.amdhsa_reserve_vcc 1
		.amdhsa_reserve_flat_scratch 0
		.amdhsa_float_round_mode_32 0
		.amdhsa_float_round_mode_16_64 0
		.amdhsa_float_denorm_mode_32 3
		.amdhsa_float_denorm_mode_16_64 3
		.amdhsa_dx10_clamp 1
		.amdhsa_ieee_mode 1
		.amdhsa_fp16_overflow 0
		.amdhsa_workgroup_processor_mode 1
		.amdhsa_memory_ordered 1
		.amdhsa_forward_progress 1
		.amdhsa_shared_vgpr_count 0
		.amdhsa_exception_fp_ieee_invalid_op 0
		.amdhsa_exception_fp_denorm_src 0
		.amdhsa_exception_fp_ieee_div_zero 0
		.amdhsa_exception_fp_ieee_overflow 0
		.amdhsa_exception_fp_ieee_underflow 0
		.amdhsa_exception_fp_ieee_inexact 0
		.amdhsa_exception_int_div_zero 0
	.end_amdhsa_kernel
	.section	.text._ZN12_GLOBAL__N_135rocblas_gemm_batched_general_kernelIfLi16ELi16ELi32ELi32ELi8ELi32ELi8ELi8ELi32ELc78ELc67EKPKfS3_KPfEEvlllT_PT11_llS8_llS6_PT12_llPT13_lli,"axG",@progbits,_ZN12_GLOBAL__N_135rocblas_gemm_batched_general_kernelIfLi16ELi16ELi32ELi32ELi8ELi32ELi8ELi8ELi32ELc78ELc67EKPKfS3_KPfEEvlllT_PT11_llS8_llS6_PT12_llPT13_lli,comdat
.Lfunc_end54:
	.size	_ZN12_GLOBAL__N_135rocblas_gemm_batched_general_kernelIfLi16ELi16ELi32ELi32ELi8ELi32ELi8ELi8ELi32ELc78ELc67EKPKfS3_KPfEEvlllT_PT11_llS8_llS6_PT12_llPT13_lli, .Lfunc_end54-_ZN12_GLOBAL__N_135rocblas_gemm_batched_general_kernelIfLi16ELi16ELi32ELi32ELi8ELi32ELi8ELi8ELi32ELc78ELc67EKPKfS3_KPfEEvlllT_PT11_llS8_llS6_PT12_llPT13_lli
                                        ; -- End function
	.set _ZN12_GLOBAL__N_135rocblas_gemm_batched_general_kernelIfLi16ELi16ELi32ELi32ELi8ELi32ELi8ELi8ELi32ELc78ELc67EKPKfS3_KPfEEvlllT_PT11_llS8_llS6_PT12_llPT13_lli.num_vgpr, 44
	.set _ZN12_GLOBAL__N_135rocblas_gemm_batched_general_kernelIfLi16ELi16ELi32ELi32ELi8ELi32ELi8ELi8ELi32ELc78ELc67EKPKfS3_KPfEEvlllT_PT11_llS8_llS6_PT12_llPT13_lli.num_agpr, 0
	.set _ZN12_GLOBAL__N_135rocblas_gemm_batched_general_kernelIfLi16ELi16ELi32ELi32ELi8ELi32ELi8ELi8ELi32ELc78ELc67EKPKfS3_KPfEEvlllT_PT11_llS8_llS6_PT12_llPT13_lli.numbered_sgpr, 46
	.set _ZN12_GLOBAL__N_135rocblas_gemm_batched_general_kernelIfLi16ELi16ELi32ELi32ELi8ELi32ELi8ELi8ELi32ELc78ELc67EKPKfS3_KPfEEvlllT_PT11_llS8_llS6_PT12_llPT13_lli.num_named_barrier, 0
	.set _ZN12_GLOBAL__N_135rocblas_gemm_batched_general_kernelIfLi16ELi16ELi32ELi32ELi8ELi32ELi8ELi8ELi32ELc78ELc67EKPKfS3_KPfEEvlllT_PT11_llS8_llS6_PT12_llPT13_lli.private_seg_size, 0
	.set _ZN12_GLOBAL__N_135rocblas_gemm_batched_general_kernelIfLi16ELi16ELi32ELi32ELi8ELi32ELi8ELi8ELi32ELc78ELc67EKPKfS3_KPfEEvlllT_PT11_llS8_llS6_PT12_llPT13_lli.uses_vcc, 1
	.set _ZN12_GLOBAL__N_135rocblas_gemm_batched_general_kernelIfLi16ELi16ELi32ELi32ELi8ELi32ELi8ELi8ELi32ELc78ELc67EKPKfS3_KPfEEvlllT_PT11_llS8_llS6_PT12_llPT13_lli.uses_flat_scratch, 0
	.set _ZN12_GLOBAL__N_135rocblas_gemm_batched_general_kernelIfLi16ELi16ELi32ELi32ELi8ELi32ELi8ELi8ELi32ELc78ELc67EKPKfS3_KPfEEvlllT_PT11_llS8_llS6_PT12_llPT13_lli.has_dyn_sized_stack, 0
	.set _ZN12_GLOBAL__N_135rocblas_gemm_batched_general_kernelIfLi16ELi16ELi32ELi32ELi8ELi32ELi8ELi8ELi32ELc78ELc67EKPKfS3_KPfEEvlllT_PT11_llS8_llS6_PT12_llPT13_lli.has_recursion, 0
	.set _ZN12_GLOBAL__N_135rocblas_gemm_batched_general_kernelIfLi16ELi16ELi32ELi32ELi8ELi32ELi8ELi8ELi32ELc78ELc67EKPKfS3_KPfEEvlllT_PT11_llS8_llS6_PT12_llPT13_lli.has_indirect_call, 0
	.section	.AMDGPU.csdata,"",@progbits
; Kernel info:
; codeLenInByte = 1896
; TotalNumSgprs: 48
; NumVgprs: 44
; ScratchSize: 0
; MemoryBound: 0
; FloatMode: 240
; IeeeMode: 1
; LDSByteSize: 2048 bytes/workgroup (compile time only)
; SGPRBlocks: 0
; VGPRBlocks: 5
; NumSGPRsForWavesPerEU: 48
; NumVGPRsForWavesPerEU: 44
; Occupancy: 16
; WaveLimiterHint : 1
; COMPUTE_PGM_RSRC2:SCRATCH_EN: 0
; COMPUTE_PGM_RSRC2:USER_SGPR: 6
; COMPUTE_PGM_RSRC2:TRAP_HANDLER: 0
; COMPUTE_PGM_RSRC2:TGID_X_EN: 1
; COMPUTE_PGM_RSRC2:TGID_Y_EN: 1
; COMPUTE_PGM_RSRC2:TGID_Z_EN: 1
; COMPUTE_PGM_RSRC2:TIDIG_COMP_CNT: 1
	.section	.text._ZN12_GLOBAL__N_135rocblas_gemm_batched_general_kernelIfLi16ELi16ELi32ELi32ELi8ELi32ELi8ELi8ELi32ELc84ELc67EKPKfS3_KPfEEvlllT_PT11_llS8_llS6_PT12_llPT13_lli,"axG",@progbits,_ZN12_GLOBAL__N_135rocblas_gemm_batched_general_kernelIfLi16ELi16ELi32ELi32ELi8ELi32ELi8ELi8ELi32ELc84ELc67EKPKfS3_KPfEEvlllT_PT11_llS8_llS6_PT12_llPT13_lli,comdat
	.globl	_ZN12_GLOBAL__N_135rocblas_gemm_batched_general_kernelIfLi16ELi16ELi32ELi32ELi8ELi32ELi8ELi8ELi32ELc84ELc67EKPKfS3_KPfEEvlllT_PT11_llS8_llS6_PT12_llPT13_lli ; -- Begin function _ZN12_GLOBAL__N_135rocblas_gemm_batched_general_kernelIfLi16ELi16ELi32ELi32ELi8ELi32ELi8ELi8ELi32ELc84ELc67EKPKfS3_KPfEEvlllT_PT11_llS8_llS6_PT12_llPT13_lli
	.p2align	8
	.type	_ZN12_GLOBAL__N_135rocblas_gemm_batched_general_kernelIfLi16ELi16ELi32ELi32ELi8ELi32ELi8ELi8ELi32ELc84ELc67EKPKfS3_KPfEEvlllT_PT11_llS8_llS6_PT12_llPT13_lli,@function
_ZN12_GLOBAL__N_135rocblas_gemm_batched_general_kernelIfLi16ELi16ELi32ELi32ELi8ELi32ELi8ELi8ELi32ELc84ELc67EKPKfS3_KPfEEvlllT_PT11_llS8_llS6_PT12_llPT13_lli: ; @_ZN12_GLOBAL__N_135rocblas_gemm_batched_general_kernelIfLi16ELi16ELi32ELi32ELi8ELi32ELi8ELi8ELi32ELc84ELc67EKPKfS3_KPfEEvlllT_PT11_llS8_llS6_PT12_llPT13_lli
; %bb.0:
	s_clause 0x1
	s_load_dwordx8 s[12:19], s[4:5], 0x58
	s_load_dwordx2 s[34:35], s[4:5], 0x10
	s_mov_b32 s9, 0
	s_load_dwordx4 s[28:31], s[4:5], 0x0
	s_lshl_b64 s[42:43], s[8:9], 3
	s_load_dwordx4 s[8:11], s[4:5], 0x78
	s_mov_b32 s40, s7
	v_mov_b32_e32 v10, 0
	v_mov_b32_e32 v9, 0
	;; [unrolled: 1-line block ×4, first 2 shown]
	s_waitcnt lgkmcnt(0)
	s_add_u32 s0, s12, s42
	s_addc_u32 s1, s13, s43
	s_add_u32 s2, s18, s42
	s_addc_u32 s3, s19, s43
	s_load_dwordx2 s[12:13], s[0:1], 0x0
	s_load_dwordx2 s[2:3], s[2:3], 0x0
	v_cmp_lt_i64_e64 s0, s[34:35], 1
	s_ashr_i32 s7, s6, 31
	s_ashr_i32 s41, s40, 31
	s_lshl_b64 s[6:7], s[6:7], 5
	s_lshl_b64 s[18:19], s[40:41], 5
	s_and_b32 vcc_lo, exec_lo, s0
	s_cbranch_vccnz .LBB55_7
; %bb.1:
	s_clause 0x1
	s_load_dwordx4 s[36:39], s[4:5], 0x40
	s_load_dwordx8 s[20:27], s[4:5], 0x20
	v_lshl_add_u32 v2, v1, 4, v0
	v_and_b32_e32 v6, 7, v0
	v_mov_b32_e32 v3, s7
	v_mov_b32_e32 v7, 0
	v_lshlrev_b32_e32 v11, 2, v0
	v_and_b32_e32 v14, 31, v2
	v_lshrrev_b32_e32 v10, 3, v2
	v_lshrrev_b32_e32 v13, 5, v2
	v_lshlrev_b32_e32 v15, 2, v6
	v_lshl_add_u32 v12, v1, 5, 0x400
	v_or_b32_e32 v2, s6, v14
	v_add_co_u32 v4, s0, v10, s18
	v_add_co_ci_u32_e64 v5, null, 0, s19, s0
	v_add_co_u32 v17, s0, s6, v14
	v_add_co_ci_u32_e64 v18, null, s7, 0, s0
	s_waitcnt lgkmcnt(0)
	v_mad_u64_u32 v[8:9], null, s36, v6, 0
	v_cmp_gt_i64_e64 s0, s[28:29], v[2:3]
	v_lshlrev_b32_e32 v16, 2, v14
	v_cmp_gt_i64_e64 s1, s[30:31], v[4:5]
	v_mul_lo_u32 v5, s23, v17
	s_add_u32 s26, s26, s42
	s_addc_u32 s27, s27, s43
	v_mov_b32_e32 v2, v9
	v_lshl_or_b32 v14, v13, 7, v16
	v_mul_lo_u32 v16, s22, v18
	s_add_u32 s20, s20, s42
	s_addc_u32 s21, s21, s43
	v_mad_u64_u32 v[2:3], null, s37, v6, v[2:3]
	v_mad_u64_u32 v[3:4], null, s22, v17, 0
	s_load_dwordx2 s[22:23], s[26:27], 0x0
	s_load_dwordx2 s[20:21], s[20:21], 0x0
	s_lshl_b64 s[26:27], s[40:41], 7
	s_lshl_b64 s[38:39], s[38:39], 2
	v_mov_b32_e32 v9, v2
	s_add_u32 s26, s38, s26
	v_add3_u32 v4, v4, v16, v5
	s_addc_u32 s27, s39, s27
	s_lshl_b64 s[24:25], s[24:25], 2
	v_lshlrev_b64 v[8:9], 2, v[8:9]
	v_lshl_or_b32 v15, v10, 5, v15
	v_lshlrev_b64 v[2:3], 2, v[3:4]
	v_add_nc_u32_e32 v15, 0x400, v15
	v_add_co_u32 v4, vcc_lo, s26, v8
	v_lshlrev_b32_e32 v8, 2, v10
	v_add_co_ci_u32_e64 v5, null, s27, v9, vcc_lo
	v_add_co_u32 v2, vcc_lo, v2, s24
	v_lshlrev_b32_e32 v9, 2, v13
	v_add_co_ci_u32_e64 v3, null, s25, v3, vcc_lo
	v_add_co_u32 v4, vcc_lo, v4, v8
	v_add_co_ci_u32_e64 v5, null, 0, v5, vcc_lo
	v_add_co_u32 v8, vcc_lo, v2, v9
	v_add_co_ci_u32_e64 v9, null, 0, v3, vcc_lo
	s_waitcnt lgkmcnt(0)
	v_add_co_u32 v2, vcc_lo, s22, v4
	v_add_co_ci_u32_e64 v3, null, s23, v5, vcc_lo
	v_add_co_u32 v4, vcc_lo, s20, v8
	v_add_co_ci_u32_e64 v5, null, s21, v9, vcc_lo
	v_mov_b32_e32 v8, 0
	v_mov_b32_e32 v9, 0
	;; [unrolled: 1-line block ×3, first 2 shown]
	s_lshl_b64 s[20:21], s[36:37], 5
	s_mov_b64 s[22:23], 0
	s_branch .LBB55_3
.LBB55_2:                               ;   in Loop: Header=BB55_3 Depth=1
	s_or_b32 exec_lo, exec_lo, s24
	s_waitcnt vmcnt(0) lgkmcnt(0)
	ds_write_b32 v15, v17
	s_waitcnt lgkmcnt(0)
	s_barrier
	buffer_gl0_inv
	ds_read_b128 v[16:19], v12
	ds_read2_b32 v[32:33], v11 offset1:16
	ds_read_b128 v[20:23], v12 offset:512
	ds_read2_b32 v[34:35], v11 offset0:32 offset1:48
	ds_read2_b32 v[36:37], v11 offset0:64 offset1:80
	;; [unrolled: 1-line block ×3, first 2 shown]
	ds_read_b128 v[24:27], v12 offset:16
	ds_read2_b32 v[40:41], v11 offset0:128 offset1:144
	ds_read_b128 v[28:31], v12 offset:528
	ds_read2_b32 v[42:43], v11 offset0:160 offset1:176
	s_add_u32 s22, s22, 8
	s_addc_u32 s23, s23, 0
	v_add_co_u32 v2, vcc_lo, v2, s20
	v_cmp_lt_i64_e64 s24, s[22:23], s[34:35]
	v_add_co_ci_u32_e64 v3, null, s21, v3, vcc_lo
	v_add_co_u32 v4, vcc_lo, v4, 32
	v_add_co_ci_u32_e64 v5, null, 0, v5, vcc_lo
	s_waitcnt lgkmcnt(8)
	v_fmac_f32_e32 v10, v32, v16
	v_fmac_f32_e32 v9, v33, v16
	s_waitcnt lgkmcnt(7)
	v_fmac_f32_e32 v8, v32, v20
	v_fmac_f32_e32 v7, v33, v20
	ds_read2_b32 v[32:33], v11 offset0:192 offset1:208
	s_waitcnt lgkmcnt(7)
	v_fmac_f32_e32 v10, v34, v17
	v_fmac_f32_e32 v9, v35, v17
	;; [unrolled: 1-line block ×4, first 2 shown]
	ds_read2_b32 v[16:17], v11 offset0:224 offset1:240
	s_waitcnt lgkmcnt(7)
	v_fmac_f32_e32 v10, v36, v18
	v_fmac_f32_e32 v9, v37, v18
	;; [unrolled: 1-line block ×4, first 2 shown]
	s_and_b32 vcc_lo, exec_lo, s24
	s_waitcnt lgkmcnt(6)
	v_fmac_f32_e32 v10, v38, v19
	v_fmac_f32_e32 v9, v39, v19
	v_fmac_f32_e32 v8, v38, v23
	v_fmac_f32_e32 v7, v39, v23
	s_waitcnt lgkmcnt(0)
	v_fmac_f32_e32 v10, v40, v24
	v_fmac_f32_e32 v9, v41, v24
	;; [unrolled: 1-line block ×4, first 2 shown]
	s_barrier
	v_fmac_f32_e32 v10, v42, v25
	v_fmac_f32_e32 v9, v43, v25
	;; [unrolled: 1-line block ×4, first 2 shown]
	buffer_gl0_inv
	v_fmac_f32_e32 v10, v32, v26
	v_fmac_f32_e32 v9, v33, v26
	;; [unrolled: 1-line block ×8, first 2 shown]
	s_cbranch_vccz .LBB55_7
.LBB55_3:                               ; =>This Inner Loop Header: Depth=1
	v_add_co_u32 v16, s24, v13, s22
	v_add_co_ci_u32_e64 v17, null, 0, s23, s24
	v_cmp_gt_i64_e32 vcc_lo, s[34:35], v[16:17]
	v_mov_b32_e32 v16, 0
	s_and_b32 s25, s0, vcc_lo
	s_and_saveexec_b32 s24, s25
	s_cbranch_execz .LBB55_5
; %bb.4:                                ;   in Loop: Header=BB55_3 Depth=1
	flat_load_dword v16, v[4:5]
.LBB55_5:                               ;   in Loop: Header=BB55_3 Depth=1
	s_or_b32 exec_lo, exec_lo, s24
	v_add_co_u32 v17, s24, v6, s22
	v_add_co_ci_u32_e64 v18, null, 0, s23, s24
	s_waitcnt vmcnt(0) lgkmcnt(0)
	ds_write_b32 v14, v16
	v_cmp_gt_i64_e32 vcc_lo, s[34:35], v[17:18]
	v_mov_b32_e32 v17, 0
	s_and_b32 s25, vcc_lo, s1
	s_and_saveexec_b32 s24, s25
	s_cbranch_execz .LBB55_2
; %bb.6:                                ;   in Loop: Header=BB55_3 Depth=1
	flat_load_dword v17, v[2:3]
	s_branch .LBB55_2
.LBB55_7:
	s_clause 0x1
	s_load_dword s20, s[4:5], 0x50
	s_load_dword s4, s[4:5], 0x18
	v_add_co_u32 v1, s5, s18, v1
	v_add_co_ci_u32_e64 v2, null, s19, 0, s5
	s_lshl_b64 s[0:1], s[10:11], 2
	s_waitcnt lgkmcnt(0)
	s_add_u32 s5, s2, s0
	v_cmp_gt_i64_e64 s0, s[30:31], v[1:2]
	s_addc_u32 s3, s3, s1
	v_cmp_neq_f32_e64 s10, s20, 0
	s_and_b32 vcc_lo, exec_lo, s10
	s_cbranch_vccnz .LBB55_20
; %bb.8:
	s_and_saveexec_b32 s10, s0
	s_cbranch_execz .LBB55_18
; %bb.9:
	v_mul_lo_u32 v5, v2, s8
	v_mul_lo_u32 v6, v1, s9
	v_mad_u64_u32 v[3:4], null, v1, s8, 0
	v_add3_u32 v4, v4, v6, v5
	v_add_co_u32 v5, s1, s6, v0
	v_add_co_ci_u32_e64 v6, null, s7, 0, s1
	v_lshlrev_b64 v[11:12], 2, v[3:4]
	v_cmp_gt_i64_e32 vcc_lo, s[28:29], v[5:6]
	v_lshlrev_b64 v[3:4], 2, v[5:6]
	v_add_co_u32 v11, s1, s5, v11
	v_add_co_ci_u32_e64 v12, null, s3, v12, s1
	s_and_saveexec_b32 s2, vcc_lo
	s_cbranch_execz .LBB55_11
; %bb.10:
	v_add_co_u32 v13, s1, v11, v3
	v_add_co_ci_u32_e64 v14, null, v12, v4, s1
	v_mul_f32_e32 v15, s4, v10
	flat_store_dword v[13:14], v15
.LBB55_11:
	s_or_b32 exec_lo, exec_lo, s2
	v_add_co_u32 v5, s1, v5, 16
	v_add_co_ci_u32_e64 v6, null, 0, v6, s1
	v_cmp_gt_i64_e64 s1, s[28:29], v[5:6]
	s_and_saveexec_b32 s11, s1
	s_cbranch_execz .LBB55_13
; %bb.12:
	v_add_co_u32 v5, s2, v11, v3
	v_add_co_ci_u32_e64 v6, null, v12, v4, s2
	v_mul_f32_e32 v13, s4, v9
	flat_store_dword v[5:6], v13 offset:64
.LBB55_13:
	s_or_b32 exec_lo, exec_lo, s11
	v_add_co_u32 v5, s2, v1, 16
	v_add_co_ci_u32_e64 v6, null, 0, v2, s2
	v_cmp_gt_i64_e64 s2, s[30:31], v[5:6]
	s_and_b32 exec_lo, exec_lo, s2
	s_cbranch_execz .LBB55_18
; %bb.14:
	s_lshl_b64 s[18:19], s[8:9], 6
	v_add_co_u32 v5, s2, v11, s18
	v_add_co_ci_u32_e64 v6, null, s19, v12, s2
	v_add_co_u32 v3, s2, v5, v3
	v_add_co_ci_u32_e64 v4, null, v6, v4, s2
	s_and_saveexec_b32 s2, vcc_lo
	s_cbranch_execz .LBB55_16
; %bb.15:
	v_mul_f32_e32 v5, s4, v8
	flat_store_dword v[3:4], v5
.LBB55_16:
	s_or_b32 exec_lo, exec_lo, s2
	s_and_b32 exec_lo, exec_lo, s1
	s_cbranch_execz .LBB55_18
; %bb.17:
	v_mul_f32_e32 v5, s4, v7
	flat_store_dword v[3:4], v5 offset:64
.LBB55_18:
	s_or_b32 exec_lo, exec_lo, s10
	s_cbranch_execz .LBB55_21
.LBB55_19:
	s_endpgm
.LBB55_20:
.LBB55_21:
	s_and_saveexec_b32 s1, s0
	s_cbranch_execz .LBB55_19
; %bb.22:
	v_mul_lo_u32 v5, v2, s14
	v_mul_lo_u32 v6, v1, s15
	v_mad_u64_u32 v[3:4], null, v1, s14, 0
	v_mul_lo_u32 v13, v2, s8
	v_mul_lo_u32 v14, v1, s9
	v_mad_u64_u32 v[11:12], null, v1, s8, 0
	s_lshl_b64 s[0:1], s[16:17], 2
	v_add3_u32 v4, v4, v6, v5
	v_add_co_u32 v5, s2, s6, v0
	v_add_co_ci_u32_e64 v6, null, s7, 0, s2
	v_add3_u32 v12, v12, v14, v13
	v_lshlrev_b64 v[3:4], 2, v[3:4]
	s_add_u32 s0, s12, s0
	s_addc_u32 s1, s13, s1
	v_cmp_gt_i64_e32 vcc_lo, s[28:29], v[5:6]
	v_lshlrev_b64 v[12:13], 2, v[11:12]
	v_add_co_u32 v0, s0, s0, v3
	v_add_co_ci_u32_e64 v11, null, s1, v4, s0
	v_add_co_u32 v12, s0, s5, v12
	v_lshlrev_b64 v[3:4], 2, v[5:6]
	v_add_co_ci_u32_e64 v13, null, s3, v13, s0
	s_and_saveexec_b32 s1, vcc_lo
	s_cbranch_execz .LBB55_24
; %bb.23:
	v_add_co_u32 v14, s0, v0, v3
	v_add_co_ci_u32_e64 v15, null, v11, v4, s0
	flat_load_dword v14, v[14:15]
	s_waitcnt vmcnt(0) lgkmcnt(0)
	v_mul_f32_e32 v16, s20, v14
	v_add_co_u32 v14, s0, v12, v3
	v_add_co_ci_u32_e64 v15, null, v13, v4, s0
	v_fmac_f32_e32 v16, s4, v10
	flat_store_dword v[14:15], v16
.LBB55_24:
	s_or_b32 exec_lo, exec_lo, s1
	v_add_co_u32 v5, s0, v5, 16
	v_add_co_ci_u32_e64 v6, null, 0, v6, s0
	v_cmp_gt_i64_e64 s0, s[28:29], v[5:6]
	s_and_saveexec_b32 s2, s0
	s_cbranch_execz .LBB55_26
; %bb.25:
	v_add_co_u32 v5, s1, v0, v3
	v_add_co_ci_u32_e64 v6, null, v11, v4, s1
	flat_load_dword v5, v[5:6] offset:64
	s_waitcnt vmcnt(0) lgkmcnt(0)
	v_mul_f32_e32 v10, s20, v5
	v_add_co_u32 v5, s1, v12, v3
	v_add_co_ci_u32_e64 v6, null, v13, v4, s1
	v_fmac_f32_e32 v10, s4, v9
	flat_store_dword v[5:6], v10 offset:64
.LBB55_26:
	s_or_b32 exec_lo, exec_lo, s2
	v_add_co_u32 v1, s1, v1, 16
	v_add_co_ci_u32_e64 v2, null, 0, v2, s1
	v_cmp_gt_i64_e64 s1, s[30:31], v[1:2]
	s_and_b32 exec_lo, exec_lo, s1
	s_cbranch_execz .LBB55_19
; %bb.27:
	s_lshl_b64 s[2:3], s[14:15], 6
	v_add_co_u32 v0, s1, v0, s2
	v_add_co_ci_u32_e64 v1, null, s3, v11, s1
	s_lshl_b64 s[2:3], s[8:9], 6
	v_add_co_u32 v2, s1, v12, s2
	v_add_co_ci_u32_e64 v5, null, s3, v13, s1
	v_add_co_u32 v0, s1, v0, v3
	v_add_co_ci_u32_e64 v1, null, v1, v4, s1
	;; [unrolled: 2-line block ×3, first 2 shown]
	s_and_saveexec_b32 s1, vcc_lo
	s_cbranch_execz .LBB55_29
; %bb.28:
	flat_load_dword v4, v[0:1]
	s_waitcnt vmcnt(0) lgkmcnt(0)
	v_mul_f32_e32 v4, s20, v4
	v_fmac_f32_e32 v4, s4, v8
	flat_store_dword v[2:3], v4
.LBB55_29:
	s_or_b32 exec_lo, exec_lo, s1
	s_and_b32 exec_lo, exec_lo, s0
	s_cbranch_execz .LBB55_19
; %bb.30:
	flat_load_dword v0, v[0:1] offset:64
	s_waitcnt vmcnt(0) lgkmcnt(0)
	v_mul_f32_e32 v0, s20, v0
	v_fmac_f32_e32 v0, s4, v7
	flat_store_dword v[2:3], v0 offset:64
	s_endpgm
	.section	.rodata,"a",@progbits
	.p2align	6, 0x0
	.amdhsa_kernel _ZN12_GLOBAL__N_135rocblas_gemm_batched_general_kernelIfLi16ELi16ELi32ELi32ELi8ELi32ELi8ELi8ELi32ELc84ELc67EKPKfS3_KPfEEvlllT_PT11_llS8_llS6_PT12_llPT13_lli
		.amdhsa_group_segment_fixed_size 2048
		.amdhsa_private_segment_fixed_size 0
		.amdhsa_kernarg_size 140
		.amdhsa_user_sgpr_count 6
		.amdhsa_user_sgpr_private_segment_buffer 1
		.amdhsa_user_sgpr_dispatch_ptr 0
		.amdhsa_user_sgpr_queue_ptr 0
		.amdhsa_user_sgpr_kernarg_segment_ptr 1
		.amdhsa_user_sgpr_dispatch_id 0
		.amdhsa_user_sgpr_flat_scratch_init 0
		.amdhsa_user_sgpr_private_segment_size 0
		.amdhsa_wavefront_size32 1
		.amdhsa_uses_dynamic_stack 0
		.amdhsa_system_sgpr_private_segment_wavefront_offset 0
		.amdhsa_system_sgpr_workgroup_id_x 1
		.amdhsa_system_sgpr_workgroup_id_y 1
		.amdhsa_system_sgpr_workgroup_id_z 1
		.amdhsa_system_sgpr_workgroup_info 0
		.amdhsa_system_vgpr_workitem_id 1
		.amdhsa_next_free_vgpr 44
		.amdhsa_next_free_sgpr 44
		.amdhsa_reserve_vcc 1
		.amdhsa_reserve_flat_scratch 0
		.amdhsa_float_round_mode_32 0
		.amdhsa_float_round_mode_16_64 0
		.amdhsa_float_denorm_mode_32 3
		.amdhsa_float_denorm_mode_16_64 3
		.amdhsa_dx10_clamp 1
		.amdhsa_ieee_mode 1
		.amdhsa_fp16_overflow 0
		.amdhsa_workgroup_processor_mode 1
		.amdhsa_memory_ordered 1
		.amdhsa_forward_progress 1
		.amdhsa_shared_vgpr_count 0
		.amdhsa_exception_fp_ieee_invalid_op 0
		.amdhsa_exception_fp_denorm_src 0
		.amdhsa_exception_fp_ieee_div_zero 0
		.amdhsa_exception_fp_ieee_overflow 0
		.amdhsa_exception_fp_ieee_underflow 0
		.amdhsa_exception_fp_ieee_inexact 0
		.amdhsa_exception_int_div_zero 0
	.end_amdhsa_kernel
	.section	.text._ZN12_GLOBAL__N_135rocblas_gemm_batched_general_kernelIfLi16ELi16ELi32ELi32ELi8ELi32ELi8ELi8ELi32ELc84ELc67EKPKfS3_KPfEEvlllT_PT11_llS8_llS6_PT12_llPT13_lli,"axG",@progbits,_ZN12_GLOBAL__N_135rocblas_gemm_batched_general_kernelIfLi16ELi16ELi32ELi32ELi8ELi32ELi8ELi8ELi32ELc84ELc67EKPKfS3_KPfEEvlllT_PT11_llS8_llS6_PT12_llPT13_lli,comdat
.Lfunc_end55:
	.size	_ZN12_GLOBAL__N_135rocblas_gemm_batched_general_kernelIfLi16ELi16ELi32ELi32ELi8ELi32ELi8ELi8ELi32ELc84ELc67EKPKfS3_KPfEEvlllT_PT11_llS8_llS6_PT12_llPT13_lli, .Lfunc_end55-_ZN12_GLOBAL__N_135rocblas_gemm_batched_general_kernelIfLi16ELi16ELi32ELi32ELi8ELi32ELi8ELi8ELi32ELc84ELc67EKPKfS3_KPfEEvlllT_PT11_llS8_llS6_PT12_llPT13_lli
                                        ; -- End function
	.set _ZN12_GLOBAL__N_135rocblas_gemm_batched_general_kernelIfLi16ELi16ELi32ELi32ELi8ELi32ELi8ELi8ELi32ELc84ELc67EKPKfS3_KPfEEvlllT_PT11_llS8_llS6_PT12_llPT13_lli.num_vgpr, 44
	.set _ZN12_GLOBAL__N_135rocblas_gemm_batched_general_kernelIfLi16ELi16ELi32ELi32ELi8ELi32ELi8ELi8ELi32ELc84ELc67EKPKfS3_KPfEEvlllT_PT11_llS8_llS6_PT12_llPT13_lli.num_agpr, 0
	.set _ZN12_GLOBAL__N_135rocblas_gemm_batched_general_kernelIfLi16ELi16ELi32ELi32ELi8ELi32ELi8ELi8ELi32ELc84ELc67EKPKfS3_KPfEEvlllT_PT11_llS8_llS6_PT12_llPT13_lli.numbered_sgpr, 44
	.set _ZN12_GLOBAL__N_135rocblas_gemm_batched_general_kernelIfLi16ELi16ELi32ELi32ELi8ELi32ELi8ELi8ELi32ELc84ELc67EKPKfS3_KPfEEvlllT_PT11_llS8_llS6_PT12_llPT13_lli.num_named_barrier, 0
	.set _ZN12_GLOBAL__N_135rocblas_gemm_batched_general_kernelIfLi16ELi16ELi32ELi32ELi8ELi32ELi8ELi8ELi32ELc84ELc67EKPKfS3_KPfEEvlllT_PT11_llS8_llS6_PT12_llPT13_lli.private_seg_size, 0
	.set _ZN12_GLOBAL__N_135rocblas_gemm_batched_general_kernelIfLi16ELi16ELi32ELi32ELi8ELi32ELi8ELi8ELi32ELc84ELc67EKPKfS3_KPfEEvlllT_PT11_llS8_llS6_PT12_llPT13_lli.uses_vcc, 1
	.set _ZN12_GLOBAL__N_135rocblas_gemm_batched_general_kernelIfLi16ELi16ELi32ELi32ELi8ELi32ELi8ELi8ELi32ELc84ELc67EKPKfS3_KPfEEvlllT_PT11_llS8_llS6_PT12_llPT13_lli.uses_flat_scratch, 0
	.set _ZN12_GLOBAL__N_135rocblas_gemm_batched_general_kernelIfLi16ELi16ELi32ELi32ELi8ELi32ELi8ELi8ELi32ELc84ELc67EKPKfS3_KPfEEvlllT_PT11_llS8_llS6_PT12_llPT13_lli.has_dyn_sized_stack, 0
	.set _ZN12_GLOBAL__N_135rocblas_gemm_batched_general_kernelIfLi16ELi16ELi32ELi32ELi8ELi32ELi8ELi8ELi32ELc84ELc67EKPKfS3_KPfEEvlllT_PT11_llS8_llS6_PT12_llPT13_lli.has_recursion, 0
	.set _ZN12_GLOBAL__N_135rocblas_gemm_batched_general_kernelIfLi16ELi16ELi32ELi32ELi8ELi32ELi8ELi8ELi32ELc84ELc67EKPKfS3_KPfEEvlllT_PT11_llS8_llS6_PT12_llPT13_lli.has_indirect_call, 0
	.section	.AMDGPU.csdata,"",@progbits
; Kernel info:
; codeLenInByte = 1908
; TotalNumSgprs: 46
; NumVgprs: 44
; ScratchSize: 0
; MemoryBound: 0
; FloatMode: 240
; IeeeMode: 1
; LDSByteSize: 2048 bytes/workgroup (compile time only)
; SGPRBlocks: 0
; VGPRBlocks: 5
; NumSGPRsForWavesPerEU: 46
; NumVGPRsForWavesPerEU: 44
; Occupancy: 16
; WaveLimiterHint : 1
; COMPUTE_PGM_RSRC2:SCRATCH_EN: 0
; COMPUTE_PGM_RSRC2:USER_SGPR: 6
; COMPUTE_PGM_RSRC2:TRAP_HANDLER: 0
; COMPUTE_PGM_RSRC2:TGID_X_EN: 1
; COMPUTE_PGM_RSRC2:TGID_Y_EN: 1
; COMPUTE_PGM_RSRC2:TGID_Z_EN: 1
; COMPUTE_PGM_RSRC2:TIDIG_COMP_CNT: 1
	.section	.text._ZN12_GLOBAL__N_120gemm_ex_scale_kernelILi32ELi32EDF16_PKPKDF16_PKPDF16_EEviiT1_T2_lllT3_llli,"axG",@progbits,_ZN12_GLOBAL__N_120gemm_ex_scale_kernelILi32ELi32EDF16_PKPKDF16_PKPDF16_EEviiT1_T2_lllT3_llli,comdat
	.globl	_ZN12_GLOBAL__N_120gemm_ex_scale_kernelILi32ELi32EDF16_PKPKDF16_PKPDF16_EEviiT1_T2_lllT3_llli ; -- Begin function _ZN12_GLOBAL__N_120gemm_ex_scale_kernelILi32ELi32EDF16_PKPKDF16_PKPDF16_EEviiT1_T2_lllT3_llli
	.p2align	8
	.type	_ZN12_GLOBAL__N_120gemm_ex_scale_kernelILi32ELi32EDF16_PKPKDF16_PKPDF16_EEviiT1_T2_lllT3_llli,@function
_ZN12_GLOBAL__N_120gemm_ex_scale_kernelILi32ELi32EDF16_PKPKDF16_PKPDF16_EEviiT1_T2_lllT3_llli: ; @_ZN12_GLOBAL__N_120gemm_ex_scale_kernelILi32ELi32EDF16_PKPKDF16_PKPDF16_EEviiT1_T2_lllT3_llli
; %bb.0:
	s_clause 0x1
	s_load_dwordx8 s[12:19], s[4:5], 0x0
	s_load_dwordx2 s[10:11], s[4:5], 0x20
	s_mov_b32 s9, 0
	s_waitcnt lgkmcnt(0)
	v_cmp_eq_f16_e64 s15, s14, 0
	s_and_b32 vcc_lo, exec_lo, s15
	s_cbranch_vccnz .LBB56_2
; %bb.1:
	s_lshl_b64 s[0:1], s[8:9], 3
	s_add_u32 s0, s16, s0
	s_addc_u32 s1, s17, s1
	s_lshl_b64 s[2:3], s[18:19], 1
	s_load_dwordx2 s[0:1], s[0:1], 0x0
	s_waitcnt lgkmcnt(0)
	s_add_u32 s16, s0, s2
	s_addc_u32 s17, s1, s3
	s_branch .LBB56_3
.LBB56_2:
	s_mov_b64 s[16:17], 0
.LBB56_3:
	v_lshl_add_u32 v0, s6, 5, v0
	v_lshl_add_u32 v4, s7, 5, v1
	v_cmp_gt_u32_e32 vcc_lo, s12, v0
	v_cmp_gt_u32_e64 s0, s13, v4
	s_and_b32 s0, vcc_lo, s0
	s_and_saveexec_b32 s1, s0
	s_cbranch_execz .LBB56_9
; %bb.4:
	s_load_dwordx4 s[0:3], s[4:5], 0x30
	s_lshl_b64 s[6:7], s[8:9], 3
	s_load_dwordx2 s[4:5], s[4:5], 0x40
	v_mov_b32_e32 v1, 0
	s_waitcnt lgkmcnt(0)
	s_add_u32 s0, s0, s6
	s_addc_u32 s1, s1, s7
	s_andn2_b32 vcc_lo, exec_lo, s15
	s_load_dwordx2 s[0:1], s[0:1], 0x0
	s_cbranch_vccnz .LBB56_6
; %bb.5:
	v_mov_b32_e32 v3, 0
	v_mov_b32_e32 v2, v0
	s_cbranch_execz .LBB56_7
	s_branch .LBB56_8
.LBB56_6:
	v_mov_b32_e32 v3, v1
	v_mov_b32_e32 v2, v0
.LBB56_7:
	v_mad_u64_u32 v[5:6], null, s10, v4, 0
	v_lshlrev_b64 v[0:1], 1, v[0:1]
	v_mad_u64_u32 v[6:7], null, s11, v4, v[6:7]
	v_lshlrev_b64 v[5:6], 1, v[5:6]
	v_add_co_u32 v5, vcc_lo, s16, v5
	v_add_co_ci_u32_e64 v6, null, s17, v6, vcc_lo
	v_add_co_u32 v0, vcc_lo, v5, v0
	v_add_co_ci_u32_e64 v1, null, v6, v1, vcc_lo
	flat_load_ushort v0, v[0:1]
	s_waitcnt vmcnt(0) lgkmcnt(0)
	v_mul_f16_e32 v1, s14, v0
.LBB56_8:
	v_mad_u64_u32 v[5:6], null, s4, v4, 0
	s_lshl_b64 s[2:3], s[2:3], 1
	v_lshlrev_b64 v[2:3], 1, v[2:3]
	s_waitcnt lgkmcnt(0)
	s_add_u32 s0, s0, s2
	s_addc_u32 s1, s1, s3
	v_mov_b32_e32 v0, v6
	v_mad_u64_u32 v[6:7], null, s5, v4, v[0:1]
	v_lshlrev_b64 v[4:5], 1, v[5:6]
	v_add_co_u32 v0, vcc_lo, s0, v4
	v_add_co_ci_u32_e64 v4, null, s1, v5, vcc_lo
	v_add_co_u32 v2, vcc_lo, v0, v2
	v_add_co_ci_u32_e64 v3, null, v4, v3, vcc_lo
	flat_store_short v[2:3], v1
.LBB56_9:
	s_endpgm
	.section	.rodata,"a",@progbits
	.p2align	6, 0x0
	.amdhsa_kernel _ZN12_GLOBAL__N_120gemm_ex_scale_kernelILi32ELi32EDF16_PKPKDF16_PKPDF16_EEviiT1_T2_lllT3_llli
		.amdhsa_group_segment_fixed_size 0
		.amdhsa_private_segment_fixed_size 0
		.amdhsa_kernarg_size 84
		.amdhsa_user_sgpr_count 6
		.amdhsa_user_sgpr_private_segment_buffer 1
		.amdhsa_user_sgpr_dispatch_ptr 0
		.amdhsa_user_sgpr_queue_ptr 0
		.amdhsa_user_sgpr_kernarg_segment_ptr 1
		.amdhsa_user_sgpr_dispatch_id 0
		.amdhsa_user_sgpr_flat_scratch_init 0
		.amdhsa_user_sgpr_private_segment_size 0
		.amdhsa_wavefront_size32 1
		.amdhsa_uses_dynamic_stack 0
		.amdhsa_system_sgpr_private_segment_wavefront_offset 0
		.amdhsa_system_sgpr_workgroup_id_x 1
		.amdhsa_system_sgpr_workgroup_id_y 1
		.amdhsa_system_sgpr_workgroup_id_z 1
		.amdhsa_system_sgpr_workgroup_info 0
		.amdhsa_system_vgpr_workitem_id 1
		.amdhsa_next_free_vgpr 8
		.amdhsa_next_free_sgpr 20
		.amdhsa_reserve_vcc 1
		.amdhsa_reserve_flat_scratch 0
		.amdhsa_float_round_mode_32 0
		.amdhsa_float_round_mode_16_64 0
		.amdhsa_float_denorm_mode_32 3
		.amdhsa_float_denorm_mode_16_64 3
		.amdhsa_dx10_clamp 1
		.amdhsa_ieee_mode 1
		.amdhsa_fp16_overflow 0
		.amdhsa_workgroup_processor_mode 1
		.amdhsa_memory_ordered 1
		.amdhsa_forward_progress 1
		.amdhsa_shared_vgpr_count 0
		.amdhsa_exception_fp_ieee_invalid_op 0
		.amdhsa_exception_fp_denorm_src 0
		.amdhsa_exception_fp_ieee_div_zero 0
		.amdhsa_exception_fp_ieee_overflow 0
		.amdhsa_exception_fp_ieee_underflow 0
		.amdhsa_exception_fp_ieee_inexact 0
		.amdhsa_exception_int_div_zero 0
	.end_amdhsa_kernel
	.section	.text._ZN12_GLOBAL__N_120gemm_ex_scale_kernelILi32ELi32EDF16_PKPKDF16_PKPDF16_EEviiT1_T2_lllT3_llli,"axG",@progbits,_ZN12_GLOBAL__N_120gemm_ex_scale_kernelILi32ELi32EDF16_PKPKDF16_PKPDF16_EEviiT1_T2_lllT3_llli,comdat
.Lfunc_end56:
	.size	_ZN12_GLOBAL__N_120gemm_ex_scale_kernelILi32ELi32EDF16_PKPKDF16_PKPDF16_EEviiT1_T2_lllT3_llli, .Lfunc_end56-_ZN12_GLOBAL__N_120gemm_ex_scale_kernelILi32ELi32EDF16_PKPKDF16_PKPDF16_EEviiT1_T2_lllT3_llli
                                        ; -- End function
	.set _ZN12_GLOBAL__N_120gemm_ex_scale_kernelILi32ELi32EDF16_PKPKDF16_PKPDF16_EEviiT1_T2_lllT3_llli.num_vgpr, 8
	.set _ZN12_GLOBAL__N_120gemm_ex_scale_kernelILi32ELi32EDF16_PKPKDF16_PKPDF16_EEviiT1_T2_lllT3_llli.num_agpr, 0
	.set _ZN12_GLOBAL__N_120gemm_ex_scale_kernelILi32ELi32EDF16_PKPKDF16_PKPDF16_EEviiT1_T2_lllT3_llli.numbered_sgpr, 20
	.set _ZN12_GLOBAL__N_120gemm_ex_scale_kernelILi32ELi32EDF16_PKPKDF16_PKPDF16_EEviiT1_T2_lllT3_llli.num_named_barrier, 0
	.set _ZN12_GLOBAL__N_120gemm_ex_scale_kernelILi32ELi32EDF16_PKPKDF16_PKPDF16_EEviiT1_T2_lllT3_llli.private_seg_size, 0
	.set _ZN12_GLOBAL__N_120gemm_ex_scale_kernelILi32ELi32EDF16_PKPKDF16_PKPDF16_EEviiT1_T2_lllT3_llli.uses_vcc, 1
	.set _ZN12_GLOBAL__N_120gemm_ex_scale_kernelILi32ELi32EDF16_PKPKDF16_PKPDF16_EEviiT1_T2_lllT3_llli.uses_flat_scratch, 0
	.set _ZN12_GLOBAL__N_120gemm_ex_scale_kernelILi32ELi32EDF16_PKPKDF16_PKPDF16_EEviiT1_T2_lllT3_llli.has_dyn_sized_stack, 0
	.set _ZN12_GLOBAL__N_120gemm_ex_scale_kernelILi32ELi32EDF16_PKPKDF16_PKPDF16_EEviiT1_T2_lllT3_llli.has_recursion, 0
	.set _ZN12_GLOBAL__N_120gemm_ex_scale_kernelILi32ELi32EDF16_PKPKDF16_PKPDF16_EEviiT1_T2_lllT3_llli.has_indirect_call, 0
	.section	.AMDGPU.csdata,"",@progbits
; Kernel info:
; codeLenInByte = 380
; TotalNumSgprs: 22
; NumVgprs: 8
; ScratchSize: 0
; MemoryBound: 0
; FloatMode: 240
; IeeeMode: 1
; LDSByteSize: 0 bytes/workgroup (compile time only)
; SGPRBlocks: 0
; VGPRBlocks: 0
; NumSGPRsForWavesPerEU: 22
; NumVGPRsForWavesPerEU: 8
; Occupancy: 16
; WaveLimiterHint : 1
; COMPUTE_PGM_RSRC2:SCRATCH_EN: 0
; COMPUTE_PGM_RSRC2:USER_SGPR: 6
; COMPUTE_PGM_RSRC2:TRAP_HANDLER: 0
; COMPUTE_PGM_RSRC2:TGID_X_EN: 1
; COMPUTE_PGM_RSRC2:TGID_Y_EN: 1
; COMPUTE_PGM_RSRC2:TGID_Z_EN: 1
; COMPUTE_PGM_RSRC2:TIDIG_COMP_CNT: 1
	.section	.text._ZN12_GLOBAL__N_127rocblas_gemm_batched_kernelIDF16_Li16ELi16ELi64ELi64ELi4ELi64ELi4ELi4ELi64ELc78ELc78EKPKDF16_S3_KPDF16_EEvlllT_PT11_llS8_llS6_PT12_llPT13_lli,"axG",@progbits,_ZN12_GLOBAL__N_127rocblas_gemm_batched_kernelIDF16_Li16ELi16ELi64ELi64ELi4ELi64ELi4ELi4ELi64ELc78ELc78EKPKDF16_S3_KPDF16_EEvlllT_PT11_llS8_llS6_PT12_llPT13_lli,comdat
	.globl	_ZN12_GLOBAL__N_127rocblas_gemm_batched_kernelIDF16_Li16ELi16ELi64ELi64ELi4ELi64ELi4ELi4ELi64ELc78ELc78EKPKDF16_S3_KPDF16_EEvlllT_PT11_llS8_llS6_PT12_llPT13_lli ; -- Begin function _ZN12_GLOBAL__N_127rocblas_gemm_batched_kernelIDF16_Li16ELi16ELi64ELi64ELi4ELi64ELi4ELi4ELi64ELc78ELc78EKPKDF16_S3_KPDF16_EEvlllT_PT11_llS8_llS6_PT12_llPT13_lli
	.p2align	8
	.type	_ZN12_GLOBAL__N_127rocblas_gemm_batched_kernelIDF16_Li16ELi16ELi64ELi64ELi4ELi64ELi4ELi4ELi64ELc78ELc78EKPKDF16_S3_KPDF16_EEvlllT_PT11_llS8_llS6_PT12_llPT13_lli,@function
_ZN12_GLOBAL__N_127rocblas_gemm_batched_kernelIDF16_Li16ELi16ELi64ELi64ELi4ELi64ELi4ELi4ELi64ELc78ELc78EKPKDF16_S3_KPDF16_EEvlllT_PT11_llS8_llS6_PT12_llPT13_lli: ; @_ZN12_GLOBAL__N_127rocblas_gemm_batched_kernelIDF16_Li16ELi16ELi64ELi64ELi4ELi64ELi4ELi4ELi64ELc78ELc78EKPKDF16_S3_KPDF16_EEvlllT_PT11_llS8_llS6_PT12_llPT13_lli
; %bb.0:
	s_clause 0x1
	s_load_dwordx8 s[12:19], s[4:5], 0x58
	s_load_dwordx2 s[30:31], s[4:5], 0x10
	s_mov_b32 s9, 0
	s_mov_b32 s0, s7
	s_lshl_b64 s[34:35], s[8:9], 3
	s_load_dwordx4 s[8:11], s[4:5], 0x78
	s_waitcnt lgkmcnt(0)
	s_add_u32 s2, s12, s34
	s_addc_u32 s3, s13, s35
	s_add_u32 s18, s18, s34
	s_addc_u32 s19, s19, s35
	s_load_dwordx2 s[12:13], s[2:3], 0x0
	s_load_dwordx2 s[18:19], s[18:19], 0x0
	v_cmp_lt_i64_e64 s2, s[30:31], 1
	s_ashr_i32 s7, s6, 31
	s_ashr_i32 s1, s0, 31
	s_lshl_b64 s[6:7], s[6:7], 6
	s_lshl_b64 s[28:29], s[0:1], 6
	s_and_b32 vcc_lo, exec_lo, s2
	s_cbranch_vccnz .LBB57_3
; %bb.1:
	s_load_dwordx4 s[0:3], s[4:5], 0x40
	v_lshl_add_u32 v2, v1, 4, v0
	s_load_dwordx8 s[20:27], s[4:5], 0x20
	v_and_b32_e32 v3, 3, v0
	v_lshlrev_b32_e32 v14, 1, v0
	v_lshl_add_u32 v15, v1, 3, 0x200
	v_lshrrev_b32_e32 v4, 2, v2
	v_and_b32_e32 v7, 63, v2
	v_lshrrev_b32_e32 v8, 6, v2
	v_lshlrev_b32_e32 v9, 1, v3
	v_mov_b32_e32 v13, 0
	v_add_co_u32 v5, s33, v4, s28
	v_add_co_ci_u32_e64 v6, null, 0, s29, s33
	v_lshl_or_b32 v12, v4, 3, v9
	v_lshlrev_b32_e32 v10, 1, v7
	v_add_nc_u32_e32 v17, 0x200, v12
	s_waitcnt lgkmcnt(0)
	v_mul_lo_u32 v11, s1, v5
	v_mul_lo_u32 v6, s0, v6
	v_mad_u64_u32 v[2:3], null, s0, v5, 0
	v_mad_u64_u32 v[4:5], null, s22, v8, s[6:7]
	s_add_u32 s0, s20, s34
	s_addc_u32 s1, s21, s35
	s_add_u32 s20, s26, s34
	s_addc_u32 s21, s27, s35
	v_add3_u32 v3, v3, v6, v11
	s_load_dwordx2 s[20:21], s[20:21], 0x0
	s_load_dwordx2 s[0:1], s[0:1], 0x0
	v_mad_u64_u32 v[5:6], null, s23, v8, v[5:6]
	v_lshlrev_b64 v[2:3], 1, v[2:3]
	s_lshl_b64 s[2:3], s[2:3], 1
	v_lshl_or_b32 v16, v8, 7, v10
	v_mov_b32_e32 v10, 0
	v_mov_b32_e32 v11, 0
	;; [unrolled: 1-line block ×3, first 2 shown]
	v_add_co_u32 v6, vcc_lo, v2, s2
	v_add_co_ci_u32_e64 v8, null, s3, v3, vcc_lo
	v_add_co_u32 v2, vcc_lo, v4, v7
	v_add_co_ci_u32_e64 v3, null, 0, v5, vcc_lo
	;; [unrolled: 2-line block ×3, first 2 shown]
	v_lshlrev_b64 v[4:5], 1, v[2:3]
	s_lshl_b64 s[2:3], s[24:25], 1
	s_waitcnt lgkmcnt(0)
	v_add_co_u32 v2, vcc_lo, s20, v6
	s_add_u32 s0, s0, s2
	v_add_co_ci_u32_e64 v3, null, s21, v7, vcc_lo
	s_addc_u32 s1, s1, s3
	v_add_co_u32 v4, vcc_lo, s0, v4
	v_add_co_ci_u32_e64 v5, null, s1, v5, vcc_lo
	v_mov_b32_e32 v6, 0
	v_mov_b32_e32 v7, 0
	;; [unrolled: 1-line block ×4, first 2 shown]
	s_lshl_b64 s[2:3], s[22:23], 3
	s_mov_b64 s[20:21], 0
.LBB57_2:                               ; =>This Inner Loop Header: Depth=1
	flat_load_ushort v18, v[4:5]
	s_add_u32 s20, s20, 4
	s_addc_u32 s21, s21, 0
	v_add_co_u32 v4, vcc_lo, v4, s2
	v_cmp_lt_i64_e64 s0, s[20:21], s[30:31]
	v_add_co_ci_u32_e64 v5, null, s3, v5, vcc_lo
	s_and_b32 vcc_lo, exec_lo, s0
	s_waitcnt vmcnt(0) lgkmcnt(0)
	ds_write_b16 v16, v18
	flat_load_ushort v18, v[2:3]
	v_add_co_u32 v2, s0, v2, 8
	v_add_co_ci_u32_e64 v3, null, 0, v3, s0
	s_waitcnt vmcnt(0) lgkmcnt(0)
	ds_write_b16 v17, v18
	s_waitcnt lgkmcnt(0)
	s_barrier
	buffer_gl0_inv
	ds_read_u16 v26, v14 offset:32
	ds_read_u16 v27, v14 offset:96
	;; [unrolled: 1-line block ×8, first 2 shown]
	ds_read2_b64 v[18:21], v15 offset1:16
	ds_read2_b64 v[22:25], v15 offset0:32 offset1:48
	s_waitcnt lgkmcnt(9)
	ds_read_u16_d16_hi v26, v14
	s_waitcnt lgkmcnt(9)
	ds_read_u16_d16_hi v27, v14 offset:64
	s_waitcnt lgkmcnt(9)
	ds_read_u16_d16_hi v28, v14 offset:128
	;; [unrolled: 2-line block ×7, first 2 shown]
	s_waitcnt lgkmcnt(0)
	s_barrier
	buffer_gl0_inv
	v_pk_fma_f16 v13, v26, v18, v13 op_sel_hi:[1,0,1]
	v_pk_fma_f16 v12, v27, v18, v12 op_sel_hi:[1,0,1]
	;; [unrolled: 1-line block ×8, first 2 shown]
	v_pk_fma_f16 v13, v28, v18, v13 op_sel:[0,1,0]
	v_pk_fma_f16 v12, v29, v18, v12 op_sel:[0,1,0]
	;; [unrolled: 1-line block ×8, first 2 shown]
	v_pk_fma_f16 v13, v30, v19, v13 op_sel_hi:[1,0,1]
	v_pk_fma_f16 v12, v31, v19, v12 op_sel_hi:[1,0,1]
	;; [unrolled: 1-line block ×8, first 2 shown]
	v_pk_fma_f16 v13, v32, v19, v13 op_sel:[0,1,0]
	v_pk_fma_f16 v12, v33, v19, v12 op_sel:[0,1,0]
	;; [unrolled: 1-line block ×8, first 2 shown]
	s_cbranch_vccnz .LBB57_2
	s_branch .LBB57_4
.LBB57_3:
	v_mov_b32_e32 v13, 0
	v_mov_b32_e32 v12, 0
	v_mov_b32_e32 v11, 0
	v_mov_b32_e32 v10, 0
	v_mov_b32_e32 v9, 0
	v_mov_b32_e32 v8, 0
	v_mov_b32_e32 v7, 0
	v_mov_b32_e32 v6, 0
.LBB57_4:
	s_clause 0x1
	s_load_dword s1, s[4:5], 0x50
	s_load_dword s0, s[4:5], 0x18
	v_add_co_u32 v17, s4, s28, v1
	v_add_co_ci_u32_e64 v21, null, s29, 0, s4
	v_add_co_u32 v0, s4, s6, v0
	v_add_co_ci_u32_e64 v1, null, s7, 0, s4
	v_mul_lo_u32 v19, v21, s8
	v_mul_lo_u32 v20, v17, s9
	s_lshl_b64 s[2:3], s[10:11], 1
	v_lshlrev_b64 v[0:1], 1, v[0:1]
	v_lshrrev_b32_e32 v18, 16, v13
	v_lshrrev_b32_e32 v16, 16, v12
	;; [unrolled: 1-line block ×6, first 2 shown]
	s_waitcnt lgkmcnt(0)
	v_cmp_neq_f16_e64 s4, s1, 0
	v_lshrrev_b32_e32 v3, 16, v7
	v_lshrrev_b32_e32 v2, 16, v6
	s_add_u32 s2, s18, s2
	s_addc_u32 s3, s19, s3
	s_and_b32 vcc_lo, exec_lo, s4
	s_mov_b32 s4, 0
	s_cbranch_vccnz .LBB57_8
; %bb.5:
	v_mad_u64_u32 v[22:23], null, v17, s8, 0
	s_lshl_b64 s[6:7], s[8:9], 5
	v_mul_f16_sdwa v26, s0, v13 dst_sel:DWORD dst_unused:UNUSED_PAD src0_sel:DWORD src1_sel:WORD_1
	v_mul_f16_e32 v27, s0, v13
	v_mul_f16_sdwa v28, s0, v12 dst_sel:DWORD dst_unused:UNUSED_PAD src0_sel:DWORD src1_sel:WORD_1
	v_mul_f16_e32 v29, s0, v12
	v_mul_f16_sdwa v30, s0, v11 dst_sel:DWORD dst_unused:UNUSED_PAD src0_sel:DWORD src1_sel:WORD_1
	v_add3_u32 v23, v23, v20, v19
	v_mul_f16_e32 v31, s0, v11
	v_mul_f16_sdwa v32, s0, v10 dst_sel:DWORD dst_unused:UNUSED_PAD src0_sel:DWORD src1_sel:WORD_1
	v_mul_f16_e32 v33, s0, v10
	v_lshlrev_b64 v[22:23], 1, v[22:23]
	v_add_co_u32 v22, vcc_lo, s2, v22
	v_add_co_ci_u32_e64 v23, null, s3, v23, vcc_lo
	v_add_co_u32 v34, vcc_lo, v22, s6
	v_add_co_ci_u32_e64 v35, null, s7, v23, vcc_lo
	;; [unrolled: 2-line block ×4, first 2 shown]
	flat_store_short v[22:23], v26
	flat_store_short v[22:23], v27 offset:32
	flat_store_short v[22:23], v28 offset:64
	;; [unrolled: 1-line block ×3, first 2 shown]
	flat_store_short v[24:25], v30
	flat_store_short v[24:25], v31 offset:32
	v_add_co_u32 v26, vcc_lo, v34, s6
	v_add_co_ci_u32_e64 v27, null, s7, v35, vcc_lo
	v_mul_f16_sdwa v28, s0, v9 dst_sel:DWORD dst_unused:UNUSED_PAD src0_sel:DWORD src1_sel:WORD_1
	v_add_co_u32 v22, vcc_lo, v26, v0
	v_add_co_ci_u32_e64 v23, null, v27, v1, vcc_lo
	v_mul_f16_e32 v29, s0, v9
	v_mul_f16_sdwa v30, s0, v8 dst_sel:DWORD dst_unused:UNUSED_PAD src0_sel:DWORD src1_sel:WORD_1
	flat_store_short v[24:25], v32 offset:64
	flat_store_short v[24:25], v33 offset:96
	flat_store_short v[22:23], v28
	flat_store_short v[22:23], v29 offset:32
	flat_store_short v[22:23], v30 offset:64
	v_add_co_u32 v24, vcc_lo, v26, s6
	v_add_co_ci_u32_e64 v25, null, s7, v27, vcc_lo
	v_mul_f16_e32 v28, s0, v8
	v_add_co_u32 v24, vcc_lo, v24, v0
	v_mul_f16_sdwa v26, s0, v7 dst_sel:DWORD dst_unused:UNUSED_PAD src0_sel:DWORD src1_sel:WORD_1
	v_add_co_ci_u32_e64 v25, null, v25, v1, vcc_lo
	v_mul_f16_e32 v27, s0, v7
	v_mul_f16_sdwa v29, s0, v6 dst_sel:DWORD dst_unused:UNUSED_PAD src0_sel:DWORD src1_sel:WORD_1
	v_mul_f16_e32 v30, s0, v6
	flat_store_short v[22:23], v28 offset:96
	flat_store_short v[24:25], v26
	flat_store_short v[24:25], v27 offset:32
	flat_store_short v[24:25], v29 offset:64
	flat_store_short v[24:25], v30 offset:96
	s_andn2_b32 vcc_lo, exec_lo, s4
	s_cbranch_vccnz .LBB57_7
.LBB57_6:
	v_mul_lo_u32 v23, v21, s14
	v_mul_lo_u32 v24, v17, s15
	v_mad_u64_u32 v[21:22], null, v17, s14, 0
	s_lshl_b64 s[4:5], s[16:17], 1
	s_add_u32 s4, s12, s4
	s_addc_u32 s5, s13, s5
	v_add3_u32 v22, v22, v24, v23
	v_mad_u64_u32 v[23:24], null, v17, s8, 0
	v_lshlrev_b64 v[21:22], 1, v[21:22]
	v_add3_u32 v24, v24, v20, v19
	v_add_co_u32 v25, vcc_lo, s4, v21
	v_add_co_ci_u32_e64 v26, null, s5, v22, vcc_lo
	v_lshlrev_b64 v[19:20], 1, v[23:24]
	v_add_co_u32 v21, vcc_lo, v25, v0
	v_add_co_ci_u32_e64 v22, null, v26, v1, vcc_lo
	s_lshl_b64 s[4:5], s[8:9], 5
	v_add_co_u32 v17, vcc_lo, s2, v19
	flat_load_ushort v27, v[21:22]
	v_add_co_ci_u32_e64 v23, null, s3, v20, vcc_lo
	v_add_co_u32 v19, vcc_lo, v17, v0
	s_lshl_b64 s[2:3], s[14:15], 5
	v_add_co_ci_u32_e64 v20, null, v23, v1, vcc_lo
	s_waitcnt vmcnt(0) lgkmcnt(0)
	v_mul_f16_e32 v24, s1, v27
	v_fmac_f16_e32 v24, s0, v18
	flat_store_short v[19:20], v24
	flat_load_ushort v18, v[21:22] offset:32
	s_waitcnt vmcnt(0) lgkmcnt(0)
	v_mul_f16_e32 v18, s1, v18
	v_fmac_f16_e32 v18, s0, v13
	flat_store_short v[19:20], v18 offset:32
	flat_load_ushort v13, v[21:22] offset:64
	v_add_co_u32 v18, vcc_lo, v25, s2
	s_waitcnt vmcnt(0) lgkmcnt(0)
	v_mul_f16_e32 v13, s1, v13
	v_fmac_f16_e32 v13, s0, v16
	flat_store_short v[19:20], v13 offset:64
	flat_load_ushort v13, v[21:22] offset:96
	v_add_co_ci_u32_e64 v21, null, s3, v26, vcc_lo
	s_waitcnt vmcnt(0) lgkmcnt(0)
	v_mul_f16_e32 v16, s1, v13
	v_fmac_f16_e32 v16, s0, v12
	v_add_co_u32 v12, vcc_lo, v18, v0
	v_add_co_ci_u32_e64 v13, null, v21, v1, vcc_lo
	flat_store_short v[19:20], v16 offset:96
	v_add_co_u32 v19, vcc_lo, v17, s4
	flat_load_ushort v16, v[12:13]
	v_add_co_ci_u32_e64 v20, null, s5, v23, vcc_lo
	s_waitcnt vmcnt(0) lgkmcnt(0)
	v_mul_f16_e32 v22, s1, v16
	v_add_co_u32 v16, vcc_lo, v19, v0
	v_add_co_ci_u32_e64 v17, null, v20, v1, vcc_lo
	v_fmac_f16_e32 v22, s0, v15
	flat_store_short v[16:17], v22
	flat_load_ushort v15, v[12:13] offset:32
	s_waitcnt vmcnt(0) lgkmcnt(0)
	v_mul_f16_e32 v15, s1, v15
	v_fmac_f16_e32 v15, s0, v11
	flat_store_short v[16:17], v15 offset:32
	flat_load_ushort v11, v[12:13] offset:64
	s_waitcnt vmcnt(0) lgkmcnt(0)
	v_mul_f16_e32 v11, s1, v11
	v_fmac_f16_e32 v11, s0, v14
	v_add_co_u32 v14, vcc_lo, v18, s2
	v_add_co_ci_u32_e64 v15, null, s3, v21, vcc_lo
	flat_store_short v[16:17], v11 offset:64
	flat_load_ushort v11, v[12:13] offset:96
	s_waitcnt vmcnt(0) lgkmcnt(0)
	v_mul_f16_e32 v12, s1, v11
	v_fmac_f16_e32 v12, s0, v10
	v_add_co_u32 v10, vcc_lo, v14, v0
	v_add_co_ci_u32_e64 v11, null, v15, v1, vcc_lo
	flat_store_short v[16:17], v12 offset:96
	v_add_co_u32 v16, vcc_lo, v19, s4
	flat_load_ushort v12, v[10:11]
	v_add_co_ci_u32_e64 v17, null, s5, v20, vcc_lo
	s_waitcnt vmcnt(0) lgkmcnt(0)
	v_mul_f16_e32 v18, s1, v12
	v_add_co_u32 v12, vcc_lo, v16, v0
	v_add_co_ci_u32_e64 v13, null, v17, v1, vcc_lo
	v_fmac_f16_e32 v18, s0, v5
	flat_store_short v[12:13], v18
	flat_load_ushort v5, v[10:11] offset:32
	s_waitcnt vmcnt(0) lgkmcnt(0)
	v_mul_f16_e32 v5, s1, v5
	v_fmac_f16_e32 v5, s0, v9
	flat_store_short v[12:13], v5 offset:32
	flat_load_ushort v5, v[10:11] offset:64
	s_waitcnt vmcnt(0) lgkmcnt(0)
	v_mul_f16_e32 v5, s1, v5
	v_fmac_f16_e32 v5, s0, v4
	flat_store_short v[12:13], v5 offset:64
	flat_load_ushort v4, v[10:11] offset:96
	s_waitcnt vmcnt(0) lgkmcnt(0)
	v_mul_f16_e32 v9, s1, v4
	v_add_co_u32 v4, vcc_lo, v14, s2
	v_add_co_ci_u32_e64 v5, null, s3, v15, vcc_lo
	v_fmac_f16_e32 v9, s0, v8
	v_add_co_u32 v4, vcc_lo, v4, v0
	v_add_co_ci_u32_e64 v5, null, v5, v1, vcc_lo
	flat_store_short v[12:13], v9 offset:96
	v_add_co_u32 v9, vcc_lo, v16, s4
	flat_load_ushort v8, v[4:5]
	v_add_co_ci_u32_e64 v10, null, s5, v17, vcc_lo
	v_add_co_u32 v0, vcc_lo, v9, v0
	v_add_co_ci_u32_e64 v1, null, v10, v1, vcc_lo
	s_waitcnt vmcnt(0) lgkmcnt(0)
	v_mul_f16_e32 v8, s1, v8
	v_fmac_f16_e32 v8, s0, v3
	flat_store_short v[0:1], v8
	flat_load_ushort v3, v[4:5] offset:32
	s_waitcnt vmcnt(0) lgkmcnt(0)
	v_mul_f16_e32 v3, s1, v3
	v_fmac_f16_e32 v3, s0, v7
	flat_store_short v[0:1], v3 offset:32
	flat_load_ushort v3, v[4:5] offset:64
	s_waitcnt vmcnt(0) lgkmcnt(0)
	v_mul_f16_e32 v3, s1, v3
	v_fmac_f16_e32 v3, s0, v2
	flat_store_short v[0:1], v3 offset:64
	;; [unrolled: 5-line block ×3, first 2 shown]
.LBB57_7:
	s_endpgm
.LBB57_8:
	s_branch .LBB57_6
	.section	.rodata,"a",@progbits
	.p2align	6, 0x0
	.amdhsa_kernel _ZN12_GLOBAL__N_127rocblas_gemm_batched_kernelIDF16_Li16ELi16ELi64ELi64ELi4ELi64ELi4ELi4ELi64ELc78ELc78EKPKDF16_S3_KPDF16_EEvlllT_PT11_llS8_llS6_PT12_llPT13_lli
		.amdhsa_group_segment_fixed_size 1024
		.amdhsa_private_segment_fixed_size 0
		.amdhsa_kernarg_size 140
		.amdhsa_user_sgpr_count 6
		.amdhsa_user_sgpr_private_segment_buffer 1
		.amdhsa_user_sgpr_dispatch_ptr 0
		.amdhsa_user_sgpr_queue_ptr 0
		.amdhsa_user_sgpr_kernarg_segment_ptr 1
		.amdhsa_user_sgpr_dispatch_id 0
		.amdhsa_user_sgpr_flat_scratch_init 0
		.amdhsa_user_sgpr_private_segment_size 0
		.amdhsa_wavefront_size32 1
		.amdhsa_uses_dynamic_stack 0
		.amdhsa_system_sgpr_private_segment_wavefront_offset 0
		.amdhsa_system_sgpr_workgroup_id_x 1
		.amdhsa_system_sgpr_workgroup_id_y 1
		.amdhsa_system_sgpr_workgroup_id_z 1
		.amdhsa_system_sgpr_workgroup_info 0
		.amdhsa_system_vgpr_workitem_id 1
		.amdhsa_next_free_vgpr 36
		.amdhsa_next_free_sgpr 36
		.amdhsa_reserve_vcc 1
		.amdhsa_reserve_flat_scratch 0
		.amdhsa_float_round_mode_32 0
		.amdhsa_float_round_mode_16_64 0
		.amdhsa_float_denorm_mode_32 3
		.amdhsa_float_denorm_mode_16_64 3
		.amdhsa_dx10_clamp 1
		.amdhsa_ieee_mode 1
		.amdhsa_fp16_overflow 0
		.amdhsa_workgroup_processor_mode 1
		.amdhsa_memory_ordered 1
		.amdhsa_forward_progress 1
		.amdhsa_shared_vgpr_count 0
		.amdhsa_exception_fp_ieee_invalid_op 0
		.amdhsa_exception_fp_denorm_src 0
		.amdhsa_exception_fp_ieee_div_zero 0
		.amdhsa_exception_fp_ieee_overflow 0
		.amdhsa_exception_fp_ieee_underflow 0
		.amdhsa_exception_fp_ieee_inexact 0
		.amdhsa_exception_int_div_zero 0
	.end_amdhsa_kernel
	.section	.text._ZN12_GLOBAL__N_127rocblas_gemm_batched_kernelIDF16_Li16ELi16ELi64ELi64ELi4ELi64ELi4ELi4ELi64ELc78ELc78EKPKDF16_S3_KPDF16_EEvlllT_PT11_llS8_llS6_PT12_llPT13_lli,"axG",@progbits,_ZN12_GLOBAL__N_127rocblas_gemm_batched_kernelIDF16_Li16ELi16ELi64ELi64ELi4ELi64ELi4ELi4ELi64ELc78ELc78EKPKDF16_S3_KPDF16_EEvlllT_PT11_llS8_llS6_PT12_llPT13_lli,comdat
.Lfunc_end57:
	.size	_ZN12_GLOBAL__N_127rocblas_gemm_batched_kernelIDF16_Li16ELi16ELi64ELi64ELi4ELi64ELi4ELi4ELi64ELc78ELc78EKPKDF16_S3_KPDF16_EEvlllT_PT11_llS8_llS6_PT12_llPT13_lli, .Lfunc_end57-_ZN12_GLOBAL__N_127rocblas_gemm_batched_kernelIDF16_Li16ELi16ELi64ELi64ELi4ELi64ELi4ELi4ELi64ELc78ELc78EKPKDF16_S3_KPDF16_EEvlllT_PT11_llS8_llS6_PT12_llPT13_lli
                                        ; -- End function
	.set _ZN12_GLOBAL__N_127rocblas_gemm_batched_kernelIDF16_Li16ELi16ELi64ELi64ELi4ELi64ELi4ELi4ELi64ELc78ELc78EKPKDF16_S3_KPDF16_EEvlllT_PT11_llS8_llS6_PT12_llPT13_lli.num_vgpr, 36
	.set _ZN12_GLOBAL__N_127rocblas_gemm_batched_kernelIDF16_Li16ELi16ELi64ELi64ELi4ELi64ELi4ELi4ELi64ELc78ELc78EKPKDF16_S3_KPDF16_EEvlllT_PT11_llS8_llS6_PT12_llPT13_lli.num_agpr, 0
	.set _ZN12_GLOBAL__N_127rocblas_gemm_batched_kernelIDF16_Li16ELi16ELi64ELi64ELi4ELi64ELi4ELi4ELi64ELc78ELc78EKPKDF16_S3_KPDF16_EEvlllT_PT11_llS8_llS6_PT12_llPT13_lli.numbered_sgpr, 36
	.set _ZN12_GLOBAL__N_127rocblas_gemm_batched_kernelIDF16_Li16ELi16ELi64ELi64ELi4ELi64ELi4ELi4ELi64ELc78ELc78EKPKDF16_S3_KPDF16_EEvlllT_PT11_llS8_llS6_PT12_llPT13_lli.num_named_barrier, 0
	.set _ZN12_GLOBAL__N_127rocblas_gemm_batched_kernelIDF16_Li16ELi16ELi64ELi64ELi4ELi64ELi4ELi4ELi64ELc78ELc78EKPKDF16_S3_KPDF16_EEvlllT_PT11_llS8_llS6_PT12_llPT13_lli.private_seg_size, 0
	.set _ZN12_GLOBAL__N_127rocblas_gemm_batched_kernelIDF16_Li16ELi16ELi64ELi64ELi4ELi64ELi4ELi4ELi64ELc78ELc78EKPKDF16_S3_KPDF16_EEvlllT_PT11_llS8_llS6_PT12_llPT13_lli.uses_vcc, 1
	.set _ZN12_GLOBAL__N_127rocblas_gemm_batched_kernelIDF16_Li16ELi16ELi64ELi64ELi4ELi64ELi4ELi4ELi64ELc78ELc78EKPKDF16_S3_KPDF16_EEvlllT_PT11_llS8_llS6_PT12_llPT13_lli.uses_flat_scratch, 0
	.set _ZN12_GLOBAL__N_127rocblas_gemm_batched_kernelIDF16_Li16ELi16ELi64ELi64ELi4ELi64ELi4ELi4ELi64ELc78ELc78EKPKDF16_S3_KPDF16_EEvlllT_PT11_llS8_llS6_PT12_llPT13_lli.has_dyn_sized_stack, 0
	.set _ZN12_GLOBAL__N_127rocblas_gemm_batched_kernelIDF16_Li16ELi16ELi64ELi64ELi4ELi64ELi4ELi4ELi64ELc78ELc78EKPKDF16_S3_KPDF16_EEvlllT_PT11_llS8_llS6_PT12_llPT13_lli.has_recursion, 0
	.set _ZN12_GLOBAL__N_127rocblas_gemm_batched_kernelIDF16_Li16ELi16ELi64ELi64ELi4ELi64ELi4ELi4ELi64ELc78ELc78EKPKDF16_S3_KPDF16_EEvlllT_PT11_llS8_llS6_PT12_llPT13_lli.has_indirect_call, 0
	.section	.AMDGPU.csdata,"",@progbits
; Kernel info:
; codeLenInByte = 2376
; TotalNumSgprs: 38
; NumVgprs: 36
; ScratchSize: 0
; MemoryBound: 0
; FloatMode: 240
; IeeeMode: 1
; LDSByteSize: 1024 bytes/workgroup (compile time only)
; SGPRBlocks: 0
; VGPRBlocks: 4
; NumSGPRsForWavesPerEU: 38
; NumVGPRsForWavesPerEU: 36
; Occupancy: 16
; WaveLimiterHint : 1
; COMPUTE_PGM_RSRC2:SCRATCH_EN: 0
; COMPUTE_PGM_RSRC2:USER_SGPR: 6
; COMPUTE_PGM_RSRC2:TRAP_HANDLER: 0
; COMPUTE_PGM_RSRC2:TGID_X_EN: 1
; COMPUTE_PGM_RSRC2:TGID_Y_EN: 1
; COMPUTE_PGM_RSRC2:TGID_Z_EN: 1
; COMPUTE_PGM_RSRC2:TIDIG_COMP_CNT: 1
	.section	.text._ZN12_GLOBAL__N_127rocblas_gemm_batched_kernelIDF16_Li16ELi16ELi64ELi64ELi4ELi64ELi4ELi4ELi64ELc84ELc78EKPKDF16_S3_KPDF16_EEvlllT_PT11_llS8_llS6_PT12_llPT13_lli,"axG",@progbits,_ZN12_GLOBAL__N_127rocblas_gemm_batched_kernelIDF16_Li16ELi16ELi64ELi64ELi4ELi64ELi4ELi4ELi64ELc84ELc78EKPKDF16_S3_KPDF16_EEvlllT_PT11_llS8_llS6_PT12_llPT13_lli,comdat
	.globl	_ZN12_GLOBAL__N_127rocblas_gemm_batched_kernelIDF16_Li16ELi16ELi64ELi64ELi4ELi64ELi4ELi4ELi64ELc84ELc78EKPKDF16_S3_KPDF16_EEvlllT_PT11_llS8_llS6_PT12_llPT13_lli ; -- Begin function _ZN12_GLOBAL__N_127rocblas_gemm_batched_kernelIDF16_Li16ELi16ELi64ELi64ELi4ELi64ELi4ELi4ELi64ELc84ELc78EKPKDF16_S3_KPDF16_EEvlllT_PT11_llS8_llS6_PT12_llPT13_lli
	.p2align	8
	.type	_ZN12_GLOBAL__N_127rocblas_gemm_batched_kernelIDF16_Li16ELi16ELi64ELi64ELi4ELi64ELi4ELi4ELi64ELc84ELc78EKPKDF16_S3_KPDF16_EEvlllT_PT11_llS8_llS6_PT12_llPT13_lli,@function
_ZN12_GLOBAL__N_127rocblas_gemm_batched_kernelIDF16_Li16ELi16ELi64ELi64ELi4ELi64ELi4ELi4ELi64ELc84ELc78EKPKDF16_S3_KPDF16_EEvlllT_PT11_llS8_llS6_PT12_llPT13_lli: ; @_ZN12_GLOBAL__N_127rocblas_gemm_batched_kernelIDF16_Li16ELi16ELi64ELi64ELi4ELi64ELi4ELi4ELi64ELc84ELc78EKPKDF16_S3_KPDF16_EEvlllT_PT11_llS8_llS6_PT12_llPT13_lli
; %bb.0:
	s_clause 0x1
	s_load_dwordx8 s[12:19], s[4:5], 0x58
	s_load_dwordx2 s[30:31], s[4:5], 0x10
	s_mov_b32 s9, 0
	s_mov_b32 s0, s7
	s_lshl_b64 s[34:35], s[8:9], 3
	s_load_dwordx4 s[8:11], s[4:5], 0x78
	s_waitcnt lgkmcnt(0)
	s_add_u32 s2, s12, s34
	s_addc_u32 s3, s13, s35
	s_add_u32 s18, s18, s34
	s_addc_u32 s19, s19, s35
	s_load_dwordx2 s[12:13], s[2:3], 0x0
	s_load_dwordx2 s[18:19], s[18:19], 0x0
	v_cmp_lt_i64_e64 s2, s[30:31], 1
	s_ashr_i32 s7, s6, 31
	s_ashr_i32 s1, s0, 31
	s_lshl_b64 s[6:7], s[6:7], 6
	s_lshl_b64 s[28:29], s[0:1], 6
	s_and_b32 vcc_lo, exec_lo, s2
	s_cbranch_vccnz .LBB58_3
; %bb.1:
	s_clause 0x1
	s_load_dwordx8 s[20:27], s[4:5], 0x20
	s_load_dwordx4 s[0:3], s[4:5], 0x40
	v_lshl_add_u32 v2, v1, 4, v0
	v_and_b32_e32 v3, 3, v0
	v_lshlrev_b32_e32 v16, 1, v0
	v_lshl_add_u32 v17, v1, 3, 0x200
	v_lshrrev_b32_e32 v6, 2, v2
	v_and_b32_e32 v7, 63, v2
	v_lshrrev_b32_e32 v8, 6, v2
	v_lshlrev_b32_e32 v9, 1, v3
	v_add_co_u32 v2, s33, v6, s28
	v_add_co_ci_u32_e64 v3, null, 0, s29, s33
	v_add_co_u32 v4, s33, s6, v7
	v_add_co_ci_u32_e64 v5, null, s7, 0, s33
	s_waitcnt lgkmcnt(0)
	s_add_u32 s20, s20, s34
	v_mul_lo_u32 v10, s1, v2
	v_mul_lo_u32 v11, s0, v3
	v_mad_u64_u32 v[2:3], null, s0, v2, 0
	v_mul_lo_u32 v12, s23, v4
	v_mul_lo_u32 v13, s22, v5
	v_mad_u64_u32 v[4:5], null, s22, v4, 0
	s_addc_u32 s21, s21, s35
	s_add_u32 s0, s26, s34
	v_add3_u32 v3, v3, v11, v10
	s_addc_u32 s1, s27, s35
	s_load_dwordx2 s[20:21], s[20:21], 0x0
	s_load_dwordx2 s[0:1], s[0:1], 0x0
	v_add3_u32 v5, v5, v13, v12
	v_lshlrev_b64 v[2:3], 1, v[2:3]
	s_lshl_b64 s[2:3], s[2:3], 1
	v_lshl_or_b32 v6, v6, 3, v9
	v_lshlrev_b32_e32 v7, 1, v7
	v_lshlrev_b64 v[4:5], 1, v[4:5]
	v_mov_b32_e32 v10, 0
	v_add_co_u32 v2, vcc_lo, v2, s2
	v_add_co_ci_u32_e64 v3, null, s3, v3, vcc_lo
	s_lshl_b64 s[2:3], s[24:25], 1
	v_add_nc_u32_e32 v15, 0x200, v6
	v_add_co_u32 v4, vcc_lo, v4, s2
	v_lshlrev_b32_e32 v6, 1, v8
	v_add_co_ci_u32_e64 v5, null, s3, v5, vcc_lo
	v_add_co_u32 v2, vcc_lo, v2, v9
	v_add_co_ci_u32_e64 v3, null, 0, v3, vcc_lo
	v_add_co_u32 v4, vcc_lo, v4, v6
	v_add_co_ci_u32_e64 v5, null, 0, v5, vcc_lo
	s_waitcnt lgkmcnt(0)
	v_add_co_u32 v2, vcc_lo, s0, v2
	v_add_co_ci_u32_e64 v3, null, s1, v3, vcc_lo
	v_add_co_u32 v4, vcc_lo, s20, v4
	v_lshl_or_b32 v14, v8, 7, v7
	v_add_co_ci_u32_e64 v5, null, s21, v5, vcc_lo
	v_mov_b32_e32 v6, 0
	v_mov_b32_e32 v7, 0
	;; [unrolled: 1-line block ×7, first 2 shown]
	s_mov_b64 s[2:3], 0
.LBB58_2:                               ; =>This Inner Loop Header: Depth=1
	flat_load_ushort v18, v[4:5]
	s_add_u32 s2, s2, 4
	s_addc_u32 s3, s3, 0
	v_add_co_u32 v4, vcc_lo, v4, 8
	v_cmp_lt_i64_e64 s0, s[2:3], s[30:31]
	v_add_co_ci_u32_e64 v5, null, 0, v5, vcc_lo
	s_and_b32 vcc_lo, exec_lo, s0
	s_waitcnt vmcnt(0) lgkmcnt(0)
	ds_write_b16 v14, v18
	flat_load_ushort v18, v[2:3]
	v_add_co_u32 v2, s0, v2, 8
	v_add_co_ci_u32_e64 v3, null, 0, v3, s0
	s_waitcnt vmcnt(0) lgkmcnt(0)
	ds_write_b16 v15, v18
	s_waitcnt lgkmcnt(0)
	s_barrier
	buffer_gl0_inv
	ds_read_u16 v26, v16 offset:32
	ds_read_u16 v27, v16 offset:96
	;; [unrolled: 1-line block ×8, first 2 shown]
	ds_read2_b64 v[18:21], v17 offset1:16
	ds_read2_b64 v[22:25], v17 offset0:32 offset1:48
	s_waitcnt lgkmcnt(9)
	ds_read_u16_d16_hi v26, v16
	s_waitcnt lgkmcnt(9)
	ds_read_u16_d16_hi v27, v16 offset:64
	s_waitcnt lgkmcnt(9)
	ds_read_u16_d16_hi v28, v16 offset:128
	;; [unrolled: 2-line block ×7, first 2 shown]
	s_waitcnt lgkmcnt(0)
	s_barrier
	buffer_gl0_inv
	v_pk_fma_f16 v13, v26, v18, v13 op_sel_hi:[1,0,1]
	v_pk_fma_f16 v12, v27, v18, v12 op_sel_hi:[1,0,1]
	;; [unrolled: 1-line block ×8, first 2 shown]
	v_pk_fma_f16 v13, v28, v18, v13 op_sel:[0,1,0]
	v_pk_fma_f16 v12, v29, v18, v12 op_sel:[0,1,0]
	;; [unrolled: 1-line block ×8, first 2 shown]
	v_pk_fma_f16 v13, v30, v19, v13 op_sel_hi:[1,0,1]
	v_pk_fma_f16 v12, v31, v19, v12 op_sel_hi:[1,0,1]
	;; [unrolled: 1-line block ×8, first 2 shown]
	v_pk_fma_f16 v13, v32, v19, v13 op_sel:[0,1,0]
	v_pk_fma_f16 v12, v33, v19, v12 op_sel:[0,1,0]
	v_pk_fma_f16 v11, v32, v21, v11 op_sel:[0,1,0]
	v_pk_fma_f16 v10, v33, v21, v10 op_sel:[0,1,0]
	v_pk_fma_f16 v9, v32, v23, v9 op_sel:[0,1,0]
	v_pk_fma_f16 v8, v33, v23, v8 op_sel:[0,1,0]
	v_pk_fma_f16 v7, v32, v25, v7 op_sel:[0,1,0]
	v_pk_fma_f16 v6, v33, v25, v6 op_sel:[0,1,0]
	s_cbranch_vccnz .LBB58_2
	s_branch .LBB58_4
.LBB58_3:
	v_mov_b32_e32 v13, 0
	v_mov_b32_e32 v12, 0
	;; [unrolled: 1-line block ×8, first 2 shown]
.LBB58_4:
	s_clause 0x1
	s_load_dword s1, s[4:5], 0x50
	s_load_dword s0, s[4:5], 0x18
	v_add_co_u32 v17, s4, s28, v1
	v_add_co_ci_u32_e64 v21, null, s29, 0, s4
	v_add_co_u32 v0, s4, s6, v0
	v_add_co_ci_u32_e64 v1, null, s7, 0, s4
	v_mul_lo_u32 v19, v21, s8
	v_mul_lo_u32 v20, v17, s9
	s_lshl_b64 s[2:3], s[10:11], 1
	v_lshlrev_b64 v[0:1], 1, v[0:1]
	v_lshrrev_b32_e32 v18, 16, v13
	v_lshrrev_b32_e32 v16, 16, v12
	;; [unrolled: 1-line block ×6, first 2 shown]
	s_waitcnt lgkmcnt(0)
	v_cmp_neq_f16_e64 s4, s1, 0
	v_lshrrev_b32_e32 v3, 16, v7
	v_lshrrev_b32_e32 v2, 16, v6
	s_add_u32 s2, s18, s2
	s_addc_u32 s3, s19, s3
	s_and_b32 vcc_lo, exec_lo, s4
	s_mov_b32 s4, 0
	s_cbranch_vccnz .LBB58_8
; %bb.5:
	v_mad_u64_u32 v[22:23], null, v17, s8, 0
	s_lshl_b64 s[6:7], s[8:9], 5
	v_mul_f16_sdwa v26, s0, v13 dst_sel:DWORD dst_unused:UNUSED_PAD src0_sel:DWORD src1_sel:WORD_1
	v_mul_f16_e32 v27, s0, v13
	v_mul_f16_sdwa v28, s0, v12 dst_sel:DWORD dst_unused:UNUSED_PAD src0_sel:DWORD src1_sel:WORD_1
	v_mul_f16_e32 v29, s0, v12
	v_mul_f16_sdwa v30, s0, v11 dst_sel:DWORD dst_unused:UNUSED_PAD src0_sel:DWORD src1_sel:WORD_1
	v_add3_u32 v23, v23, v20, v19
	v_mul_f16_e32 v31, s0, v11
	v_mul_f16_sdwa v32, s0, v10 dst_sel:DWORD dst_unused:UNUSED_PAD src0_sel:DWORD src1_sel:WORD_1
	v_mul_f16_e32 v33, s0, v10
	v_lshlrev_b64 v[22:23], 1, v[22:23]
	v_add_co_u32 v22, vcc_lo, s2, v22
	v_add_co_ci_u32_e64 v23, null, s3, v23, vcc_lo
	v_add_co_u32 v34, vcc_lo, v22, s6
	v_add_co_ci_u32_e64 v35, null, s7, v23, vcc_lo
	v_add_co_u32 v22, vcc_lo, v22, v0
	v_add_co_ci_u32_e64 v23, null, v23, v1, vcc_lo
	v_add_co_u32 v24, vcc_lo, v34, v0
	v_add_co_ci_u32_e64 v25, null, v35, v1, vcc_lo
	flat_store_short v[22:23], v26
	flat_store_short v[22:23], v27 offset:32
	flat_store_short v[22:23], v28 offset:64
	;; [unrolled: 1-line block ×3, first 2 shown]
	flat_store_short v[24:25], v30
	flat_store_short v[24:25], v31 offset:32
	v_add_co_u32 v26, vcc_lo, v34, s6
	v_add_co_ci_u32_e64 v27, null, s7, v35, vcc_lo
	v_mul_f16_sdwa v28, s0, v9 dst_sel:DWORD dst_unused:UNUSED_PAD src0_sel:DWORD src1_sel:WORD_1
	v_add_co_u32 v22, vcc_lo, v26, v0
	v_add_co_ci_u32_e64 v23, null, v27, v1, vcc_lo
	v_mul_f16_e32 v29, s0, v9
	v_mul_f16_sdwa v30, s0, v8 dst_sel:DWORD dst_unused:UNUSED_PAD src0_sel:DWORD src1_sel:WORD_1
	flat_store_short v[24:25], v32 offset:64
	flat_store_short v[24:25], v33 offset:96
	flat_store_short v[22:23], v28
	flat_store_short v[22:23], v29 offset:32
	flat_store_short v[22:23], v30 offset:64
	v_add_co_u32 v24, vcc_lo, v26, s6
	v_add_co_ci_u32_e64 v25, null, s7, v27, vcc_lo
	v_mul_f16_e32 v28, s0, v8
	v_add_co_u32 v24, vcc_lo, v24, v0
	v_mul_f16_sdwa v26, s0, v7 dst_sel:DWORD dst_unused:UNUSED_PAD src0_sel:DWORD src1_sel:WORD_1
	v_add_co_ci_u32_e64 v25, null, v25, v1, vcc_lo
	v_mul_f16_e32 v27, s0, v7
	v_mul_f16_sdwa v29, s0, v6 dst_sel:DWORD dst_unused:UNUSED_PAD src0_sel:DWORD src1_sel:WORD_1
	v_mul_f16_e32 v30, s0, v6
	flat_store_short v[22:23], v28 offset:96
	flat_store_short v[24:25], v26
	flat_store_short v[24:25], v27 offset:32
	flat_store_short v[24:25], v29 offset:64
	;; [unrolled: 1-line block ×3, first 2 shown]
	s_andn2_b32 vcc_lo, exec_lo, s4
	s_cbranch_vccnz .LBB58_7
.LBB58_6:
	v_mul_lo_u32 v23, v21, s14
	v_mul_lo_u32 v24, v17, s15
	v_mad_u64_u32 v[21:22], null, v17, s14, 0
	s_lshl_b64 s[4:5], s[16:17], 1
	s_add_u32 s4, s12, s4
	s_addc_u32 s5, s13, s5
	v_add3_u32 v22, v22, v24, v23
	v_mad_u64_u32 v[23:24], null, v17, s8, 0
	v_lshlrev_b64 v[21:22], 1, v[21:22]
	v_add3_u32 v24, v24, v20, v19
	v_add_co_u32 v25, vcc_lo, s4, v21
	v_add_co_ci_u32_e64 v26, null, s5, v22, vcc_lo
	v_lshlrev_b64 v[19:20], 1, v[23:24]
	v_add_co_u32 v21, vcc_lo, v25, v0
	v_add_co_ci_u32_e64 v22, null, v26, v1, vcc_lo
	s_lshl_b64 s[4:5], s[8:9], 5
	v_add_co_u32 v17, vcc_lo, s2, v19
	flat_load_ushort v27, v[21:22]
	v_add_co_ci_u32_e64 v23, null, s3, v20, vcc_lo
	v_add_co_u32 v19, vcc_lo, v17, v0
	s_lshl_b64 s[2:3], s[14:15], 5
	v_add_co_ci_u32_e64 v20, null, v23, v1, vcc_lo
	s_waitcnt vmcnt(0) lgkmcnt(0)
	v_mul_f16_e32 v24, s1, v27
	v_fmac_f16_e32 v24, s0, v18
	flat_store_short v[19:20], v24
	flat_load_ushort v18, v[21:22] offset:32
	s_waitcnt vmcnt(0) lgkmcnt(0)
	v_mul_f16_e32 v18, s1, v18
	v_fmac_f16_e32 v18, s0, v13
	flat_store_short v[19:20], v18 offset:32
	flat_load_ushort v13, v[21:22] offset:64
	v_add_co_u32 v18, vcc_lo, v25, s2
	s_waitcnt vmcnt(0) lgkmcnt(0)
	v_mul_f16_e32 v13, s1, v13
	v_fmac_f16_e32 v13, s0, v16
	flat_store_short v[19:20], v13 offset:64
	flat_load_ushort v13, v[21:22] offset:96
	v_add_co_ci_u32_e64 v21, null, s3, v26, vcc_lo
	s_waitcnt vmcnt(0) lgkmcnt(0)
	v_mul_f16_e32 v16, s1, v13
	v_fmac_f16_e32 v16, s0, v12
	v_add_co_u32 v12, vcc_lo, v18, v0
	v_add_co_ci_u32_e64 v13, null, v21, v1, vcc_lo
	flat_store_short v[19:20], v16 offset:96
	v_add_co_u32 v19, vcc_lo, v17, s4
	flat_load_ushort v16, v[12:13]
	v_add_co_ci_u32_e64 v20, null, s5, v23, vcc_lo
	s_waitcnt vmcnt(0) lgkmcnt(0)
	v_mul_f16_e32 v22, s1, v16
	v_add_co_u32 v16, vcc_lo, v19, v0
	v_add_co_ci_u32_e64 v17, null, v20, v1, vcc_lo
	v_fmac_f16_e32 v22, s0, v15
	flat_store_short v[16:17], v22
	flat_load_ushort v15, v[12:13] offset:32
	s_waitcnt vmcnt(0) lgkmcnt(0)
	v_mul_f16_e32 v15, s1, v15
	v_fmac_f16_e32 v15, s0, v11
	flat_store_short v[16:17], v15 offset:32
	flat_load_ushort v11, v[12:13] offset:64
	s_waitcnt vmcnt(0) lgkmcnt(0)
	v_mul_f16_e32 v11, s1, v11
	v_fmac_f16_e32 v11, s0, v14
	v_add_co_u32 v14, vcc_lo, v18, s2
	v_add_co_ci_u32_e64 v15, null, s3, v21, vcc_lo
	flat_store_short v[16:17], v11 offset:64
	flat_load_ushort v11, v[12:13] offset:96
	s_waitcnt vmcnt(0) lgkmcnt(0)
	v_mul_f16_e32 v12, s1, v11
	v_fmac_f16_e32 v12, s0, v10
	v_add_co_u32 v10, vcc_lo, v14, v0
	v_add_co_ci_u32_e64 v11, null, v15, v1, vcc_lo
	flat_store_short v[16:17], v12 offset:96
	v_add_co_u32 v16, vcc_lo, v19, s4
	flat_load_ushort v12, v[10:11]
	v_add_co_ci_u32_e64 v17, null, s5, v20, vcc_lo
	s_waitcnt vmcnt(0) lgkmcnt(0)
	v_mul_f16_e32 v18, s1, v12
	v_add_co_u32 v12, vcc_lo, v16, v0
	v_add_co_ci_u32_e64 v13, null, v17, v1, vcc_lo
	v_fmac_f16_e32 v18, s0, v5
	flat_store_short v[12:13], v18
	flat_load_ushort v5, v[10:11] offset:32
	s_waitcnt vmcnt(0) lgkmcnt(0)
	v_mul_f16_e32 v5, s1, v5
	v_fmac_f16_e32 v5, s0, v9
	flat_store_short v[12:13], v5 offset:32
	flat_load_ushort v5, v[10:11] offset:64
	s_waitcnt vmcnt(0) lgkmcnt(0)
	v_mul_f16_e32 v5, s1, v5
	v_fmac_f16_e32 v5, s0, v4
	flat_store_short v[12:13], v5 offset:64
	flat_load_ushort v4, v[10:11] offset:96
	s_waitcnt vmcnt(0) lgkmcnt(0)
	v_mul_f16_e32 v9, s1, v4
	v_add_co_u32 v4, vcc_lo, v14, s2
	v_add_co_ci_u32_e64 v5, null, s3, v15, vcc_lo
	v_fmac_f16_e32 v9, s0, v8
	v_add_co_u32 v4, vcc_lo, v4, v0
	v_add_co_ci_u32_e64 v5, null, v5, v1, vcc_lo
	flat_store_short v[12:13], v9 offset:96
	v_add_co_u32 v9, vcc_lo, v16, s4
	flat_load_ushort v8, v[4:5]
	v_add_co_ci_u32_e64 v10, null, s5, v17, vcc_lo
	v_add_co_u32 v0, vcc_lo, v9, v0
	v_add_co_ci_u32_e64 v1, null, v10, v1, vcc_lo
	s_waitcnt vmcnt(0) lgkmcnt(0)
	v_mul_f16_e32 v8, s1, v8
	v_fmac_f16_e32 v8, s0, v3
	flat_store_short v[0:1], v8
	flat_load_ushort v3, v[4:5] offset:32
	s_waitcnt vmcnt(0) lgkmcnt(0)
	v_mul_f16_e32 v3, s1, v3
	v_fmac_f16_e32 v3, s0, v7
	flat_store_short v[0:1], v3 offset:32
	flat_load_ushort v3, v[4:5] offset:64
	s_waitcnt vmcnt(0) lgkmcnt(0)
	v_mul_f16_e32 v3, s1, v3
	v_fmac_f16_e32 v3, s0, v2
	flat_store_short v[0:1], v3 offset:64
	;; [unrolled: 5-line block ×3, first 2 shown]
.LBB58_7:
	s_endpgm
.LBB58_8:
	s_branch .LBB58_6
	.section	.rodata,"a",@progbits
	.p2align	6, 0x0
	.amdhsa_kernel _ZN12_GLOBAL__N_127rocblas_gemm_batched_kernelIDF16_Li16ELi16ELi64ELi64ELi4ELi64ELi4ELi4ELi64ELc84ELc78EKPKDF16_S3_KPDF16_EEvlllT_PT11_llS8_llS6_PT12_llPT13_lli
		.amdhsa_group_segment_fixed_size 1024
		.amdhsa_private_segment_fixed_size 0
		.amdhsa_kernarg_size 140
		.amdhsa_user_sgpr_count 6
		.amdhsa_user_sgpr_private_segment_buffer 1
		.amdhsa_user_sgpr_dispatch_ptr 0
		.amdhsa_user_sgpr_queue_ptr 0
		.amdhsa_user_sgpr_kernarg_segment_ptr 1
		.amdhsa_user_sgpr_dispatch_id 0
		.amdhsa_user_sgpr_flat_scratch_init 0
		.amdhsa_user_sgpr_private_segment_size 0
		.amdhsa_wavefront_size32 1
		.amdhsa_uses_dynamic_stack 0
		.amdhsa_system_sgpr_private_segment_wavefront_offset 0
		.amdhsa_system_sgpr_workgroup_id_x 1
		.amdhsa_system_sgpr_workgroup_id_y 1
		.amdhsa_system_sgpr_workgroup_id_z 1
		.amdhsa_system_sgpr_workgroup_info 0
		.amdhsa_system_vgpr_workitem_id 1
		.amdhsa_next_free_vgpr 36
		.amdhsa_next_free_sgpr 36
		.amdhsa_reserve_vcc 1
		.amdhsa_reserve_flat_scratch 0
		.amdhsa_float_round_mode_32 0
		.amdhsa_float_round_mode_16_64 0
		.amdhsa_float_denorm_mode_32 3
		.amdhsa_float_denorm_mode_16_64 3
		.amdhsa_dx10_clamp 1
		.amdhsa_ieee_mode 1
		.amdhsa_fp16_overflow 0
		.amdhsa_workgroup_processor_mode 1
		.amdhsa_memory_ordered 1
		.amdhsa_forward_progress 1
		.amdhsa_shared_vgpr_count 0
		.amdhsa_exception_fp_ieee_invalid_op 0
		.amdhsa_exception_fp_denorm_src 0
		.amdhsa_exception_fp_ieee_div_zero 0
		.amdhsa_exception_fp_ieee_overflow 0
		.amdhsa_exception_fp_ieee_underflow 0
		.amdhsa_exception_fp_ieee_inexact 0
		.amdhsa_exception_int_div_zero 0
	.end_amdhsa_kernel
	.section	.text._ZN12_GLOBAL__N_127rocblas_gemm_batched_kernelIDF16_Li16ELi16ELi64ELi64ELi4ELi64ELi4ELi4ELi64ELc84ELc78EKPKDF16_S3_KPDF16_EEvlllT_PT11_llS8_llS6_PT12_llPT13_lli,"axG",@progbits,_ZN12_GLOBAL__N_127rocblas_gemm_batched_kernelIDF16_Li16ELi16ELi64ELi64ELi4ELi64ELi4ELi4ELi64ELc84ELc78EKPKDF16_S3_KPDF16_EEvlllT_PT11_llS8_llS6_PT12_llPT13_lli,comdat
.Lfunc_end58:
	.size	_ZN12_GLOBAL__N_127rocblas_gemm_batched_kernelIDF16_Li16ELi16ELi64ELi64ELi4ELi64ELi4ELi4ELi64ELc84ELc78EKPKDF16_S3_KPDF16_EEvlllT_PT11_llS8_llS6_PT12_llPT13_lli, .Lfunc_end58-_ZN12_GLOBAL__N_127rocblas_gemm_batched_kernelIDF16_Li16ELi16ELi64ELi64ELi4ELi64ELi4ELi4ELi64ELc84ELc78EKPKDF16_S3_KPDF16_EEvlllT_PT11_llS8_llS6_PT12_llPT13_lli
                                        ; -- End function
	.set _ZN12_GLOBAL__N_127rocblas_gemm_batched_kernelIDF16_Li16ELi16ELi64ELi64ELi4ELi64ELi4ELi4ELi64ELc84ELc78EKPKDF16_S3_KPDF16_EEvlllT_PT11_llS8_llS6_PT12_llPT13_lli.num_vgpr, 36
	.set _ZN12_GLOBAL__N_127rocblas_gemm_batched_kernelIDF16_Li16ELi16ELi64ELi64ELi4ELi64ELi4ELi4ELi64ELc84ELc78EKPKDF16_S3_KPDF16_EEvlllT_PT11_llS8_llS6_PT12_llPT13_lli.num_agpr, 0
	.set _ZN12_GLOBAL__N_127rocblas_gemm_batched_kernelIDF16_Li16ELi16ELi64ELi64ELi4ELi64ELi4ELi4ELi64ELc84ELc78EKPKDF16_S3_KPDF16_EEvlllT_PT11_llS8_llS6_PT12_llPT13_lli.numbered_sgpr, 36
	.set _ZN12_GLOBAL__N_127rocblas_gemm_batched_kernelIDF16_Li16ELi16ELi64ELi64ELi4ELi64ELi4ELi4ELi64ELc84ELc78EKPKDF16_S3_KPDF16_EEvlllT_PT11_llS8_llS6_PT12_llPT13_lli.num_named_barrier, 0
	.set _ZN12_GLOBAL__N_127rocblas_gemm_batched_kernelIDF16_Li16ELi16ELi64ELi64ELi4ELi64ELi4ELi4ELi64ELc84ELc78EKPKDF16_S3_KPDF16_EEvlllT_PT11_llS8_llS6_PT12_llPT13_lli.private_seg_size, 0
	.set _ZN12_GLOBAL__N_127rocblas_gemm_batched_kernelIDF16_Li16ELi16ELi64ELi64ELi4ELi64ELi4ELi4ELi64ELc84ELc78EKPKDF16_S3_KPDF16_EEvlllT_PT11_llS8_llS6_PT12_llPT13_lli.uses_vcc, 1
	.set _ZN12_GLOBAL__N_127rocblas_gemm_batched_kernelIDF16_Li16ELi16ELi64ELi64ELi4ELi64ELi4ELi4ELi64ELc84ELc78EKPKDF16_S3_KPDF16_EEvlllT_PT11_llS8_llS6_PT12_llPT13_lli.uses_flat_scratch, 0
	.set _ZN12_GLOBAL__N_127rocblas_gemm_batched_kernelIDF16_Li16ELi16ELi64ELi64ELi4ELi64ELi4ELi4ELi64ELc84ELc78EKPKDF16_S3_KPDF16_EEvlllT_PT11_llS8_llS6_PT12_llPT13_lli.has_dyn_sized_stack, 0
	.set _ZN12_GLOBAL__N_127rocblas_gemm_batched_kernelIDF16_Li16ELi16ELi64ELi64ELi4ELi64ELi4ELi4ELi64ELc84ELc78EKPKDF16_S3_KPDF16_EEvlllT_PT11_llS8_llS6_PT12_llPT13_lli.has_recursion, 0
	.set _ZN12_GLOBAL__N_127rocblas_gemm_batched_kernelIDF16_Li16ELi16ELi64ELi64ELi4ELi64ELi4ELi4ELi64ELc84ELc78EKPKDF16_S3_KPDF16_EEvlllT_PT11_llS8_llS6_PT12_llPT13_lli.has_indirect_call, 0
	.section	.AMDGPU.csdata,"",@progbits
; Kernel info:
; codeLenInByte = 2420
; TotalNumSgprs: 38
; NumVgprs: 36
; ScratchSize: 0
; MemoryBound: 0
; FloatMode: 240
; IeeeMode: 1
; LDSByteSize: 1024 bytes/workgroup (compile time only)
; SGPRBlocks: 0
; VGPRBlocks: 4
; NumSGPRsForWavesPerEU: 38
; NumVGPRsForWavesPerEU: 36
; Occupancy: 16
; WaveLimiterHint : 1
; COMPUTE_PGM_RSRC2:SCRATCH_EN: 0
; COMPUTE_PGM_RSRC2:USER_SGPR: 6
; COMPUTE_PGM_RSRC2:TRAP_HANDLER: 0
; COMPUTE_PGM_RSRC2:TGID_X_EN: 1
; COMPUTE_PGM_RSRC2:TGID_Y_EN: 1
; COMPUTE_PGM_RSRC2:TGID_Z_EN: 1
; COMPUTE_PGM_RSRC2:TIDIG_COMP_CNT: 1
	.section	.text._ZN12_GLOBAL__N_127rocblas_gemm_batched_kernelIDF16_Li16ELi16ELi64ELi64ELi4ELi64ELi4ELi4ELi64ELc78ELc84EKPKDF16_S3_KPDF16_EEvlllT_PT11_llS8_llS6_PT12_llPT13_lli,"axG",@progbits,_ZN12_GLOBAL__N_127rocblas_gemm_batched_kernelIDF16_Li16ELi16ELi64ELi64ELi4ELi64ELi4ELi4ELi64ELc78ELc84EKPKDF16_S3_KPDF16_EEvlllT_PT11_llS8_llS6_PT12_llPT13_lli,comdat
	.globl	_ZN12_GLOBAL__N_127rocblas_gemm_batched_kernelIDF16_Li16ELi16ELi64ELi64ELi4ELi64ELi4ELi4ELi64ELc78ELc84EKPKDF16_S3_KPDF16_EEvlllT_PT11_llS8_llS6_PT12_llPT13_lli ; -- Begin function _ZN12_GLOBAL__N_127rocblas_gemm_batched_kernelIDF16_Li16ELi16ELi64ELi64ELi4ELi64ELi4ELi4ELi64ELc78ELc84EKPKDF16_S3_KPDF16_EEvlllT_PT11_llS8_llS6_PT12_llPT13_lli
	.p2align	8
	.type	_ZN12_GLOBAL__N_127rocblas_gemm_batched_kernelIDF16_Li16ELi16ELi64ELi64ELi4ELi64ELi4ELi4ELi64ELc78ELc84EKPKDF16_S3_KPDF16_EEvlllT_PT11_llS8_llS6_PT12_llPT13_lli,@function
_ZN12_GLOBAL__N_127rocblas_gemm_batched_kernelIDF16_Li16ELi16ELi64ELi64ELi4ELi64ELi4ELi4ELi64ELc78ELc84EKPKDF16_S3_KPDF16_EEvlllT_PT11_llS8_llS6_PT12_llPT13_lli: ; @_ZN12_GLOBAL__N_127rocblas_gemm_batched_kernelIDF16_Li16ELi16ELi64ELi64ELi4ELi64ELi4ELi4ELi64ELc78ELc84EKPKDF16_S3_KPDF16_EEvlllT_PT11_llS8_llS6_PT12_llPT13_lli
; %bb.0:
	s_clause 0x1
	s_load_dwordx8 s[12:19], s[4:5], 0x58
	s_load_dwordx2 s[30:31], s[4:5], 0x10
	s_mov_b32 s9, 0
	s_mov_b32 s0, s7
	s_lshl_b64 s[34:35], s[8:9], 3
	s_load_dwordx4 s[8:11], s[4:5], 0x78
	v_mov_b32_e32 v3, 0
	s_waitcnt lgkmcnt(0)
	s_add_u32 s2, s12, s34
	s_addc_u32 s3, s13, s35
	s_add_u32 s18, s18, s34
	s_addc_u32 s19, s19, s35
	s_load_dwordx2 s[12:13], s[2:3], 0x0
	s_load_dwordx2 s[18:19], s[18:19], 0x0
	v_cmp_lt_i64_e64 s2, s[30:31], 1
	s_ashr_i32 s7, s6, 31
	s_ashr_i32 s1, s0, 31
	s_lshl_b64 s[6:7], s[6:7], 6
	s_lshl_b64 s[28:29], s[0:1], 6
	s_and_b32 vcc_lo, exec_lo, s2
	s_cbranch_vccnz .LBB59_3
; %bb.1:
	s_clause 0x1
	s_load_dwordx8 s[20:27], s[4:5], 0x20
	s_load_dwordx4 s[0:3], s[4:5], 0x40
	v_lshl_add_u32 v4, v1, 4, v0
	v_and_b32_e32 v8, 3, v0
	v_lshlrev_b32_e32 v14, 1, v0
	v_lshl_add_u32 v15, v1, 3, 0x200
	v_mov_b32_e32 v13, 0
	v_lshrrev_b32_e32 v2, 2, v4
	v_lshrrev_b32_e32 v9, 6, v4
	v_and_b32_e32 v10, 63, v4
	v_lshlrev_b32_e32 v11, 1, v8
	v_lshlrev_b32_e32 v12, 1, v10
	v_lshl_or_b32 v11, v2, 3, v11
	v_lshl_or_b32 v16, v9, 7, v12
	s_waitcnt lgkmcnt(0)
	v_mad_u64_u32 v[6:7], null, s22, v9, s[6:7]
	v_mad_u64_u32 v[4:5], null, s0, v8, v[2:3]
	s_add_u32 s20, s20, s34
	s_addc_u32 s21, s21, s35
	s_add_u32 s26, s26, s34
	s_addc_u32 s27, s27, s35
	s_load_dwordx2 s[20:21], s[20:21], 0x0
	s_load_dwordx2 s[26:27], s[26:27], 0x0
	v_mov_b32_e32 v2, v5
	v_mov_b32_e32 v5, v7
	v_add_co_u32 v4, vcc_lo, v4, s28
	s_lshl_b64 s[2:3], s[2:3], 1
	v_mad_u64_u32 v[7:8], null, s1, v8, v[2:3]
	v_mad_u64_u32 v[8:9], null, s23, v9, v[5:6]
	v_add_nc_u32_e32 v17, 0x200, v11
	v_mov_b32_e32 v2, 0
	v_mov_b32_e32 v9, 0
	v_mov_b32_e32 v11, 0
	v_add_co_ci_u32_e64 v5, null, s29, v7, vcc_lo
	v_add_co_u32 v6, vcc_lo, v6, v10
	v_add_co_ci_u32_e64 v7, null, 0, v8, vcc_lo
	v_lshlrev_b64 v[4:5], 1, v[4:5]
	s_waitcnt lgkmcnt(0)
	s_add_u32 s26, s26, s2
	s_addc_u32 s27, s27, s3
	v_lshlrev_b64 v[6:7], 1, v[6:7]
	s_lshl_b64 s[2:3], s[0:1], 3
	s_lshl_b64 s[0:1], s[24:25], 1
	v_add_co_u32 v4, vcc_lo, s26, v4
	s_add_u32 s0, s20, s0
	s_addc_u32 s1, s21, s1
	v_add_co_ci_u32_e64 v5, null, s27, v5, vcc_lo
	v_add_co_u32 v6, vcc_lo, s0, v6
	v_add_co_ci_u32_e64 v7, null, s1, v7, vcc_lo
	v_mov_b32_e32 v8, 0
	v_mov_b32_e32 v10, 0
	;; [unrolled: 1-line block ×3, first 2 shown]
	s_lshl_b64 s[20:21], s[22:23], 3
	s_mov_b64 s[22:23], 0
.LBB59_2:                               ; =>This Inner Loop Header: Depth=1
	flat_load_ushort v18, v[6:7]
	s_add_u32 s22, s22, 4
	s_addc_u32 s23, s23, 0
	v_add_co_u32 v6, vcc_lo, v6, s20
	v_cmp_lt_i64_e64 s0, s[22:23], s[30:31]
	v_add_co_ci_u32_e64 v7, null, s21, v7, vcc_lo
	s_and_b32 vcc_lo, exec_lo, s0
	s_waitcnt vmcnt(0) lgkmcnt(0)
	ds_write_b16 v16, v18
	flat_load_ushort v18, v[4:5]
	v_add_co_u32 v4, s0, v4, s2
	v_add_co_ci_u32_e64 v5, null, s3, v5, s0
	s_waitcnt vmcnt(0) lgkmcnt(0)
	ds_write_b16 v17, v18
	s_waitcnt lgkmcnt(0)
	s_barrier
	buffer_gl0_inv
	ds_read_u16 v26, v14 offset:32
	ds_read_u16 v27, v14 offset:96
	;; [unrolled: 1-line block ×8, first 2 shown]
	ds_read2_b64 v[18:21], v15 offset1:16
	ds_read2_b64 v[22:25], v15 offset0:32 offset1:48
	s_waitcnt lgkmcnt(9)
	ds_read_u16_d16_hi v26, v14
	s_waitcnt lgkmcnt(9)
	ds_read_u16_d16_hi v27, v14 offset:64
	s_waitcnt lgkmcnt(9)
	ds_read_u16_d16_hi v28, v14 offset:128
	;; [unrolled: 2-line block ×7, first 2 shown]
	s_waitcnt lgkmcnt(0)
	s_barrier
	buffer_gl0_inv
	v_pk_fma_f16 v3, v26, v18, v3 op_sel_hi:[1,0,1]
	v_pk_fma_f16 v13, v27, v18, v13 op_sel_hi:[1,0,1]
	;; [unrolled: 1-line block ×8, first 2 shown]
	v_pk_fma_f16 v3, v28, v18, v3 op_sel:[0,1,0]
	v_pk_fma_f16 v13, v29, v18, v13 op_sel:[0,1,0]
	;; [unrolled: 1-line block ×8, first 2 shown]
	v_pk_fma_f16 v3, v30, v19, v3 op_sel_hi:[1,0,1]
	v_pk_fma_f16 v13, v31, v19, v13 op_sel_hi:[1,0,1]
	;; [unrolled: 1-line block ×8, first 2 shown]
	v_pk_fma_f16 v3, v32, v19, v3 op_sel:[0,1,0]
	v_pk_fma_f16 v13, v33, v19, v13 op_sel:[0,1,0]
	;; [unrolled: 1-line block ×8, first 2 shown]
	s_cbranch_vccnz .LBB59_2
	s_branch .LBB59_4
.LBB59_3:
	v_mov_b32_e32 v13, 0
	v_mov_b32_e32 v12, 0
	;; [unrolled: 1-line block ×7, first 2 shown]
.LBB59_4:
	s_clause 0x1
	s_load_dword s1, s[4:5], 0x50
	s_load_dword s0, s[4:5], 0x18
	v_add_co_u32 v17, s4, s28, v1
	v_add_co_ci_u32_e64 v21, null, s29, 0, s4
	v_add_co_u32 v0, s4, s6, v0
	v_add_co_ci_u32_e64 v1, null, s7, 0, s4
	v_mul_lo_u32 v19, v21, s8
	v_mul_lo_u32 v20, v17, s9
	s_lshl_b64 s[2:3], s[10:11], 1
	v_lshlrev_b64 v[0:1], 1, v[0:1]
	v_lshrrev_b32_e32 v18, 16, v3
	v_lshrrev_b32_e32 v16, 16, v13
	;; [unrolled: 1-line block ×6, first 2 shown]
	s_waitcnt lgkmcnt(0)
	v_cmp_neq_f16_e64 s4, s1, 0
	v_lshrrev_b32_e32 v5, 16, v8
	v_lshrrev_b32_e32 v4, 16, v2
	s_add_u32 s2, s18, s2
	s_addc_u32 s3, s19, s3
	s_and_b32 vcc_lo, exec_lo, s4
	s_mov_b32 s4, 0
	s_cbranch_vccnz .LBB59_8
; %bb.5:
	v_mad_u64_u32 v[22:23], null, v17, s8, 0
	s_lshl_b64 s[6:7], s[8:9], 5
	v_mul_f16_sdwa v26, s0, v3 dst_sel:DWORD dst_unused:UNUSED_PAD src0_sel:DWORD src1_sel:WORD_1
	v_mul_f16_e32 v27, s0, v3
	v_mul_f16_sdwa v28, s0, v13 dst_sel:DWORD dst_unused:UNUSED_PAD src0_sel:DWORD src1_sel:WORD_1
	v_mul_f16_e32 v29, s0, v13
	v_mul_f16_sdwa v30, s0, v12 dst_sel:DWORD dst_unused:UNUSED_PAD src0_sel:DWORD src1_sel:WORD_1
	v_add3_u32 v23, v23, v20, v19
	v_mul_f16_e32 v31, s0, v12
	v_mul_f16_sdwa v32, s0, v11 dst_sel:DWORD dst_unused:UNUSED_PAD src0_sel:DWORD src1_sel:WORD_1
	v_mul_f16_e32 v33, s0, v11
	v_lshlrev_b64 v[22:23], 1, v[22:23]
	v_add_co_u32 v22, vcc_lo, s2, v22
	v_add_co_ci_u32_e64 v23, null, s3, v23, vcc_lo
	v_add_co_u32 v34, vcc_lo, v22, s6
	v_add_co_ci_u32_e64 v35, null, s7, v23, vcc_lo
	;; [unrolled: 2-line block ×4, first 2 shown]
	flat_store_short v[22:23], v26
	flat_store_short v[22:23], v27 offset:32
	flat_store_short v[22:23], v28 offset:64
	;; [unrolled: 1-line block ×3, first 2 shown]
	flat_store_short v[24:25], v30
	flat_store_short v[24:25], v31 offset:32
	v_add_co_u32 v26, vcc_lo, v34, s6
	v_add_co_ci_u32_e64 v27, null, s7, v35, vcc_lo
	v_mul_f16_sdwa v28, s0, v10 dst_sel:DWORD dst_unused:UNUSED_PAD src0_sel:DWORD src1_sel:WORD_1
	v_add_co_u32 v22, vcc_lo, v26, v0
	v_add_co_ci_u32_e64 v23, null, v27, v1, vcc_lo
	v_mul_f16_e32 v29, s0, v10
	v_mul_f16_sdwa v30, s0, v9 dst_sel:DWORD dst_unused:UNUSED_PAD src0_sel:DWORD src1_sel:WORD_1
	flat_store_short v[24:25], v32 offset:64
	flat_store_short v[24:25], v33 offset:96
	flat_store_short v[22:23], v28
	flat_store_short v[22:23], v29 offset:32
	flat_store_short v[22:23], v30 offset:64
	v_add_co_u32 v24, vcc_lo, v26, s6
	v_add_co_ci_u32_e64 v25, null, s7, v27, vcc_lo
	v_mul_f16_e32 v28, s0, v9
	v_add_co_u32 v24, vcc_lo, v24, v0
	v_mul_f16_sdwa v26, s0, v8 dst_sel:DWORD dst_unused:UNUSED_PAD src0_sel:DWORD src1_sel:WORD_1
	v_add_co_ci_u32_e64 v25, null, v25, v1, vcc_lo
	v_mul_f16_e32 v27, s0, v8
	v_mul_f16_sdwa v29, s0, v2 dst_sel:DWORD dst_unused:UNUSED_PAD src0_sel:DWORD src1_sel:WORD_1
	v_mul_f16_e32 v30, s0, v2
	flat_store_short v[22:23], v28 offset:96
	flat_store_short v[24:25], v26
	flat_store_short v[24:25], v27 offset:32
	flat_store_short v[24:25], v29 offset:64
	;; [unrolled: 1-line block ×3, first 2 shown]
	s_andn2_b32 vcc_lo, exec_lo, s4
	s_cbranch_vccnz .LBB59_7
.LBB59_6:
	v_mul_lo_u32 v23, v21, s14
	v_mul_lo_u32 v24, v17, s15
	v_mad_u64_u32 v[21:22], null, v17, s14, 0
	s_lshl_b64 s[4:5], s[16:17], 1
	s_add_u32 s4, s12, s4
	s_addc_u32 s5, s13, s5
	v_add3_u32 v22, v22, v24, v23
	v_mad_u64_u32 v[23:24], null, v17, s8, 0
	v_lshlrev_b64 v[21:22], 1, v[21:22]
	v_add3_u32 v24, v24, v20, v19
	v_add_co_u32 v25, vcc_lo, s4, v21
	v_add_co_ci_u32_e64 v26, null, s5, v22, vcc_lo
	v_lshlrev_b64 v[19:20], 1, v[23:24]
	v_add_co_u32 v21, vcc_lo, v25, v0
	v_add_co_ci_u32_e64 v22, null, v26, v1, vcc_lo
	s_lshl_b64 s[4:5], s[8:9], 5
	v_add_co_u32 v23, vcc_lo, s2, v19
	flat_load_ushort v27, v[21:22]
	v_add_co_ci_u32_e64 v24, null, s3, v20, vcc_lo
	v_add_co_u32 v19, vcc_lo, v23, v0
	s_lshl_b64 s[2:3], s[14:15], 5
	v_add_co_ci_u32_e64 v20, null, v24, v1, vcc_lo
	s_waitcnt vmcnt(0) lgkmcnt(0)
	v_mul_f16_e32 v17, s1, v27
	v_fmac_f16_e32 v17, s0, v18
	flat_store_short v[19:20], v17
	flat_load_ushort v17, v[21:22] offset:32
	s_waitcnt vmcnt(0) lgkmcnt(0)
	v_mul_f16_e32 v17, s1, v17
	v_fmac_f16_e32 v17, s0, v3
	flat_store_short v[19:20], v17 offset:32
	flat_load_ushort v3, v[21:22] offset:64
	s_waitcnt vmcnt(0) lgkmcnt(0)
	v_mul_f16_e32 v3, s1, v3
	v_fmac_f16_e32 v3, s0, v16
	flat_store_short v[19:20], v3 offset:64
	flat_load_ushort v3, v[21:22] offset:96
	v_add_co_u32 v21, vcc_lo, v25, s2
	v_add_co_ci_u32_e64 v22, null, s3, v26, vcc_lo
	v_add_co_u32 v16, vcc_lo, v21, v0
	v_add_co_ci_u32_e64 v17, null, v22, v1, vcc_lo
	s_waitcnt vmcnt(0) lgkmcnt(0)
	v_mul_f16_e32 v3, s1, v3
	v_fmac_f16_e32 v3, s0, v13
	v_add_co_u32 v13, vcc_lo, v23, s4
	flat_store_short v[19:20], v3 offset:96
	flat_load_ushort v3, v[16:17]
	v_add_co_ci_u32_e64 v20, null, s5, v24, vcc_lo
	v_add_co_u32 v18, vcc_lo, v13, v0
	v_add_co_ci_u32_e64 v19, null, v20, v1, vcc_lo
	s_waitcnt vmcnt(0) lgkmcnt(0)
	v_mul_f16_e32 v3, s1, v3
	v_fmac_f16_e32 v3, s0, v15
	v_add_co_u32 v15, vcc_lo, v21, s2
	flat_store_short v[18:19], v3
	flat_load_ushort v3, v[16:17] offset:32
	s_waitcnt vmcnt(0) lgkmcnt(0)
	v_mul_f16_e32 v3, s1, v3
	v_fmac_f16_e32 v3, s0, v12
	flat_store_short v[18:19], v3 offset:32
	flat_load_ushort v3, v[16:17] offset:64
	s_waitcnt vmcnt(0) lgkmcnt(0)
	v_mul_f16_e32 v3, s1, v3
	v_fmac_f16_e32 v3, s0, v14
	flat_store_short v[18:19], v3 offset:64
	flat_load_ushort v3, v[16:17] offset:96
	v_add_co_ci_u32_e64 v16, null, s3, v22, vcc_lo
	s_waitcnt vmcnt(0) lgkmcnt(0)
	v_mul_f16_e32 v3, s1, v3
	v_fmac_f16_e32 v3, s0, v11
	v_add_co_u32 v11, vcc_lo, v15, v0
	v_add_co_ci_u32_e64 v12, null, v16, v1, vcc_lo
	flat_store_short v[18:19], v3 offset:96
	v_add_co_u32 v17, vcc_lo, v13, s4
	flat_load_ushort v3, v[11:12]
	v_add_co_ci_u32_e64 v18, null, s5, v20, vcc_lo
	v_add_co_u32 v13, vcc_lo, v17, v0
	v_add_co_ci_u32_e64 v14, null, v18, v1, vcc_lo
	s_waitcnt vmcnt(0) lgkmcnt(0)
	v_mul_f16_e32 v3, s1, v3
	v_fmac_f16_e32 v3, s0, v7
	flat_store_short v[13:14], v3
	flat_load_ushort v3, v[11:12] offset:32
	s_waitcnt vmcnt(0) lgkmcnt(0)
	v_mul_f16_e32 v3, s1, v3
	v_fmac_f16_e32 v3, s0, v10
	flat_store_short v[13:14], v3 offset:32
	flat_load_ushort v3, v[11:12] offset:64
	s_waitcnt vmcnt(0) lgkmcnt(0)
	v_mul_f16_e32 v3, s1, v3
	v_fmac_f16_e32 v3, s0, v6
	v_add_co_u32 v6, vcc_lo, v15, s2
	v_add_co_ci_u32_e64 v7, null, s3, v16, vcc_lo
	flat_store_short v[13:14], v3 offset:64
	flat_load_ushort v3, v[11:12] offset:96
	v_add_co_u32 v6, vcc_lo, v6, v0
	v_add_co_ci_u32_e64 v7, null, v7, v1, vcc_lo
	s_waitcnt vmcnt(0) lgkmcnt(0)
	v_mul_f16_e32 v3, s1, v3
	v_fmac_f16_e32 v3, s0, v9
	v_add_co_u32 v9, vcc_lo, v17, s4
	v_add_co_ci_u32_e64 v10, null, s5, v18, vcc_lo
	flat_store_short v[13:14], v3 offset:96
	flat_load_ushort v3, v[6:7]
	v_add_co_u32 v0, vcc_lo, v9, v0
	v_add_co_ci_u32_e64 v1, null, v10, v1, vcc_lo
	s_waitcnt vmcnt(0) lgkmcnt(0)
	v_mul_f16_e32 v3, s1, v3
	v_fmac_f16_e32 v3, s0, v5
	flat_store_short v[0:1], v3
	flat_load_ushort v3, v[6:7] offset:32
	s_waitcnt vmcnt(0) lgkmcnt(0)
	v_mul_f16_e32 v3, s1, v3
	v_fmac_f16_e32 v3, s0, v8
	flat_store_short v[0:1], v3 offset:32
	flat_load_ushort v3, v[6:7] offset:64
	s_waitcnt vmcnt(0) lgkmcnt(0)
	v_mul_f16_e32 v3, s1, v3
	v_fmac_f16_e32 v3, s0, v4
	flat_store_short v[0:1], v3 offset:64
	;; [unrolled: 5-line block ×3, first 2 shown]
.LBB59_7:
	s_endpgm
.LBB59_8:
	s_branch .LBB59_6
	.section	.rodata,"a",@progbits
	.p2align	6, 0x0
	.amdhsa_kernel _ZN12_GLOBAL__N_127rocblas_gemm_batched_kernelIDF16_Li16ELi16ELi64ELi64ELi4ELi64ELi4ELi4ELi64ELc78ELc84EKPKDF16_S3_KPDF16_EEvlllT_PT11_llS8_llS6_PT12_llPT13_lli
		.amdhsa_group_segment_fixed_size 1024
		.amdhsa_private_segment_fixed_size 0
		.amdhsa_kernarg_size 140
		.amdhsa_user_sgpr_count 6
		.amdhsa_user_sgpr_private_segment_buffer 1
		.amdhsa_user_sgpr_dispatch_ptr 0
		.amdhsa_user_sgpr_queue_ptr 0
		.amdhsa_user_sgpr_kernarg_segment_ptr 1
		.amdhsa_user_sgpr_dispatch_id 0
		.amdhsa_user_sgpr_flat_scratch_init 0
		.amdhsa_user_sgpr_private_segment_size 0
		.amdhsa_wavefront_size32 1
		.amdhsa_uses_dynamic_stack 0
		.amdhsa_system_sgpr_private_segment_wavefront_offset 0
		.amdhsa_system_sgpr_workgroup_id_x 1
		.amdhsa_system_sgpr_workgroup_id_y 1
		.amdhsa_system_sgpr_workgroup_id_z 1
		.amdhsa_system_sgpr_workgroup_info 0
		.amdhsa_system_vgpr_workitem_id 1
		.amdhsa_next_free_vgpr 36
		.amdhsa_next_free_sgpr 36
		.amdhsa_reserve_vcc 1
		.amdhsa_reserve_flat_scratch 0
		.amdhsa_float_round_mode_32 0
		.amdhsa_float_round_mode_16_64 0
		.amdhsa_float_denorm_mode_32 3
		.amdhsa_float_denorm_mode_16_64 3
		.amdhsa_dx10_clamp 1
		.amdhsa_ieee_mode 1
		.amdhsa_fp16_overflow 0
		.amdhsa_workgroup_processor_mode 1
		.amdhsa_memory_ordered 1
		.amdhsa_forward_progress 1
		.amdhsa_shared_vgpr_count 0
		.amdhsa_exception_fp_ieee_invalid_op 0
		.amdhsa_exception_fp_denorm_src 0
		.amdhsa_exception_fp_ieee_div_zero 0
		.amdhsa_exception_fp_ieee_overflow 0
		.amdhsa_exception_fp_ieee_underflow 0
		.amdhsa_exception_fp_ieee_inexact 0
		.amdhsa_exception_int_div_zero 0
	.end_amdhsa_kernel
	.section	.text._ZN12_GLOBAL__N_127rocblas_gemm_batched_kernelIDF16_Li16ELi16ELi64ELi64ELi4ELi64ELi4ELi4ELi64ELc78ELc84EKPKDF16_S3_KPDF16_EEvlllT_PT11_llS8_llS6_PT12_llPT13_lli,"axG",@progbits,_ZN12_GLOBAL__N_127rocblas_gemm_batched_kernelIDF16_Li16ELi16ELi64ELi64ELi4ELi64ELi4ELi4ELi64ELc78ELc84EKPKDF16_S3_KPDF16_EEvlllT_PT11_llS8_llS6_PT12_llPT13_lli,comdat
.Lfunc_end59:
	.size	_ZN12_GLOBAL__N_127rocblas_gemm_batched_kernelIDF16_Li16ELi16ELi64ELi64ELi4ELi64ELi4ELi4ELi64ELc78ELc84EKPKDF16_S3_KPDF16_EEvlllT_PT11_llS8_llS6_PT12_llPT13_lli, .Lfunc_end59-_ZN12_GLOBAL__N_127rocblas_gemm_batched_kernelIDF16_Li16ELi16ELi64ELi64ELi4ELi64ELi4ELi4ELi64ELc78ELc84EKPKDF16_S3_KPDF16_EEvlllT_PT11_llS8_llS6_PT12_llPT13_lli
                                        ; -- End function
	.set _ZN12_GLOBAL__N_127rocblas_gemm_batched_kernelIDF16_Li16ELi16ELi64ELi64ELi4ELi64ELi4ELi4ELi64ELc78ELc84EKPKDF16_S3_KPDF16_EEvlllT_PT11_llS8_llS6_PT12_llPT13_lli.num_vgpr, 36
	.set _ZN12_GLOBAL__N_127rocblas_gemm_batched_kernelIDF16_Li16ELi16ELi64ELi64ELi4ELi64ELi4ELi4ELi64ELc78ELc84EKPKDF16_S3_KPDF16_EEvlllT_PT11_llS8_llS6_PT12_llPT13_lli.num_agpr, 0
	.set _ZN12_GLOBAL__N_127rocblas_gemm_batched_kernelIDF16_Li16ELi16ELi64ELi64ELi4ELi64ELi4ELi4ELi64ELc78ELc84EKPKDF16_S3_KPDF16_EEvlllT_PT11_llS8_llS6_PT12_llPT13_lli.numbered_sgpr, 36
	.set _ZN12_GLOBAL__N_127rocblas_gemm_batched_kernelIDF16_Li16ELi16ELi64ELi64ELi4ELi64ELi4ELi4ELi64ELc78ELc84EKPKDF16_S3_KPDF16_EEvlllT_PT11_llS8_llS6_PT12_llPT13_lli.num_named_barrier, 0
	.set _ZN12_GLOBAL__N_127rocblas_gemm_batched_kernelIDF16_Li16ELi16ELi64ELi64ELi4ELi64ELi4ELi4ELi64ELc78ELc84EKPKDF16_S3_KPDF16_EEvlllT_PT11_llS8_llS6_PT12_llPT13_lli.private_seg_size, 0
	.set _ZN12_GLOBAL__N_127rocblas_gemm_batched_kernelIDF16_Li16ELi16ELi64ELi64ELi4ELi64ELi4ELi4ELi64ELc78ELc84EKPKDF16_S3_KPDF16_EEvlllT_PT11_llS8_llS6_PT12_llPT13_lli.uses_vcc, 1
	.set _ZN12_GLOBAL__N_127rocblas_gemm_batched_kernelIDF16_Li16ELi16ELi64ELi64ELi4ELi64ELi4ELi4ELi64ELc78ELc84EKPKDF16_S3_KPDF16_EEvlllT_PT11_llS8_llS6_PT12_llPT13_lli.uses_flat_scratch, 0
	.set _ZN12_GLOBAL__N_127rocblas_gemm_batched_kernelIDF16_Li16ELi16ELi64ELi64ELi4ELi64ELi4ELi4ELi64ELc78ELc84EKPKDF16_S3_KPDF16_EEvlllT_PT11_llS8_llS6_PT12_llPT13_lli.has_dyn_sized_stack, 0
	.set _ZN12_GLOBAL__N_127rocblas_gemm_batched_kernelIDF16_Li16ELi16ELi64ELi64ELi4ELi64ELi4ELi4ELi64ELc78ELc84EKPKDF16_S3_KPDF16_EEvlllT_PT11_llS8_llS6_PT12_llPT13_lli.has_recursion, 0
	.set _ZN12_GLOBAL__N_127rocblas_gemm_batched_kernelIDF16_Li16ELi16ELi64ELi64ELi4ELi64ELi4ELi4ELi64ELc78ELc84EKPKDF16_S3_KPDF16_EEvlllT_PT11_llS8_llS6_PT12_llPT13_lli.has_indirect_call, 0
	.section	.AMDGPU.csdata,"",@progbits
; Kernel info:
; codeLenInByte = 2348
; TotalNumSgprs: 38
; NumVgprs: 36
; ScratchSize: 0
; MemoryBound: 0
; FloatMode: 240
; IeeeMode: 1
; LDSByteSize: 1024 bytes/workgroup (compile time only)
; SGPRBlocks: 0
; VGPRBlocks: 4
; NumSGPRsForWavesPerEU: 38
; NumVGPRsForWavesPerEU: 36
; Occupancy: 16
; WaveLimiterHint : 1
; COMPUTE_PGM_RSRC2:SCRATCH_EN: 0
; COMPUTE_PGM_RSRC2:USER_SGPR: 6
; COMPUTE_PGM_RSRC2:TRAP_HANDLER: 0
; COMPUTE_PGM_RSRC2:TGID_X_EN: 1
; COMPUTE_PGM_RSRC2:TGID_Y_EN: 1
; COMPUTE_PGM_RSRC2:TGID_Z_EN: 1
; COMPUTE_PGM_RSRC2:TIDIG_COMP_CNT: 1
	.section	.text._ZN12_GLOBAL__N_127rocblas_gemm_batched_kernelIDF16_Li16ELi16ELi64ELi64ELi4ELi64ELi4ELi4ELi64ELc84ELc84EKPKDF16_S3_KPDF16_EEvlllT_PT11_llS8_llS6_PT12_llPT13_lli,"axG",@progbits,_ZN12_GLOBAL__N_127rocblas_gemm_batched_kernelIDF16_Li16ELi16ELi64ELi64ELi4ELi64ELi4ELi4ELi64ELc84ELc84EKPKDF16_S3_KPDF16_EEvlllT_PT11_llS8_llS6_PT12_llPT13_lli,comdat
	.globl	_ZN12_GLOBAL__N_127rocblas_gemm_batched_kernelIDF16_Li16ELi16ELi64ELi64ELi4ELi64ELi4ELi4ELi64ELc84ELc84EKPKDF16_S3_KPDF16_EEvlllT_PT11_llS8_llS6_PT12_llPT13_lli ; -- Begin function _ZN12_GLOBAL__N_127rocblas_gemm_batched_kernelIDF16_Li16ELi16ELi64ELi64ELi4ELi64ELi4ELi4ELi64ELc84ELc84EKPKDF16_S3_KPDF16_EEvlllT_PT11_llS8_llS6_PT12_llPT13_lli
	.p2align	8
	.type	_ZN12_GLOBAL__N_127rocblas_gemm_batched_kernelIDF16_Li16ELi16ELi64ELi64ELi4ELi64ELi4ELi4ELi64ELc84ELc84EKPKDF16_S3_KPDF16_EEvlllT_PT11_llS8_llS6_PT12_llPT13_lli,@function
_ZN12_GLOBAL__N_127rocblas_gemm_batched_kernelIDF16_Li16ELi16ELi64ELi64ELi4ELi64ELi4ELi4ELi64ELc84ELc84EKPKDF16_S3_KPDF16_EEvlllT_PT11_llS8_llS6_PT12_llPT13_lli: ; @_ZN12_GLOBAL__N_127rocblas_gemm_batched_kernelIDF16_Li16ELi16ELi64ELi64ELi4ELi64ELi4ELi4ELi64ELc84ELc84EKPKDF16_S3_KPDF16_EEvlllT_PT11_llS8_llS6_PT12_llPT13_lli
; %bb.0:
	s_clause 0x1
	s_load_dwordx8 s[12:19], s[4:5], 0x58
	s_load_dwordx2 s[30:31], s[4:5], 0x10
	s_mov_b32 s9, 0
	s_mov_b32 s0, s7
	s_lshl_b64 s[34:35], s[8:9], 3
	s_load_dwordx4 s[8:11], s[4:5], 0x78
	v_mov_b32_e32 v3, 0
	s_waitcnt lgkmcnt(0)
	s_add_u32 s2, s12, s34
	s_addc_u32 s3, s13, s35
	s_add_u32 s18, s18, s34
	s_addc_u32 s19, s19, s35
	s_load_dwordx2 s[12:13], s[2:3], 0x0
	s_load_dwordx2 s[18:19], s[18:19], 0x0
	v_cmp_lt_i64_e64 s2, s[30:31], 1
	s_ashr_i32 s7, s6, 31
	s_ashr_i32 s1, s0, 31
	s_lshl_b64 s[6:7], s[6:7], 6
	s_lshl_b64 s[28:29], s[0:1], 6
	s_and_b32 vcc_lo, exec_lo, s2
	s_cbranch_vccnz .LBB60_3
; %bb.1:
	s_clause 0x1
	s_load_dwordx8 s[20:27], s[4:5], 0x20
	s_load_dwordx4 s[0:3], s[4:5], 0x40
	v_lshl_add_u32 v8, v1, 4, v0
	v_and_b32_e32 v9, 3, v0
	v_lshlrev_b32_e32 v14, 1, v0
	v_lshl_add_u32 v15, v1, 3, 0x200
	v_and_b32_e32 v10, 63, v8
	v_lshrrev_b32_e32 v2, 2, v8
	v_lshlrev_b32_e32 v11, 1, v9
	v_lshrrev_b32_e32 v8, 6, v8
	v_add_co_u32 v6, s33, s6, v10
	v_add_co_ci_u32_e64 v7, null, s7, 0, s33
	v_lshlrev_b32_e32 v10, 1, v10
	v_lshl_or_b32 v11, v2, 3, v11
	v_lshlrev_b32_e32 v18, 1, v8
	s_waitcnt lgkmcnt(0)
	s_add_u32 s20, s20, s34
	s_addc_u32 s21, s21, s35
	s_add_u32 s26, s26, s34
	s_addc_u32 s27, s27, s35
	v_mad_u64_u32 v[4:5], null, s0, v9, v[2:3]
	s_load_dwordx2 s[26:27], s[26:27], 0x0
	v_mul_lo_u32 v12, s23, v6
	v_mul_lo_u32 v13, s22, v7
	v_mad_u64_u32 v[6:7], null, s22, v6, 0
	v_lshl_or_b32 v16, v8, 7, v10
	v_mov_b32_e32 v2, v5
	s_load_dwordx2 s[20:21], s[20:21], 0x0
	s_lshl_b64 s[2:3], s[2:3], 1
	v_add_nc_u32_e32 v17, 0x200, v11
	v_mov_b32_e32 v10, 0
	v_add3_u32 v7, v7, v13, v12
	v_mad_u64_u32 v[8:9], null, s1, v9, v[2:3]
	v_mov_b32_e32 v9, 0
	v_mov_b32_e32 v11, 0
	v_lshlrev_b64 v[5:6], 1, v[6:7]
	v_add_co_u32 v7, vcc_lo, v4, s28
	v_mov_b32_e32 v12, 0
	v_add_co_ci_u32_e64 v8, null, s29, v8, vcc_lo
	s_waitcnt lgkmcnt(0)
	s_add_u32 s22, s26, s2
	s_addc_u32 s23, s27, s3
	s_lshl_b64 s[2:3], s[24:25], 1
	v_mov_b32_e32 v13, 0
	v_add_co_u32 v2, vcc_lo, v5, s2
	v_add_co_ci_u32_e64 v6, null, s3, v6, vcc_lo
	v_lshlrev_b64 v[4:5], 1, v[7:8]
	v_add_co_u32 v2, vcc_lo, v2, v18
	v_add_co_ci_u32_e64 v7, null, 0, v6, vcc_lo
	v_mov_b32_e32 v8, 0
	v_add_co_u32 v4, vcc_lo, s22, v4
	v_add_co_ci_u32_e64 v5, null, s23, v5, vcc_lo
	v_add_co_u32 v6, vcc_lo, s20, v2
	v_add_co_ci_u32_e64 v7, null, s21, v7, vcc_lo
	v_mov_b32_e32 v2, 0
	s_lshl_b64 s[2:3], s[0:1], 3
	s_mov_b64 s[20:21], 0
.LBB60_2:                               ; =>This Inner Loop Header: Depth=1
	flat_load_ushort v18, v[6:7]
	s_add_u32 s20, s20, 4
	s_addc_u32 s21, s21, 0
	v_add_co_u32 v6, vcc_lo, v6, 8
	v_cmp_lt_i64_e64 s0, s[20:21], s[30:31]
	v_add_co_ci_u32_e64 v7, null, 0, v7, vcc_lo
	s_and_b32 vcc_lo, exec_lo, s0
	s_waitcnt vmcnt(0) lgkmcnt(0)
	ds_write_b16 v16, v18
	flat_load_ushort v18, v[4:5]
	v_add_co_u32 v4, s0, v4, s2
	v_add_co_ci_u32_e64 v5, null, s3, v5, s0
	s_waitcnt vmcnt(0) lgkmcnt(0)
	ds_write_b16 v17, v18
	s_waitcnt lgkmcnt(0)
	s_barrier
	buffer_gl0_inv
	ds_read_u16 v26, v14 offset:32
	ds_read_u16 v27, v14 offset:96
	;; [unrolled: 1-line block ×8, first 2 shown]
	ds_read2_b64 v[18:21], v15 offset1:16
	ds_read2_b64 v[22:25], v15 offset0:32 offset1:48
	s_waitcnt lgkmcnt(9)
	ds_read_u16_d16_hi v26, v14
	s_waitcnt lgkmcnt(9)
	ds_read_u16_d16_hi v27, v14 offset:64
	s_waitcnt lgkmcnt(9)
	ds_read_u16_d16_hi v28, v14 offset:128
	;; [unrolled: 2-line block ×7, first 2 shown]
	s_waitcnt lgkmcnt(0)
	s_barrier
	buffer_gl0_inv
	v_pk_fma_f16 v3, v26, v18, v3 op_sel_hi:[1,0,1]
	v_pk_fma_f16 v13, v27, v18, v13 op_sel_hi:[1,0,1]
	;; [unrolled: 1-line block ×8, first 2 shown]
	v_pk_fma_f16 v3, v28, v18, v3 op_sel:[0,1,0]
	v_pk_fma_f16 v13, v29, v18, v13 op_sel:[0,1,0]
	;; [unrolled: 1-line block ×8, first 2 shown]
	v_pk_fma_f16 v3, v30, v19, v3 op_sel_hi:[1,0,1]
	v_pk_fma_f16 v13, v31, v19, v13 op_sel_hi:[1,0,1]
	;; [unrolled: 1-line block ×8, first 2 shown]
	v_pk_fma_f16 v3, v32, v19, v3 op_sel:[0,1,0]
	v_pk_fma_f16 v13, v33, v19, v13 op_sel:[0,1,0]
	;; [unrolled: 1-line block ×8, first 2 shown]
	s_cbranch_vccnz .LBB60_2
	s_branch .LBB60_4
.LBB60_3:
	v_mov_b32_e32 v13, 0
	v_mov_b32_e32 v12, 0
	;; [unrolled: 1-line block ×7, first 2 shown]
.LBB60_4:
	s_clause 0x1
	s_load_dword s1, s[4:5], 0x50
	s_load_dword s0, s[4:5], 0x18
	v_add_co_u32 v17, s4, s28, v1
	v_add_co_ci_u32_e64 v21, null, s29, 0, s4
	v_add_co_u32 v0, s4, s6, v0
	v_add_co_ci_u32_e64 v1, null, s7, 0, s4
	v_mul_lo_u32 v19, v21, s8
	v_mul_lo_u32 v20, v17, s9
	s_lshl_b64 s[2:3], s[10:11], 1
	v_lshlrev_b64 v[0:1], 1, v[0:1]
	v_lshrrev_b32_e32 v18, 16, v3
	v_lshrrev_b32_e32 v16, 16, v13
	;; [unrolled: 1-line block ×6, first 2 shown]
	s_waitcnt lgkmcnt(0)
	v_cmp_neq_f16_e64 s4, s1, 0
	v_lshrrev_b32_e32 v5, 16, v8
	v_lshrrev_b32_e32 v4, 16, v2
	s_add_u32 s2, s18, s2
	s_addc_u32 s3, s19, s3
	s_and_b32 vcc_lo, exec_lo, s4
	s_mov_b32 s4, 0
	s_cbranch_vccnz .LBB60_8
; %bb.5:
	v_mad_u64_u32 v[22:23], null, v17, s8, 0
	s_lshl_b64 s[6:7], s[8:9], 5
	v_mul_f16_sdwa v26, s0, v3 dst_sel:DWORD dst_unused:UNUSED_PAD src0_sel:DWORD src1_sel:WORD_1
	v_mul_f16_e32 v27, s0, v3
	v_mul_f16_sdwa v28, s0, v13 dst_sel:DWORD dst_unused:UNUSED_PAD src0_sel:DWORD src1_sel:WORD_1
	v_mul_f16_e32 v29, s0, v13
	v_mul_f16_sdwa v30, s0, v12 dst_sel:DWORD dst_unused:UNUSED_PAD src0_sel:DWORD src1_sel:WORD_1
	v_add3_u32 v23, v23, v20, v19
	v_mul_f16_e32 v31, s0, v12
	v_mul_f16_sdwa v32, s0, v11 dst_sel:DWORD dst_unused:UNUSED_PAD src0_sel:DWORD src1_sel:WORD_1
	v_mul_f16_e32 v33, s0, v11
	v_lshlrev_b64 v[22:23], 1, v[22:23]
	v_add_co_u32 v22, vcc_lo, s2, v22
	v_add_co_ci_u32_e64 v23, null, s3, v23, vcc_lo
	v_add_co_u32 v34, vcc_lo, v22, s6
	v_add_co_ci_u32_e64 v35, null, s7, v23, vcc_lo
	;; [unrolled: 2-line block ×4, first 2 shown]
	flat_store_short v[22:23], v26
	flat_store_short v[22:23], v27 offset:32
	flat_store_short v[22:23], v28 offset:64
	;; [unrolled: 1-line block ×3, first 2 shown]
	flat_store_short v[24:25], v30
	flat_store_short v[24:25], v31 offset:32
	v_add_co_u32 v26, vcc_lo, v34, s6
	v_add_co_ci_u32_e64 v27, null, s7, v35, vcc_lo
	v_mul_f16_sdwa v28, s0, v10 dst_sel:DWORD dst_unused:UNUSED_PAD src0_sel:DWORD src1_sel:WORD_1
	v_add_co_u32 v22, vcc_lo, v26, v0
	v_add_co_ci_u32_e64 v23, null, v27, v1, vcc_lo
	v_mul_f16_e32 v29, s0, v10
	v_mul_f16_sdwa v30, s0, v9 dst_sel:DWORD dst_unused:UNUSED_PAD src0_sel:DWORD src1_sel:WORD_1
	flat_store_short v[24:25], v32 offset:64
	flat_store_short v[24:25], v33 offset:96
	flat_store_short v[22:23], v28
	flat_store_short v[22:23], v29 offset:32
	flat_store_short v[22:23], v30 offset:64
	v_add_co_u32 v24, vcc_lo, v26, s6
	v_add_co_ci_u32_e64 v25, null, s7, v27, vcc_lo
	v_mul_f16_e32 v28, s0, v9
	v_add_co_u32 v24, vcc_lo, v24, v0
	v_mul_f16_sdwa v26, s0, v8 dst_sel:DWORD dst_unused:UNUSED_PAD src0_sel:DWORD src1_sel:WORD_1
	v_add_co_ci_u32_e64 v25, null, v25, v1, vcc_lo
	v_mul_f16_e32 v27, s0, v8
	v_mul_f16_sdwa v29, s0, v2 dst_sel:DWORD dst_unused:UNUSED_PAD src0_sel:DWORD src1_sel:WORD_1
	v_mul_f16_e32 v30, s0, v2
	flat_store_short v[22:23], v28 offset:96
	flat_store_short v[24:25], v26
	flat_store_short v[24:25], v27 offset:32
	flat_store_short v[24:25], v29 offset:64
	;; [unrolled: 1-line block ×3, first 2 shown]
	s_andn2_b32 vcc_lo, exec_lo, s4
	s_cbranch_vccnz .LBB60_7
.LBB60_6:
	v_mul_lo_u32 v23, v21, s14
	v_mul_lo_u32 v24, v17, s15
	v_mad_u64_u32 v[21:22], null, v17, s14, 0
	s_lshl_b64 s[4:5], s[16:17], 1
	s_add_u32 s4, s12, s4
	s_addc_u32 s5, s13, s5
	v_add3_u32 v22, v22, v24, v23
	v_mad_u64_u32 v[23:24], null, v17, s8, 0
	v_lshlrev_b64 v[21:22], 1, v[21:22]
	v_add3_u32 v24, v24, v20, v19
	v_add_co_u32 v25, vcc_lo, s4, v21
	v_add_co_ci_u32_e64 v26, null, s5, v22, vcc_lo
	v_lshlrev_b64 v[19:20], 1, v[23:24]
	v_add_co_u32 v21, vcc_lo, v25, v0
	v_add_co_ci_u32_e64 v22, null, v26, v1, vcc_lo
	s_lshl_b64 s[4:5], s[8:9], 5
	v_add_co_u32 v23, vcc_lo, s2, v19
	flat_load_ushort v27, v[21:22]
	v_add_co_ci_u32_e64 v24, null, s3, v20, vcc_lo
	v_add_co_u32 v19, vcc_lo, v23, v0
	s_lshl_b64 s[2:3], s[14:15], 5
	v_add_co_ci_u32_e64 v20, null, v24, v1, vcc_lo
	s_waitcnt vmcnt(0) lgkmcnt(0)
	v_mul_f16_e32 v17, s1, v27
	v_fmac_f16_e32 v17, s0, v18
	flat_store_short v[19:20], v17
	flat_load_ushort v17, v[21:22] offset:32
	s_waitcnt vmcnt(0) lgkmcnt(0)
	v_mul_f16_e32 v17, s1, v17
	v_fmac_f16_e32 v17, s0, v3
	flat_store_short v[19:20], v17 offset:32
	flat_load_ushort v3, v[21:22] offset:64
	s_waitcnt vmcnt(0) lgkmcnt(0)
	v_mul_f16_e32 v3, s1, v3
	v_fmac_f16_e32 v3, s0, v16
	flat_store_short v[19:20], v3 offset:64
	flat_load_ushort v3, v[21:22] offset:96
	v_add_co_u32 v21, vcc_lo, v25, s2
	v_add_co_ci_u32_e64 v22, null, s3, v26, vcc_lo
	v_add_co_u32 v16, vcc_lo, v21, v0
	v_add_co_ci_u32_e64 v17, null, v22, v1, vcc_lo
	s_waitcnt vmcnt(0) lgkmcnt(0)
	v_mul_f16_e32 v3, s1, v3
	v_fmac_f16_e32 v3, s0, v13
	v_add_co_u32 v13, vcc_lo, v23, s4
	flat_store_short v[19:20], v3 offset:96
	flat_load_ushort v3, v[16:17]
	v_add_co_ci_u32_e64 v20, null, s5, v24, vcc_lo
	v_add_co_u32 v18, vcc_lo, v13, v0
	v_add_co_ci_u32_e64 v19, null, v20, v1, vcc_lo
	s_waitcnt vmcnt(0) lgkmcnt(0)
	v_mul_f16_e32 v3, s1, v3
	v_fmac_f16_e32 v3, s0, v15
	v_add_co_u32 v15, vcc_lo, v21, s2
	flat_store_short v[18:19], v3
	flat_load_ushort v3, v[16:17] offset:32
	s_waitcnt vmcnt(0) lgkmcnt(0)
	v_mul_f16_e32 v3, s1, v3
	v_fmac_f16_e32 v3, s0, v12
	flat_store_short v[18:19], v3 offset:32
	flat_load_ushort v3, v[16:17] offset:64
	s_waitcnt vmcnt(0) lgkmcnt(0)
	v_mul_f16_e32 v3, s1, v3
	v_fmac_f16_e32 v3, s0, v14
	flat_store_short v[18:19], v3 offset:64
	flat_load_ushort v3, v[16:17] offset:96
	v_add_co_ci_u32_e64 v16, null, s3, v22, vcc_lo
	s_waitcnt vmcnt(0) lgkmcnt(0)
	v_mul_f16_e32 v3, s1, v3
	v_fmac_f16_e32 v3, s0, v11
	v_add_co_u32 v11, vcc_lo, v15, v0
	v_add_co_ci_u32_e64 v12, null, v16, v1, vcc_lo
	flat_store_short v[18:19], v3 offset:96
	v_add_co_u32 v17, vcc_lo, v13, s4
	flat_load_ushort v3, v[11:12]
	v_add_co_ci_u32_e64 v18, null, s5, v20, vcc_lo
	v_add_co_u32 v13, vcc_lo, v17, v0
	v_add_co_ci_u32_e64 v14, null, v18, v1, vcc_lo
	s_waitcnt vmcnt(0) lgkmcnt(0)
	v_mul_f16_e32 v3, s1, v3
	v_fmac_f16_e32 v3, s0, v7
	flat_store_short v[13:14], v3
	flat_load_ushort v3, v[11:12] offset:32
	s_waitcnt vmcnt(0) lgkmcnt(0)
	v_mul_f16_e32 v3, s1, v3
	v_fmac_f16_e32 v3, s0, v10
	flat_store_short v[13:14], v3 offset:32
	flat_load_ushort v3, v[11:12] offset:64
	s_waitcnt vmcnt(0) lgkmcnt(0)
	v_mul_f16_e32 v3, s1, v3
	v_fmac_f16_e32 v3, s0, v6
	v_add_co_u32 v6, vcc_lo, v15, s2
	v_add_co_ci_u32_e64 v7, null, s3, v16, vcc_lo
	flat_store_short v[13:14], v3 offset:64
	flat_load_ushort v3, v[11:12] offset:96
	v_add_co_u32 v6, vcc_lo, v6, v0
	v_add_co_ci_u32_e64 v7, null, v7, v1, vcc_lo
	s_waitcnt vmcnt(0) lgkmcnt(0)
	v_mul_f16_e32 v3, s1, v3
	v_fmac_f16_e32 v3, s0, v9
	v_add_co_u32 v9, vcc_lo, v17, s4
	v_add_co_ci_u32_e64 v10, null, s5, v18, vcc_lo
	flat_store_short v[13:14], v3 offset:96
	flat_load_ushort v3, v[6:7]
	v_add_co_u32 v0, vcc_lo, v9, v0
	v_add_co_ci_u32_e64 v1, null, v10, v1, vcc_lo
	s_waitcnt vmcnt(0) lgkmcnt(0)
	v_mul_f16_e32 v3, s1, v3
	v_fmac_f16_e32 v3, s0, v5
	flat_store_short v[0:1], v3
	flat_load_ushort v3, v[6:7] offset:32
	s_waitcnt vmcnt(0) lgkmcnt(0)
	v_mul_f16_e32 v3, s1, v3
	v_fmac_f16_e32 v3, s0, v8
	flat_store_short v[0:1], v3 offset:32
	flat_load_ushort v3, v[6:7] offset:64
	s_waitcnt vmcnt(0) lgkmcnt(0)
	v_mul_f16_e32 v3, s1, v3
	v_fmac_f16_e32 v3, s0, v4
	flat_store_short v[0:1], v3 offset:64
	;; [unrolled: 5-line block ×3, first 2 shown]
.LBB60_7:
	s_endpgm
.LBB60_8:
	s_branch .LBB60_6
	.section	.rodata,"a",@progbits
	.p2align	6, 0x0
	.amdhsa_kernel _ZN12_GLOBAL__N_127rocblas_gemm_batched_kernelIDF16_Li16ELi16ELi64ELi64ELi4ELi64ELi4ELi4ELi64ELc84ELc84EKPKDF16_S3_KPDF16_EEvlllT_PT11_llS8_llS6_PT12_llPT13_lli
		.amdhsa_group_segment_fixed_size 1024
		.amdhsa_private_segment_fixed_size 0
		.amdhsa_kernarg_size 140
		.amdhsa_user_sgpr_count 6
		.amdhsa_user_sgpr_private_segment_buffer 1
		.amdhsa_user_sgpr_dispatch_ptr 0
		.amdhsa_user_sgpr_queue_ptr 0
		.amdhsa_user_sgpr_kernarg_segment_ptr 1
		.amdhsa_user_sgpr_dispatch_id 0
		.amdhsa_user_sgpr_flat_scratch_init 0
		.amdhsa_user_sgpr_private_segment_size 0
		.amdhsa_wavefront_size32 1
		.amdhsa_uses_dynamic_stack 0
		.amdhsa_system_sgpr_private_segment_wavefront_offset 0
		.amdhsa_system_sgpr_workgroup_id_x 1
		.amdhsa_system_sgpr_workgroup_id_y 1
		.amdhsa_system_sgpr_workgroup_id_z 1
		.amdhsa_system_sgpr_workgroup_info 0
		.amdhsa_system_vgpr_workitem_id 1
		.amdhsa_next_free_vgpr 36
		.amdhsa_next_free_sgpr 36
		.amdhsa_reserve_vcc 1
		.amdhsa_reserve_flat_scratch 0
		.amdhsa_float_round_mode_32 0
		.amdhsa_float_round_mode_16_64 0
		.amdhsa_float_denorm_mode_32 3
		.amdhsa_float_denorm_mode_16_64 3
		.amdhsa_dx10_clamp 1
		.amdhsa_ieee_mode 1
		.amdhsa_fp16_overflow 0
		.amdhsa_workgroup_processor_mode 1
		.amdhsa_memory_ordered 1
		.amdhsa_forward_progress 1
		.amdhsa_shared_vgpr_count 0
		.amdhsa_exception_fp_ieee_invalid_op 0
		.amdhsa_exception_fp_denorm_src 0
		.amdhsa_exception_fp_ieee_div_zero 0
		.amdhsa_exception_fp_ieee_overflow 0
		.amdhsa_exception_fp_ieee_underflow 0
		.amdhsa_exception_fp_ieee_inexact 0
		.amdhsa_exception_int_div_zero 0
	.end_amdhsa_kernel
	.section	.text._ZN12_GLOBAL__N_127rocblas_gemm_batched_kernelIDF16_Li16ELi16ELi64ELi64ELi4ELi64ELi4ELi4ELi64ELc84ELc84EKPKDF16_S3_KPDF16_EEvlllT_PT11_llS8_llS6_PT12_llPT13_lli,"axG",@progbits,_ZN12_GLOBAL__N_127rocblas_gemm_batched_kernelIDF16_Li16ELi16ELi64ELi64ELi4ELi64ELi4ELi4ELi64ELc84ELc84EKPKDF16_S3_KPDF16_EEvlllT_PT11_llS8_llS6_PT12_llPT13_lli,comdat
.Lfunc_end60:
	.size	_ZN12_GLOBAL__N_127rocblas_gemm_batched_kernelIDF16_Li16ELi16ELi64ELi64ELi4ELi64ELi4ELi4ELi64ELc84ELc84EKPKDF16_S3_KPDF16_EEvlllT_PT11_llS8_llS6_PT12_llPT13_lli, .Lfunc_end60-_ZN12_GLOBAL__N_127rocblas_gemm_batched_kernelIDF16_Li16ELi16ELi64ELi64ELi4ELi64ELi4ELi4ELi64ELc84ELc84EKPKDF16_S3_KPDF16_EEvlllT_PT11_llS8_llS6_PT12_llPT13_lli
                                        ; -- End function
	.set _ZN12_GLOBAL__N_127rocblas_gemm_batched_kernelIDF16_Li16ELi16ELi64ELi64ELi4ELi64ELi4ELi4ELi64ELc84ELc84EKPKDF16_S3_KPDF16_EEvlllT_PT11_llS8_llS6_PT12_llPT13_lli.num_vgpr, 36
	.set _ZN12_GLOBAL__N_127rocblas_gemm_batched_kernelIDF16_Li16ELi16ELi64ELi64ELi4ELi64ELi4ELi4ELi64ELc84ELc84EKPKDF16_S3_KPDF16_EEvlllT_PT11_llS8_llS6_PT12_llPT13_lli.num_agpr, 0
	.set _ZN12_GLOBAL__N_127rocblas_gemm_batched_kernelIDF16_Li16ELi16ELi64ELi64ELi4ELi64ELi4ELi4ELi64ELc84ELc84EKPKDF16_S3_KPDF16_EEvlllT_PT11_llS8_llS6_PT12_llPT13_lli.numbered_sgpr, 36
	.set _ZN12_GLOBAL__N_127rocblas_gemm_batched_kernelIDF16_Li16ELi16ELi64ELi64ELi4ELi64ELi4ELi4ELi64ELc84ELc84EKPKDF16_S3_KPDF16_EEvlllT_PT11_llS8_llS6_PT12_llPT13_lli.num_named_barrier, 0
	.set _ZN12_GLOBAL__N_127rocblas_gemm_batched_kernelIDF16_Li16ELi16ELi64ELi64ELi4ELi64ELi4ELi4ELi64ELc84ELc84EKPKDF16_S3_KPDF16_EEvlllT_PT11_llS8_llS6_PT12_llPT13_lli.private_seg_size, 0
	.set _ZN12_GLOBAL__N_127rocblas_gemm_batched_kernelIDF16_Li16ELi16ELi64ELi64ELi4ELi64ELi4ELi4ELi64ELc84ELc84EKPKDF16_S3_KPDF16_EEvlllT_PT11_llS8_llS6_PT12_llPT13_lli.uses_vcc, 1
	.set _ZN12_GLOBAL__N_127rocblas_gemm_batched_kernelIDF16_Li16ELi16ELi64ELi64ELi4ELi64ELi4ELi4ELi64ELc84ELc84EKPKDF16_S3_KPDF16_EEvlllT_PT11_llS8_llS6_PT12_llPT13_lli.uses_flat_scratch, 0
	.set _ZN12_GLOBAL__N_127rocblas_gemm_batched_kernelIDF16_Li16ELi16ELi64ELi64ELi4ELi64ELi4ELi4ELi64ELc84ELc84EKPKDF16_S3_KPDF16_EEvlllT_PT11_llS8_llS6_PT12_llPT13_lli.has_dyn_sized_stack, 0
	.set _ZN12_GLOBAL__N_127rocblas_gemm_batched_kernelIDF16_Li16ELi16ELi64ELi64ELi4ELi64ELi4ELi4ELi64ELc84ELc84EKPKDF16_S3_KPDF16_EEvlllT_PT11_llS8_llS6_PT12_llPT13_lli.has_recursion, 0
	.set _ZN12_GLOBAL__N_127rocblas_gemm_batched_kernelIDF16_Li16ELi16ELi64ELi64ELi4ELi64ELi4ELi4ELi64ELc84ELc84EKPKDF16_S3_KPDF16_EEvlllT_PT11_llS8_llS6_PT12_llPT13_lli.has_indirect_call, 0
	.section	.AMDGPU.csdata,"",@progbits
; Kernel info:
; codeLenInByte = 2384
; TotalNumSgprs: 38
; NumVgprs: 36
; ScratchSize: 0
; MemoryBound: 0
; FloatMode: 240
; IeeeMode: 1
; LDSByteSize: 1024 bytes/workgroup (compile time only)
; SGPRBlocks: 0
; VGPRBlocks: 4
; NumSGPRsForWavesPerEU: 38
; NumVGPRsForWavesPerEU: 36
; Occupancy: 16
; WaveLimiterHint : 1
; COMPUTE_PGM_RSRC2:SCRATCH_EN: 0
; COMPUTE_PGM_RSRC2:USER_SGPR: 6
; COMPUTE_PGM_RSRC2:TRAP_HANDLER: 0
; COMPUTE_PGM_RSRC2:TGID_X_EN: 1
; COMPUTE_PGM_RSRC2:TGID_Y_EN: 1
; COMPUTE_PGM_RSRC2:TGID_Z_EN: 1
; COMPUTE_PGM_RSRC2:TIDIG_COMP_CNT: 1
	.section	.text._ZN12_GLOBAL__N_127rocblas_gemm_batched_kernelIDF16_Li16ELi16ELi64ELi64ELi4ELi64ELi4ELi4ELi64ELc67ELc67EKPKDF16_S3_KPDF16_EEvlllT_PT11_llS8_llS6_PT12_llPT13_lli,"axG",@progbits,_ZN12_GLOBAL__N_127rocblas_gemm_batched_kernelIDF16_Li16ELi16ELi64ELi64ELi4ELi64ELi4ELi4ELi64ELc67ELc67EKPKDF16_S3_KPDF16_EEvlllT_PT11_llS8_llS6_PT12_llPT13_lli,comdat
	.globl	_ZN12_GLOBAL__N_127rocblas_gemm_batched_kernelIDF16_Li16ELi16ELi64ELi64ELi4ELi64ELi4ELi4ELi64ELc67ELc67EKPKDF16_S3_KPDF16_EEvlllT_PT11_llS8_llS6_PT12_llPT13_lli ; -- Begin function _ZN12_GLOBAL__N_127rocblas_gemm_batched_kernelIDF16_Li16ELi16ELi64ELi64ELi4ELi64ELi4ELi4ELi64ELc67ELc67EKPKDF16_S3_KPDF16_EEvlllT_PT11_llS8_llS6_PT12_llPT13_lli
	.p2align	8
	.type	_ZN12_GLOBAL__N_127rocblas_gemm_batched_kernelIDF16_Li16ELi16ELi64ELi64ELi4ELi64ELi4ELi4ELi64ELc67ELc67EKPKDF16_S3_KPDF16_EEvlllT_PT11_llS8_llS6_PT12_llPT13_lli,@function
_ZN12_GLOBAL__N_127rocblas_gemm_batched_kernelIDF16_Li16ELi16ELi64ELi64ELi4ELi64ELi4ELi4ELi64ELc67ELc67EKPKDF16_S3_KPDF16_EEvlllT_PT11_llS8_llS6_PT12_llPT13_lli: ; @_ZN12_GLOBAL__N_127rocblas_gemm_batched_kernelIDF16_Li16ELi16ELi64ELi64ELi4ELi64ELi4ELi4ELi64ELc67ELc67EKPKDF16_S3_KPDF16_EEvlllT_PT11_llS8_llS6_PT12_llPT13_lli
; %bb.0:
	s_clause 0x1
	s_load_dwordx8 s[12:19], s[4:5], 0x58
	s_load_dwordx2 s[30:31], s[4:5], 0x10
	s_mov_b32 s9, 0
	s_mov_b32 s0, s7
	s_lshl_b64 s[34:35], s[8:9], 3
	s_load_dwordx4 s[8:11], s[4:5], 0x78
	v_mov_b32_e32 v3, 0
	s_waitcnt lgkmcnt(0)
	s_add_u32 s2, s12, s34
	s_addc_u32 s3, s13, s35
	s_add_u32 s18, s18, s34
	s_addc_u32 s19, s19, s35
	s_load_dwordx2 s[12:13], s[2:3], 0x0
	s_load_dwordx2 s[18:19], s[18:19], 0x0
	v_cmp_lt_i64_e64 s2, s[30:31], 1
	s_ashr_i32 s7, s6, 31
	s_ashr_i32 s1, s0, 31
	s_lshl_b64 s[6:7], s[6:7], 6
	s_lshl_b64 s[28:29], s[0:1], 6
	s_and_b32 vcc_lo, exec_lo, s2
	s_cbranch_vccnz .LBB61_3
; %bb.1:
	s_clause 0x1
	s_load_dwordx8 s[20:27], s[4:5], 0x20
	s_load_dwordx4 s[0:3], s[4:5], 0x40
	v_lshl_add_u32 v8, v1, 4, v0
	v_and_b32_e32 v9, 3, v0
	v_lshlrev_b32_e32 v14, 1, v0
	v_lshl_add_u32 v15, v1, 3, 0x200
	v_and_b32_e32 v10, 63, v8
	v_lshrrev_b32_e32 v2, 2, v8
	v_lshlrev_b32_e32 v11, 1, v9
	v_lshrrev_b32_e32 v8, 6, v8
	v_add_co_u32 v6, s33, s6, v10
	v_add_co_ci_u32_e64 v7, null, s7, 0, s33
	v_lshlrev_b32_e32 v10, 1, v10
	v_lshl_or_b32 v11, v2, 3, v11
	v_lshlrev_b32_e32 v18, 1, v8
	s_waitcnt lgkmcnt(0)
	s_add_u32 s20, s20, s34
	s_addc_u32 s21, s21, s35
	s_add_u32 s26, s26, s34
	s_addc_u32 s27, s27, s35
	v_mad_u64_u32 v[4:5], null, s0, v9, v[2:3]
	s_load_dwordx2 s[26:27], s[26:27], 0x0
	v_mul_lo_u32 v12, s23, v6
	v_mul_lo_u32 v13, s22, v7
	v_mad_u64_u32 v[6:7], null, s22, v6, 0
	v_lshl_or_b32 v16, v8, 7, v10
	v_mov_b32_e32 v2, v5
	s_load_dwordx2 s[20:21], s[20:21], 0x0
	s_lshl_b64 s[2:3], s[2:3], 1
	v_add_nc_u32_e32 v17, 0x200, v11
	v_mov_b32_e32 v10, 0
	v_add3_u32 v7, v7, v13, v12
	v_mad_u64_u32 v[8:9], null, s1, v9, v[2:3]
	v_mov_b32_e32 v9, 0
	v_mov_b32_e32 v11, 0
	v_lshlrev_b64 v[5:6], 1, v[6:7]
	v_add_co_u32 v7, vcc_lo, v4, s28
	v_mov_b32_e32 v12, 0
	v_add_co_ci_u32_e64 v8, null, s29, v8, vcc_lo
	s_waitcnt lgkmcnt(0)
	s_add_u32 s22, s26, s2
	s_addc_u32 s23, s27, s3
	s_lshl_b64 s[2:3], s[24:25], 1
	v_mov_b32_e32 v13, 0
	v_add_co_u32 v2, vcc_lo, v5, s2
	v_add_co_ci_u32_e64 v6, null, s3, v6, vcc_lo
	v_lshlrev_b64 v[4:5], 1, v[7:8]
	v_add_co_u32 v2, vcc_lo, v2, v18
	v_add_co_ci_u32_e64 v7, null, 0, v6, vcc_lo
	v_mov_b32_e32 v8, 0
	v_add_co_u32 v4, vcc_lo, s22, v4
	v_add_co_ci_u32_e64 v5, null, s23, v5, vcc_lo
	v_add_co_u32 v6, vcc_lo, s20, v2
	v_add_co_ci_u32_e64 v7, null, s21, v7, vcc_lo
	v_mov_b32_e32 v2, 0
	s_lshl_b64 s[2:3], s[0:1], 3
	s_mov_b64 s[20:21], 0
.LBB61_2:                               ; =>This Inner Loop Header: Depth=1
	flat_load_ushort v18, v[6:7]
	s_add_u32 s20, s20, 4
	s_addc_u32 s21, s21, 0
	v_add_co_u32 v6, vcc_lo, v6, 8
	v_cmp_lt_i64_e64 s0, s[20:21], s[30:31]
	v_add_co_ci_u32_e64 v7, null, 0, v7, vcc_lo
	s_and_b32 vcc_lo, exec_lo, s0
	s_waitcnt vmcnt(0) lgkmcnt(0)
	ds_write_b16 v16, v18
	flat_load_ushort v18, v[4:5]
	v_add_co_u32 v4, s0, v4, s2
	v_add_co_ci_u32_e64 v5, null, s3, v5, s0
	s_waitcnt vmcnt(0) lgkmcnt(0)
	ds_write_b16 v17, v18
	s_waitcnt lgkmcnt(0)
	s_barrier
	buffer_gl0_inv
	ds_read_u16 v26, v14 offset:32
	ds_read_u16 v27, v14 offset:96
	;; [unrolled: 1-line block ×8, first 2 shown]
	ds_read2_b64 v[18:21], v15 offset1:16
	ds_read2_b64 v[22:25], v15 offset0:32 offset1:48
	s_waitcnt lgkmcnt(9)
	ds_read_u16_d16_hi v26, v14
	s_waitcnt lgkmcnt(9)
	ds_read_u16_d16_hi v27, v14 offset:64
	s_waitcnt lgkmcnt(9)
	ds_read_u16_d16_hi v28, v14 offset:128
	;; [unrolled: 2-line block ×7, first 2 shown]
	s_waitcnt lgkmcnt(0)
	s_barrier
	buffer_gl0_inv
	v_pk_fma_f16 v3, v26, v18, v3 op_sel_hi:[1,0,1]
	v_pk_fma_f16 v13, v27, v18, v13 op_sel_hi:[1,0,1]
	;; [unrolled: 1-line block ×8, first 2 shown]
	v_pk_fma_f16 v3, v28, v18, v3 op_sel:[0,1,0]
	v_pk_fma_f16 v13, v29, v18, v13 op_sel:[0,1,0]
	v_pk_fma_f16 v12, v28, v20, v12 op_sel:[0,1,0]
	v_pk_fma_f16 v11, v29, v20, v11 op_sel:[0,1,0]
	v_pk_fma_f16 v10, v28, v22, v10 op_sel:[0,1,0]
	v_pk_fma_f16 v9, v29, v22, v9 op_sel:[0,1,0]
	v_pk_fma_f16 v8, v28, v24, v8 op_sel:[0,1,0]
	v_pk_fma_f16 v2, v29, v24, v2 op_sel:[0,1,0]
	v_pk_fma_f16 v3, v30, v19, v3 op_sel_hi:[1,0,1]
	v_pk_fma_f16 v13, v31, v19, v13 op_sel_hi:[1,0,1]
	;; [unrolled: 1-line block ×8, first 2 shown]
	v_pk_fma_f16 v3, v32, v19, v3 op_sel:[0,1,0]
	v_pk_fma_f16 v13, v33, v19, v13 op_sel:[0,1,0]
	;; [unrolled: 1-line block ×8, first 2 shown]
	s_cbranch_vccnz .LBB61_2
	s_branch .LBB61_4
.LBB61_3:
	v_mov_b32_e32 v13, 0
	v_mov_b32_e32 v12, 0
	;; [unrolled: 1-line block ×7, first 2 shown]
.LBB61_4:
	s_clause 0x1
	s_load_dword s1, s[4:5], 0x50
	s_load_dword s0, s[4:5], 0x18
	v_add_co_u32 v17, s4, s28, v1
	v_add_co_ci_u32_e64 v21, null, s29, 0, s4
	v_add_co_u32 v0, s4, s6, v0
	v_add_co_ci_u32_e64 v1, null, s7, 0, s4
	v_mul_lo_u32 v19, v21, s8
	v_mul_lo_u32 v20, v17, s9
	s_lshl_b64 s[2:3], s[10:11], 1
	v_lshlrev_b64 v[0:1], 1, v[0:1]
	v_lshrrev_b32_e32 v18, 16, v3
	v_lshrrev_b32_e32 v16, 16, v13
	;; [unrolled: 1-line block ×6, first 2 shown]
	s_waitcnt lgkmcnt(0)
	v_cmp_neq_f16_e64 s4, s1, 0
	v_lshrrev_b32_e32 v5, 16, v8
	v_lshrrev_b32_e32 v4, 16, v2
	s_add_u32 s2, s18, s2
	s_addc_u32 s3, s19, s3
	s_and_b32 vcc_lo, exec_lo, s4
	s_mov_b32 s4, 0
	s_cbranch_vccnz .LBB61_8
; %bb.5:
	v_mad_u64_u32 v[22:23], null, v17, s8, 0
	s_lshl_b64 s[6:7], s[8:9], 5
	v_mul_f16_sdwa v26, s0, v3 dst_sel:DWORD dst_unused:UNUSED_PAD src0_sel:DWORD src1_sel:WORD_1
	v_mul_f16_e32 v27, s0, v3
	v_mul_f16_sdwa v28, s0, v13 dst_sel:DWORD dst_unused:UNUSED_PAD src0_sel:DWORD src1_sel:WORD_1
	v_mul_f16_e32 v29, s0, v13
	v_mul_f16_sdwa v30, s0, v12 dst_sel:DWORD dst_unused:UNUSED_PAD src0_sel:DWORD src1_sel:WORD_1
	v_add3_u32 v23, v23, v20, v19
	v_mul_f16_e32 v31, s0, v12
	v_mul_f16_sdwa v32, s0, v11 dst_sel:DWORD dst_unused:UNUSED_PAD src0_sel:DWORD src1_sel:WORD_1
	v_mul_f16_e32 v33, s0, v11
	v_lshlrev_b64 v[22:23], 1, v[22:23]
	v_add_co_u32 v22, vcc_lo, s2, v22
	v_add_co_ci_u32_e64 v23, null, s3, v23, vcc_lo
	v_add_co_u32 v34, vcc_lo, v22, s6
	v_add_co_ci_u32_e64 v35, null, s7, v23, vcc_lo
	;; [unrolled: 2-line block ×4, first 2 shown]
	flat_store_short v[22:23], v26
	flat_store_short v[22:23], v27 offset:32
	flat_store_short v[22:23], v28 offset:64
	;; [unrolled: 1-line block ×3, first 2 shown]
	flat_store_short v[24:25], v30
	flat_store_short v[24:25], v31 offset:32
	v_add_co_u32 v26, vcc_lo, v34, s6
	v_add_co_ci_u32_e64 v27, null, s7, v35, vcc_lo
	v_mul_f16_sdwa v28, s0, v10 dst_sel:DWORD dst_unused:UNUSED_PAD src0_sel:DWORD src1_sel:WORD_1
	v_add_co_u32 v22, vcc_lo, v26, v0
	v_add_co_ci_u32_e64 v23, null, v27, v1, vcc_lo
	v_mul_f16_e32 v29, s0, v10
	v_mul_f16_sdwa v30, s0, v9 dst_sel:DWORD dst_unused:UNUSED_PAD src0_sel:DWORD src1_sel:WORD_1
	flat_store_short v[24:25], v32 offset:64
	flat_store_short v[24:25], v33 offset:96
	flat_store_short v[22:23], v28
	flat_store_short v[22:23], v29 offset:32
	flat_store_short v[22:23], v30 offset:64
	v_add_co_u32 v24, vcc_lo, v26, s6
	v_add_co_ci_u32_e64 v25, null, s7, v27, vcc_lo
	v_mul_f16_e32 v28, s0, v9
	v_add_co_u32 v24, vcc_lo, v24, v0
	v_mul_f16_sdwa v26, s0, v8 dst_sel:DWORD dst_unused:UNUSED_PAD src0_sel:DWORD src1_sel:WORD_1
	v_add_co_ci_u32_e64 v25, null, v25, v1, vcc_lo
	v_mul_f16_e32 v27, s0, v8
	v_mul_f16_sdwa v29, s0, v2 dst_sel:DWORD dst_unused:UNUSED_PAD src0_sel:DWORD src1_sel:WORD_1
	v_mul_f16_e32 v30, s0, v2
	flat_store_short v[22:23], v28 offset:96
	flat_store_short v[24:25], v26
	flat_store_short v[24:25], v27 offset:32
	flat_store_short v[24:25], v29 offset:64
	flat_store_short v[24:25], v30 offset:96
	s_andn2_b32 vcc_lo, exec_lo, s4
	s_cbranch_vccnz .LBB61_7
.LBB61_6:
	v_mul_lo_u32 v23, v21, s14
	v_mul_lo_u32 v24, v17, s15
	v_mad_u64_u32 v[21:22], null, v17, s14, 0
	s_lshl_b64 s[4:5], s[16:17], 1
	s_add_u32 s4, s12, s4
	s_addc_u32 s5, s13, s5
	v_add3_u32 v22, v22, v24, v23
	v_mad_u64_u32 v[23:24], null, v17, s8, 0
	v_lshlrev_b64 v[21:22], 1, v[21:22]
	v_add3_u32 v24, v24, v20, v19
	v_add_co_u32 v25, vcc_lo, s4, v21
	v_add_co_ci_u32_e64 v26, null, s5, v22, vcc_lo
	v_lshlrev_b64 v[19:20], 1, v[23:24]
	v_add_co_u32 v21, vcc_lo, v25, v0
	v_add_co_ci_u32_e64 v22, null, v26, v1, vcc_lo
	s_lshl_b64 s[4:5], s[8:9], 5
	v_add_co_u32 v23, vcc_lo, s2, v19
	flat_load_ushort v27, v[21:22]
	v_add_co_ci_u32_e64 v24, null, s3, v20, vcc_lo
	v_add_co_u32 v19, vcc_lo, v23, v0
	s_lshl_b64 s[2:3], s[14:15], 5
	v_add_co_ci_u32_e64 v20, null, v24, v1, vcc_lo
	s_waitcnt vmcnt(0) lgkmcnt(0)
	v_mul_f16_e32 v17, s1, v27
	v_fmac_f16_e32 v17, s0, v18
	flat_store_short v[19:20], v17
	flat_load_ushort v17, v[21:22] offset:32
	s_waitcnt vmcnt(0) lgkmcnt(0)
	v_mul_f16_e32 v17, s1, v17
	v_fmac_f16_e32 v17, s0, v3
	flat_store_short v[19:20], v17 offset:32
	flat_load_ushort v3, v[21:22] offset:64
	s_waitcnt vmcnt(0) lgkmcnt(0)
	v_mul_f16_e32 v3, s1, v3
	v_fmac_f16_e32 v3, s0, v16
	flat_store_short v[19:20], v3 offset:64
	flat_load_ushort v3, v[21:22] offset:96
	v_add_co_u32 v21, vcc_lo, v25, s2
	v_add_co_ci_u32_e64 v22, null, s3, v26, vcc_lo
	v_add_co_u32 v16, vcc_lo, v21, v0
	v_add_co_ci_u32_e64 v17, null, v22, v1, vcc_lo
	s_waitcnt vmcnt(0) lgkmcnt(0)
	v_mul_f16_e32 v3, s1, v3
	v_fmac_f16_e32 v3, s0, v13
	v_add_co_u32 v13, vcc_lo, v23, s4
	flat_store_short v[19:20], v3 offset:96
	flat_load_ushort v3, v[16:17]
	v_add_co_ci_u32_e64 v20, null, s5, v24, vcc_lo
	v_add_co_u32 v18, vcc_lo, v13, v0
	v_add_co_ci_u32_e64 v19, null, v20, v1, vcc_lo
	s_waitcnt vmcnt(0) lgkmcnt(0)
	v_mul_f16_e32 v3, s1, v3
	v_fmac_f16_e32 v3, s0, v15
	v_add_co_u32 v15, vcc_lo, v21, s2
	flat_store_short v[18:19], v3
	flat_load_ushort v3, v[16:17] offset:32
	s_waitcnt vmcnt(0) lgkmcnt(0)
	v_mul_f16_e32 v3, s1, v3
	v_fmac_f16_e32 v3, s0, v12
	flat_store_short v[18:19], v3 offset:32
	flat_load_ushort v3, v[16:17] offset:64
	s_waitcnt vmcnt(0) lgkmcnt(0)
	v_mul_f16_e32 v3, s1, v3
	v_fmac_f16_e32 v3, s0, v14
	flat_store_short v[18:19], v3 offset:64
	flat_load_ushort v3, v[16:17] offset:96
	v_add_co_ci_u32_e64 v16, null, s3, v22, vcc_lo
	s_waitcnt vmcnt(0) lgkmcnt(0)
	v_mul_f16_e32 v3, s1, v3
	v_fmac_f16_e32 v3, s0, v11
	v_add_co_u32 v11, vcc_lo, v15, v0
	v_add_co_ci_u32_e64 v12, null, v16, v1, vcc_lo
	flat_store_short v[18:19], v3 offset:96
	v_add_co_u32 v17, vcc_lo, v13, s4
	flat_load_ushort v3, v[11:12]
	v_add_co_ci_u32_e64 v18, null, s5, v20, vcc_lo
	v_add_co_u32 v13, vcc_lo, v17, v0
	v_add_co_ci_u32_e64 v14, null, v18, v1, vcc_lo
	s_waitcnt vmcnt(0) lgkmcnt(0)
	v_mul_f16_e32 v3, s1, v3
	v_fmac_f16_e32 v3, s0, v7
	flat_store_short v[13:14], v3
	flat_load_ushort v3, v[11:12] offset:32
	s_waitcnt vmcnt(0) lgkmcnt(0)
	v_mul_f16_e32 v3, s1, v3
	v_fmac_f16_e32 v3, s0, v10
	flat_store_short v[13:14], v3 offset:32
	flat_load_ushort v3, v[11:12] offset:64
	s_waitcnt vmcnt(0) lgkmcnt(0)
	v_mul_f16_e32 v3, s1, v3
	v_fmac_f16_e32 v3, s0, v6
	v_add_co_u32 v6, vcc_lo, v15, s2
	v_add_co_ci_u32_e64 v7, null, s3, v16, vcc_lo
	flat_store_short v[13:14], v3 offset:64
	flat_load_ushort v3, v[11:12] offset:96
	v_add_co_u32 v6, vcc_lo, v6, v0
	v_add_co_ci_u32_e64 v7, null, v7, v1, vcc_lo
	s_waitcnt vmcnt(0) lgkmcnt(0)
	v_mul_f16_e32 v3, s1, v3
	v_fmac_f16_e32 v3, s0, v9
	v_add_co_u32 v9, vcc_lo, v17, s4
	v_add_co_ci_u32_e64 v10, null, s5, v18, vcc_lo
	flat_store_short v[13:14], v3 offset:96
	flat_load_ushort v3, v[6:7]
	v_add_co_u32 v0, vcc_lo, v9, v0
	v_add_co_ci_u32_e64 v1, null, v10, v1, vcc_lo
	s_waitcnt vmcnt(0) lgkmcnt(0)
	v_mul_f16_e32 v3, s1, v3
	v_fmac_f16_e32 v3, s0, v5
	flat_store_short v[0:1], v3
	flat_load_ushort v3, v[6:7] offset:32
	s_waitcnt vmcnt(0) lgkmcnt(0)
	v_mul_f16_e32 v3, s1, v3
	v_fmac_f16_e32 v3, s0, v8
	flat_store_short v[0:1], v3 offset:32
	flat_load_ushort v3, v[6:7] offset:64
	s_waitcnt vmcnt(0) lgkmcnt(0)
	v_mul_f16_e32 v3, s1, v3
	v_fmac_f16_e32 v3, s0, v4
	flat_store_short v[0:1], v3 offset:64
	;; [unrolled: 5-line block ×3, first 2 shown]
.LBB61_7:
	s_endpgm
.LBB61_8:
	s_branch .LBB61_6
	.section	.rodata,"a",@progbits
	.p2align	6, 0x0
	.amdhsa_kernel _ZN12_GLOBAL__N_127rocblas_gemm_batched_kernelIDF16_Li16ELi16ELi64ELi64ELi4ELi64ELi4ELi4ELi64ELc67ELc67EKPKDF16_S3_KPDF16_EEvlllT_PT11_llS8_llS6_PT12_llPT13_lli
		.amdhsa_group_segment_fixed_size 1024
		.amdhsa_private_segment_fixed_size 0
		.amdhsa_kernarg_size 140
		.amdhsa_user_sgpr_count 6
		.amdhsa_user_sgpr_private_segment_buffer 1
		.amdhsa_user_sgpr_dispatch_ptr 0
		.amdhsa_user_sgpr_queue_ptr 0
		.amdhsa_user_sgpr_kernarg_segment_ptr 1
		.amdhsa_user_sgpr_dispatch_id 0
		.amdhsa_user_sgpr_flat_scratch_init 0
		.amdhsa_user_sgpr_private_segment_size 0
		.amdhsa_wavefront_size32 1
		.amdhsa_uses_dynamic_stack 0
		.amdhsa_system_sgpr_private_segment_wavefront_offset 0
		.amdhsa_system_sgpr_workgroup_id_x 1
		.amdhsa_system_sgpr_workgroup_id_y 1
		.amdhsa_system_sgpr_workgroup_id_z 1
		.amdhsa_system_sgpr_workgroup_info 0
		.amdhsa_system_vgpr_workitem_id 1
		.amdhsa_next_free_vgpr 36
		.amdhsa_next_free_sgpr 36
		.amdhsa_reserve_vcc 1
		.amdhsa_reserve_flat_scratch 0
		.amdhsa_float_round_mode_32 0
		.amdhsa_float_round_mode_16_64 0
		.amdhsa_float_denorm_mode_32 3
		.amdhsa_float_denorm_mode_16_64 3
		.amdhsa_dx10_clamp 1
		.amdhsa_ieee_mode 1
		.amdhsa_fp16_overflow 0
		.amdhsa_workgroup_processor_mode 1
		.amdhsa_memory_ordered 1
		.amdhsa_forward_progress 1
		.amdhsa_shared_vgpr_count 0
		.amdhsa_exception_fp_ieee_invalid_op 0
		.amdhsa_exception_fp_denorm_src 0
		.amdhsa_exception_fp_ieee_div_zero 0
		.amdhsa_exception_fp_ieee_overflow 0
		.amdhsa_exception_fp_ieee_underflow 0
		.amdhsa_exception_fp_ieee_inexact 0
		.amdhsa_exception_int_div_zero 0
	.end_amdhsa_kernel
	.section	.text._ZN12_GLOBAL__N_127rocblas_gemm_batched_kernelIDF16_Li16ELi16ELi64ELi64ELi4ELi64ELi4ELi4ELi64ELc67ELc67EKPKDF16_S3_KPDF16_EEvlllT_PT11_llS8_llS6_PT12_llPT13_lli,"axG",@progbits,_ZN12_GLOBAL__N_127rocblas_gemm_batched_kernelIDF16_Li16ELi16ELi64ELi64ELi4ELi64ELi4ELi4ELi64ELc67ELc67EKPKDF16_S3_KPDF16_EEvlllT_PT11_llS8_llS6_PT12_llPT13_lli,comdat
.Lfunc_end61:
	.size	_ZN12_GLOBAL__N_127rocblas_gemm_batched_kernelIDF16_Li16ELi16ELi64ELi64ELi4ELi64ELi4ELi4ELi64ELc67ELc67EKPKDF16_S3_KPDF16_EEvlllT_PT11_llS8_llS6_PT12_llPT13_lli, .Lfunc_end61-_ZN12_GLOBAL__N_127rocblas_gemm_batched_kernelIDF16_Li16ELi16ELi64ELi64ELi4ELi64ELi4ELi4ELi64ELc67ELc67EKPKDF16_S3_KPDF16_EEvlllT_PT11_llS8_llS6_PT12_llPT13_lli
                                        ; -- End function
	.set _ZN12_GLOBAL__N_127rocblas_gemm_batched_kernelIDF16_Li16ELi16ELi64ELi64ELi4ELi64ELi4ELi4ELi64ELc67ELc67EKPKDF16_S3_KPDF16_EEvlllT_PT11_llS8_llS6_PT12_llPT13_lli.num_vgpr, 36
	.set _ZN12_GLOBAL__N_127rocblas_gemm_batched_kernelIDF16_Li16ELi16ELi64ELi64ELi4ELi64ELi4ELi4ELi64ELc67ELc67EKPKDF16_S3_KPDF16_EEvlllT_PT11_llS8_llS6_PT12_llPT13_lli.num_agpr, 0
	.set _ZN12_GLOBAL__N_127rocblas_gemm_batched_kernelIDF16_Li16ELi16ELi64ELi64ELi4ELi64ELi4ELi4ELi64ELc67ELc67EKPKDF16_S3_KPDF16_EEvlllT_PT11_llS8_llS6_PT12_llPT13_lli.numbered_sgpr, 36
	.set _ZN12_GLOBAL__N_127rocblas_gemm_batched_kernelIDF16_Li16ELi16ELi64ELi64ELi4ELi64ELi4ELi4ELi64ELc67ELc67EKPKDF16_S3_KPDF16_EEvlllT_PT11_llS8_llS6_PT12_llPT13_lli.num_named_barrier, 0
	.set _ZN12_GLOBAL__N_127rocblas_gemm_batched_kernelIDF16_Li16ELi16ELi64ELi64ELi4ELi64ELi4ELi4ELi64ELc67ELc67EKPKDF16_S3_KPDF16_EEvlllT_PT11_llS8_llS6_PT12_llPT13_lli.private_seg_size, 0
	.set _ZN12_GLOBAL__N_127rocblas_gemm_batched_kernelIDF16_Li16ELi16ELi64ELi64ELi4ELi64ELi4ELi4ELi64ELc67ELc67EKPKDF16_S3_KPDF16_EEvlllT_PT11_llS8_llS6_PT12_llPT13_lli.uses_vcc, 1
	.set _ZN12_GLOBAL__N_127rocblas_gemm_batched_kernelIDF16_Li16ELi16ELi64ELi64ELi4ELi64ELi4ELi4ELi64ELc67ELc67EKPKDF16_S3_KPDF16_EEvlllT_PT11_llS8_llS6_PT12_llPT13_lli.uses_flat_scratch, 0
	.set _ZN12_GLOBAL__N_127rocblas_gemm_batched_kernelIDF16_Li16ELi16ELi64ELi64ELi4ELi64ELi4ELi4ELi64ELc67ELc67EKPKDF16_S3_KPDF16_EEvlllT_PT11_llS8_llS6_PT12_llPT13_lli.has_dyn_sized_stack, 0
	.set _ZN12_GLOBAL__N_127rocblas_gemm_batched_kernelIDF16_Li16ELi16ELi64ELi64ELi4ELi64ELi4ELi4ELi64ELc67ELc67EKPKDF16_S3_KPDF16_EEvlllT_PT11_llS8_llS6_PT12_llPT13_lli.has_recursion, 0
	.set _ZN12_GLOBAL__N_127rocblas_gemm_batched_kernelIDF16_Li16ELi16ELi64ELi64ELi4ELi64ELi4ELi4ELi64ELc67ELc67EKPKDF16_S3_KPDF16_EEvlllT_PT11_llS8_llS6_PT12_llPT13_lli.has_indirect_call, 0
	.section	.AMDGPU.csdata,"",@progbits
; Kernel info:
; codeLenInByte = 2384
; TotalNumSgprs: 38
; NumVgprs: 36
; ScratchSize: 0
; MemoryBound: 0
; FloatMode: 240
; IeeeMode: 1
; LDSByteSize: 1024 bytes/workgroup (compile time only)
; SGPRBlocks: 0
; VGPRBlocks: 4
; NumSGPRsForWavesPerEU: 38
; NumVGPRsForWavesPerEU: 36
; Occupancy: 16
; WaveLimiterHint : 1
; COMPUTE_PGM_RSRC2:SCRATCH_EN: 0
; COMPUTE_PGM_RSRC2:USER_SGPR: 6
; COMPUTE_PGM_RSRC2:TRAP_HANDLER: 0
; COMPUTE_PGM_RSRC2:TGID_X_EN: 1
; COMPUTE_PGM_RSRC2:TGID_Y_EN: 1
; COMPUTE_PGM_RSRC2:TGID_Z_EN: 1
; COMPUTE_PGM_RSRC2:TIDIG_COMP_CNT: 1
	.section	.text._ZN12_GLOBAL__N_127rocblas_gemm_batched_kernelIDF16_Li16ELi16ELi64ELi64ELi4ELi64ELi4ELi4ELi64ELc67ELc78EKPKDF16_S3_KPDF16_EEvlllT_PT11_llS8_llS6_PT12_llPT13_lli,"axG",@progbits,_ZN12_GLOBAL__N_127rocblas_gemm_batched_kernelIDF16_Li16ELi16ELi64ELi64ELi4ELi64ELi4ELi4ELi64ELc67ELc78EKPKDF16_S3_KPDF16_EEvlllT_PT11_llS8_llS6_PT12_llPT13_lli,comdat
	.globl	_ZN12_GLOBAL__N_127rocblas_gemm_batched_kernelIDF16_Li16ELi16ELi64ELi64ELi4ELi64ELi4ELi4ELi64ELc67ELc78EKPKDF16_S3_KPDF16_EEvlllT_PT11_llS8_llS6_PT12_llPT13_lli ; -- Begin function _ZN12_GLOBAL__N_127rocblas_gemm_batched_kernelIDF16_Li16ELi16ELi64ELi64ELi4ELi64ELi4ELi4ELi64ELc67ELc78EKPKDF16_S3_KPDF16_EEvlllT_PT11_llS8_llS6_PT12_llPT13_lli
	.p2align	8
	.type	_ZN12_GLOBAL__N_127rocblas_gemm_batched_kernelIDF16_Li16ELi16ELi64ELi64ELi4ELi64ELi4ELi4ELi64ELc67ELc78EKPKDF16_S3_KPDF16_EEvlllT_PT11_llS8_llS6_PT12_llPT13_lli,@function
_ZN12_GLOBAL__N_127rocblas_gemm_batched_kernelIDF16_Li16ELi16ELi64ELi64ELi4ELi64ELi4ELi4ELi64ELc67ELc78EKPKDF16_S3_KPDF16_EEvlllT_PT11_llS8_llS6_PT12_llPT13_lli: ; @_ZN12_GLOBAL__N_127rocblas_gemm_batched_kernelIDF16_Li16ELi16ELi64ELi64ELi4ELi64ELi4ELi4ELi64ELc67ELc78EKPKDF16_S3_KPDF16_EEvlllT_PT11_llS8_llS6_PT12_llPT13_lli
; %bb.0:
	s_clause 0x1
	s_load_dwordx8 s[12:19], s[4:5], 0x58
	s_load_dwordx2 s[30:31], s[4:5], 0x10
	s_mov_b32 s9, 0
	s_mov_b32 s0, s7
	s_lshl_b64 s[34:35], s[8:9], 3
	s_load_dwordx4 s[8:11], s[4:5], 0x78
	s_waitcnt lgkmcnt(0)
	s_add_u32 s2, s12, s34
	s_addc_u32 s3, s13, s35
	s_add_u32 s18, s18, s34
	s_addc_u32 s19, s19, s35
	s_load_dwordx2 s[12:13], s[2:3], 0x0
	s_load_dwordx2 s[18:19], s[18:19], 0x0
	v_cmp_lt_i64_e64 s2, s[30:31], 1
	s_ashr_i32 s7, s6, 31
	s_ashr_i32 s1, s0, 31
	s_lshl_b64 s[6:7], s[6:7], 6
	s_lshl_b64 s[28:29], s[0:1], 6
	s_and_b32 vcc_lo, exec_lo, s2
	s_cbranch_vccnz .LBB62_3
; %bb.1:
	s_clause 0x1
	s_load_dwordx8 s[20:27], s[4:5], 0x20
	s_load_dwordx4 s[0:3], s[4:5], 0x40
	v_lshl_add_u32 v2, v1, 4, v0
	v_and_b32_e32 v3, 3, v0
	v_lshlrev_b32_e32 v16, 1, v0
	v_lshl_add_u32 v17, v1, 3, 0x200
	v_lshrrev_b32_e32 v6, 2, v2
	v_and_b32_e32 v7, 63, v2
	v_lshrrev_b32_e32 v8, 6, v2
	v_lshlrev_b32_e32 v9, 1, v3
	v_add_co_u32 v2, s33, v6, s28
	v_add_co_ci_u32_e64 v3, null, 0, s29, s33
	v_add_co_u32 v4, s33, s6, v7
	v_add_co_ci_u32_e64 v5, null, s7, 0, s33
	s_waitcnt lgkmcnt(0)
	s_add_u32 s20, s20, s34
	v_mul_lo_u32 v10, s1, v2
	v_mul_lo_u32 v11, s0, v3
	v_mad_u64_u32 v[2:3], null, s0, v2, 0
	v_mul_lo_u32 v12, s23, v4
	v_mul_lo_u32 v13, s22, v5
	v_mad_u64_u32 v[4:5], null, s22, v4, 0
	s_addc_u32 s21, s21, s35
	s_add_u32 s0, s26, s34
	v_add3_u32 v3, v3, v11, v10
	s_addc_u32 s1, s27, s35
	s_load_dwordx2 s[20:21], s[20:21], 0x0
	s_load_dwordx2 s[0:1], s[0:1], 0x0
	v_add3_u32 v5, v5, v13, v12
	v_lshlrev_b64 v[2:3], 1, v[2:3]
	s_lshl_b64 s[2:3], s[2:3], 1
	v_lshl_or_b32 v6, v6, 3, v9
	v_lshlrev_b32_e32 v7, 1, v7
	v_lshlrev_b64 v[4:5], 1, v[4:5]
	v_mov_b32_e32 v10, 0
	v_add_co_u32 v2, vcc_lo, v2, s2
	v_add_co_ci_u32_e64 v3, null, s3, v3, vcc_lo
	s_lshl_b64 s[2:3], s[24:25], 1
	v_add_nc_u32_e32 v15, 0x200, v6
	v_add_co_u32 v4, vcc_lo, v4, s2
	v_lshlrev_b32_e32 v6, 1, v8
	v_add_co_ci_u32_e64 v5, null, s3, v5, vcc_lo
	v_add_co_u32 v2, vcc_lo, v2, v9
	v_add_co_ci_u32_e64 v3, null, 0, v3, vcc_lo
	v_add_co_u32 v4, vcc_lo, v4, v6
	v_add_co_ci_u32_e64 v5, null, 0, v5, vcc_lo
	s_waitcnt lgkmcnt(0)
	v_add_co_u32 v2, vcc_lo, s0, v2
	v_add_co_ci_u32_e64 v3, null, s1, v3, vcc_lo
	v_add_co_u32 v4, vcc_lo, s20, v4
	v_lshl_or_b32 v14, v8, 7, v7
	v_add_co_ci_u32_e64 v5, null, s21, v5, vcc_lo
	v_mov_b32_e32 v6, 0
	v_mov_b32_e32 v7, 0
	;; [unrolled: 1-line block ×7, first 2 shown]
	s_mov_b64 s[2:3], 0
.LBB62_2:                               ; =>This Inner Loop Header: Depth=1
	flat_load_ushort v18, v[4:5]
	s_add_u32 s2, s2, 4
	s_addc_u32 s3, s3, 0
	v_add_co_u32 v4, vcc_lo, v4, 8
	v_cmp_lt_i64_e64 s0, s[2:3], s[30:31]
	v_add_co_ci_u32_e64 v5, null, 0, v5, vcc_lo
	s_and_b32 vcc_lo, exec_lo, s0
	s_waitcnt vmcnt(0) lgkmcnt(0)
	ds_write_b16 v14, v18
	flat_load_ushort v18, v[2:3]
	v_add_co_u32 v2, s0, v2, 8
	v_add_co_ci_u32_e64 v3, null, 0, v3, s0
	s_waitcnt vmcnt(0) lgkmcnt(0)
	ds_write_b16 v15, v18
	s_waitcnt lgkmcnt(0)
	s_barrier
	buffer_gl0_inv
	ds_read_u16 v26, v16 offset:32
	ds_read_u16 v27, v16 offset:96
	;; [unrolled: 1-line block ×8, first 2 shown]
	ds_read2_b64 v[18:21], v17 offset1:16
	ds_read2_b64 v[22:25], v17 offset0:32 offset1:48
	s_waitcnt lgkmcnt(9)
	ds_read_u16_d16_hi v26, v16
	s_waitcnt lgkmcnt(9)
	ds_read_u16_d16_hi v27, v16 offset:64
	s_waitcnt lgkmcnt(9)
	ds_read_u16_d16_hi v28, v16 offset:128
	s_waitcnt lgkmcnt(9)
	ds_read_u16_d16_hi v29, v16 offset:192
	s_waitcnt lgkmcnt(9)
	ds_read_u16_d16_hi v30, v16 offset:256
	s_waitcnt lgkmcnt(9)
	ds_read_u16_d16_hi v31, v16 offset:320
	s_waitcnt lgkmcnt(9)
	ds_read_u16_d16_hi v32, v16 offset:384
	s_waitcnt lgkmcnt(9)
	ds_read_u16_d16_hi v33, v16 offset:448
	s_waitcnt lgkmcnt(0)
	s_barrier
	buffer_gl0_inv
	v_pk_fma_f16 v13, v26, v18, v13 op_sel_hi:[1,0,1]
	v_pk_fma_f16 v12, v27, v18, v12 op_sel_hi:[1,0,1]
	;; [unrolled: 1-line block ×8, first 2 shown]
	v_pk_fma_f16 v13, v28, v18, v13 op_sel:[0,1,0]
	v_pk_fma_f16 v12, v29, v18, v12 op_sel:[0,1,0]
	;; [unrolled: 1-line block ×8, first 2 shown]
	v_pk_fma_f16 v13, v30, v19, v13 op_sel_hi:[1,0,1]
	v_pk_fma_f16 v12, v31, v19, v12 op_sel_hi:[1,0,1]
	;; [unrolled: 1-line block ×8, first 2 shown]
	v_pk_fma_f16 v13, v32, v19, v13 op_sel:[0,1,0]
	v_pk_fma_f16 v12, v33, v19, v12 op_sel:[0,1,0]
	;; [unrolled: 1-line block ×8, first 2 shown]
	s_cbranch_vccnz .LBB62_2
	s_branch .LBB62_4
.LBB62_3:
	v_mov_b32_e32 v13, 0
	v_mov_b32_e32 v12, 0
	v_mov_b32_e32 v11, 0
	v_mov_b32_e32 v10, 0
	v_mov_b32_e32 v9, 0
	v_mov_b32_e32 v8, 0
	v_mov_b32_e32 v7, 0
	v_mov_b32_e32 v6, 0
.LBB62_4:
	s_clause 0x1
	s_load_dword s1, s[4:5], 0x50
	s_load_dword s0, s[4:5], 0x18
	v_add_co_u32 v17, s4, s28, v1
	v_add_co_ci_u32_e64 v21, null, s29, 0, s4
	v_add_co_u32 v0, s4, s6, v0
	v_add_co_ci_u32_e64 v1, null, s7, 0, s4
	v_mul_lo_u32 v19, v21, s8
	v_mul_lo_u32 v20, v17, s9
	s_lshl_b64 s[2:3], s[10:11], 1
	v_lshlrev_b64 v[0:1], 1, v[0:1]
	v_lshrrev_b32_e32 v18, 16, v13
	v_lshrrev_b32_e32 v16, 16, v12
	;; [unrolled: 1-line block ×6, first 2 shown]
	s_waitcnt lgkmcnt(0)
	v_cmp_neq_f16_e64 s4, s1, 0
	v_lshrrev_b32_e32 v3, 16, v7
	v_lshrrev_b32_e32 v2, 16, v6
	s_add_u32 s2, s18, s2
	s_addc_u32 s3, s19, s3
	s_and_b32 vcc_lo, exec_lo, s4
	s_mov_b32 s4, 0
	s_cbranch_vccnz .LBB62_8
; %bb.5:
	v_mad_u64_u32 v[22:23], null, v17, s8, 0
	s_lshl_b64 s[6:7], s[8:9], 5
	v_mul_f16_sdwa v26, s0, v13 dst_sel:DWORD dst_unused:UNUSED_PAD src0_sel:DWORD src1_sel:WORD_1
	v_mul_f16_e32 v27, s0, v13
	v_mul_f16_sdwa v28, s0, v12 dst_sel:DWORD dst_unused:UNUSED_PAD src0_sel:DWORD src1_sel:WORD_1
	v_mul_f16_e32 v29, s0, v12
	v_mul_f16_sdwa v30, s0, v11 dst_sel:DWORD dst_unused:UNUSED_PAD src0_sel:DWORD src1_sel:WORD_1
	v_add3_u32 v23, v23, v20, v19
	v_mul_f16_e32 v31, s0, v11
	v_mul_f16_sdwa v32, s0, v10 dst_sel:DWORD dst_unused:UNUSED_PAD src0_sel:DWORD src1_sel:WORD_1
	v_mul_f16_e32 v33, s0, v10
	v_lshlrev_b64 v[22:23], 1, v[22:23]
	v_add_co_u32 v22, vcc_lo, s2, v22
	v_add_co_ci_u32_e64 v23, null, s3, v23, vcc_lo
	v_add_co_u32 v34, vcc_lo, v22, s6
	v_add_co_ci_u32_e64 v35, null, s7, v23, vcc_lo
	v_add_co_u32 v22, vcc_lo, v22, v0
	v_add_co_ci_u32_e64 v23, null, v23, v1, vcc_lo
	v_add_co_u32 v24, vcc_lo, v34, v0
	v_add_co_ci_u32_e64 v25, null, v35, v1, vcc_lo
	flat_store_short v[22:23], v26
	flat_store_short v[22:23], v27 offset:32
	flat_store_short v[22:23], v28 offset:64
	;; [unrolled: 1-line block ×3, first 2 shown]
	flat_store_short v[24:25], v30
	flat_store_short v[24:25], v31 offset:32
	v_add_co_u32 v26, vcc_lo, v34, s6
	v_add_co_ci_u32_e64 v27, null, s7, v35, vcc_lo
	v_mul_f16_sdwa v28, s0, v9 dst_sel:DWORD dst_unused:UNUSED_PAD src0_sel:DWORD src1_sel:WORD_1
	v_add_co_u32 v22, vcc_lo, v26, v0
	v_add_co_ci_u32_e64 v23, null, v27, v1, vcc_lo
	v_mul_f16_e32 v29, s0, v9
	v_mul_f16_sdwa v30, s0, v8 dst_sel:DWORD dst_unused:UNUSED_PAD src0_sel:DWORD src1_sel:WORD_1
	flat_store_short v[24:25], v32 offset:64
	flat_store_short v[24:25], v33 offset:96
	flat_store_short v[22:23], v28
	flat_store_short v[22:23], v29 offset:32
	flat_store_short v[22:23], v30 offset:64
	v_add_co_u32 v24, vcc_lo, v26, s6
	v_add_co_ci_u32_e64 v25, null, s7, v27, vcc_lo
	v_mul_f16_e32 v28, s0, v8
	v_add_co_u32 v24, vcc_lo, v24, v0
	v_mul_f16_sdwa v26, s0, v7 dst_sel:DWORD dst_unused:UNUSED_PAD src0_sel:DWORD src1_sel:WORD_1
	v_add_co_ci_u32_e64 v25, null, v25, v1, vcc_lo
	v_mul_f16_e32 v27, s0, v7
	v_mul_f16_sdwa v29, s0, v6 dst_sel:DWORD dst_unused:UNUSED_PAD src0_sel:DWORD src1_sel:WORD_1
	v_mul_f16_e32 v30, s0, v6
	flat_store_short v[22:23], v28 offset:96
	flat_store_short v[24:25], v26
	flat_store_short v[24:25], v27 offset:32
	flat_store_short v[24:25], v29 offset:64
	;; [unrolled: 1-line block ×3, first 2 shown]
	s_andn2_b32 vcc_lo, exec_lo, s4
	s_cbranch_vccnz .LBB62_7
.LBB62_6:
	v_mul_lo_u32 v23, v21, s14
	v_mul_lo_u32 v24, v17, s15
	v_mad_u64_u32 v[21:22], null, v17, s14, 0
	s_lshl_b64 s[4:5], s[16:17], 1
	s_add_u32 s4, s12, s4
	s_addc_u32 s5, s13, s5
	v_add3_u32 v22, v22, v24, v23
	v_mad_u64_u32 v[23:24], null, v17, s8, 0
	v_lshlrev_b64 v[21:22], 1, v[21:22]
	v_add3_u32 v24, v24, v20, v19
	v_add_co_u32 v25, vcc_lo, s4, v21
	v_add_co_ci_u32_e64 v26, null, s5, v22, vcc_lo
	v_lshlrev_b64 v[19:20], 1, v[23:24]
	v_add_co_u32 v21, vcc_lo, v25, v0
	v_add_co_ci_u32_e64 v22, null, v26, v1, vcc_lo
	s_lshl_b64 s[4:5], s[8:9], 5
	v_add_co_u32 v17, vcc_lo, s2, v19
	flat_load_ushort v27, v[21:22]
	v_add_co_ci_u32_e64 v23, null, s3, v20, vcc_lo
	v_add_co_u32 v19, vcc_lo, v17, v0
	s_lshl_b64 s[2:3], s[14:15], 5
	v_add_co_ci_u32_e64 v20, null, v23, v1, vcc_lo
	s_waitcnt vmcnt(0) lgkmcnt(0)
	v_mul_f16_e32 v24, s1, v27
	v_fmac_f16_e32 v24, s0, v18
	flat_store_short v[19:20], v24
	flat_load_ushort v18, v[21:22] offset:32
	s_waitcnt vmcnt(0) lgkmcnt(0)
	v_mul_f16_e32 v18, s1, v18
	v_fmac_f16_e32 v18, s0, v13
	flat_store_short v[19:20], v18 offset:32
	flat_load_ushort v13, v[21:22] offset:64
	v_add_co_u32 v18, vcc_lo, v25, s2
	s_waitcnt vmcnt(0) lgkmcnt(0)
	v_mul_f16_e32 v13, s1, v13
	v_fmac_f16_e32 v13, s0, v16
	flat_store_short v[19:20], v13 offset:64
	flat_load_ushort v13, v[21:22] offset:96
	v_add_co_ci_u32_e64 v21, null, s3, v26, vcc_lo
	s_waitcnt vmcnt(0) lgkmcnt(0)
	v_mul_f16_e32 v16, s1, v13
	v_fmac_f16_e32 v16, s0, v12
	v_add_co_u32 v12, vcc_lo, v18, v0
	v_add_co_ci_u32_e64 v13, null, v21, v1, vcc_lo
	flat_store_short v[19:20], v16 offset:96
	v_add_co_u32 v19, vcc_lo, v17, s4
	flat_load_ushort v16, v[12:13]
	v_add_co_ci_u32_e64 v20, null, s5, v23, vcc_lo
	s_waitcnt vmcnt(0) lgkmcnt(0)
	v_mul_f16_e32 v22, s1, v16
	v_add_co_u32 v16, vcc_lo, v19, v0
	v_add_co_ci_u32_e64 v17, null, v20, v1, vcc_lo
	v_fmac_f16_e32 v22, s0, v15
	flat_store_short v[16:17], v22
	flat_load_ushort v15, v[12:13] offset:32
	s_waitcnt vmcnt(0) lgkmcnt(0)
	v_mul_f16_e32 v15, s1, v15
	v_fmac_f16_e32 v15, s0, v11
	flat_store_short v[16:17], v15 offset:32
	flat_load_ushort v11, v[12:13] offset:64
	s_waitcnt vmcnt(0) lgkmcnt(0)
	v_mul_f16_e32 v11, s1, v11
	v_fmac_f16_e32 v11, s0, v14
	v_add_co_u32 v14, vcc_lo, v18, s2
	v_add_co_ci_u32_e64 v15, null, s3, v21, vcc_lo
	flat_store_short v[16:17], v11 offset:64
	flat_load_ushort v11, v[12:13] offset:96
	s_waitcnt vmcnt(0) lgkmcnt(0)
	v_mul_f16_e32 v12, s1, v11
	v_fmac_f16_e32 v12, s0, v10
	v_add_co_u32 v10, vcc_lo, v14, v0
	v_add_co_ci_u32_e64 v11, null, v15, v1, vcc_lo
	flat_store_short v[16:17], v12 offset:96
	v_add_co_u32 v16, vcc_lo, v19, s4
	flat_load_ushort v12, v[10:11]
	v_add_co_ci_u32_e64 v17, null, s5, v20, vcc_lo
	s_waitcnt vmcnt(0) lgkmcnt(0)
	v_mul_f16_e32 v18, s1, v12
	v_add_co_u32 v12, vcc_lo, v16, v0
	v_add_co_ci_u32_e64 v13, null, v17, v1, vcc_lo
	v_fmac_f16_e32 v18, s0, v5
	flat_store_short v[12:13], v18
	flat_load_ushort v5, v[10:11] offset:32
	s_waitcnt vmcnt(0) lgkmcnt(0)
	v_mul_f16_e32 v5, s1, v5
	v_fmac_f16_e32 v5, s0, v9
	flat_store_short v[12:13], v5 offset:32
	flat_load_ushort v5, v[10:11] offset:64
	s_waitcnt vmcnt(0) lgkmcnt(0)
	v_mul_f16_e32 v5, s1, v5
	v_fmac_f16_e32 v5, s0, v4
	flat_store_short v[12:13], v5 offset:64
	flat_load_ushort v4, v[10:11] offset:96
	s_waitcnt vmcnt(0) lgkmcnt(0)
	v_mul_f16_e32 v9, s1, v4
	v_add_co_u32 v4, vcc_lo, v14, s2
	v_add_co_ci_u32_e64 v5, null, s3, v15, vcc_lo
	v_fmac_f16_e32 v9, s0, v8
	v_add_co_u32 v4, vcc_lo, v4, v0
	v_add_co_ci_u32_e64 v5, null, v5, v1, vcc_lo
	flat_store_short v[12:13], v9 offset:96
	v_add_co_u32 v9, vcc_lo, v16, s4
	flat_load_ushort v8, v[4:5]
	v_add_co_ci_u32_e64 v10, null, s5, v17, vcc_lo
	v_add_co_u32 v0, vcc_lo, v9, v0
	v_add_co_ci_u32_e64 v1, null, v10, v1, vcc_lo
	s_waitcnt vmcnt(0) lgkmcnt(0)
	v_mul_f16_e32 v8, s1, v8
	v_fmac_f16_e32 v8, s0, v3
	flat_store_short v[0:1], v8
	flat_load_ushort v3, v[4:5] offset:32
	s_waitcnt vmcnt(0) lgkmcnt(0)
	v_mul_f16_e32 v3, s1, v3
	v_fmac_f16_e32 v3, s0, v7
	flat_store_short v[0:1], v3 offset:32
	flat_load_ushort v3, v[4:5] offset:64
	s_waitcnt vmcnt(0) lgkmcnt(0)
	v_mul_f16_e32 v3, s1, v3
	v_fmac_f16_e32 v3, s0, v2
	flat_store_short v[0:1], v3 offset:64
	;; [unrolled: 5-line block ×3, first 2 shown]
.LBB62_7:
	s_endpgm
.LBB62_8:
	s_branch .LBB62_6
	.section	.rodata,"a",@progbits
	.p2align	6, 0x0
	.amdhsa_kernel _ZN12_GLOBAL__N_127rocblas_gemm_batched_kernelIDF16_Li16ELi16ELi64ELi64ELi4ELi64ELi4ELi4ELi64ELc67ELc78EKPKDF16_S3_KPDF16_EEvlllT_PT11_llS8_llS6_PT12_llPT13_lli
		.amdhsa_group_segment_fixed_size 1024
		.amdhsa_private_segment_fixed_size 0
		.amdhsa_kernarg_size 140
		.amdhsa_user_sgpr_count 6
		.amdhsa_user_sgpr_private_segment_buffer 1
		.amdhsa_user_sgpr_dispatch_ptr 0
		.amdhsa_user_sgpr_queue_ptr 0
		.amdhsa_user_sgpr_kernarg_segment_ptr 1
		.amdhsa_user_sgpr_dispatch_id 0
		.amdhsa_user_sgpr_flat_scratch_init 0
		.amdhsa_user_sgpr_private_segment_size 0
		.amdhsa_wavefront_size32 1
		.amdhsa_uses_dynamic_stack 0
		.amdhsa_system_sgpr_private_segment_wavefront_offset 0
		.amdhsa_system_sgpr_workgroup_id_x 1
		.amdhsa_system_sgpr_workgroup_id_y 1
		.amdhsa_system_sgpr_workgroup_id_z 1
		.amdhsa_system_sgpr_workgroup_info 0
		.amdhsa_system_vgpr_workitem_id 1
		.amdhsa_next_free_vgpr 36
		.amdhsa_next_free_sgpr 36
		.amdhsa_reserve_vcc 1
		.amdhsa_reserve_flat_scratch 0
		.amdhsa_float_round_mode_32 0
		.amdhsa_float_round_mode_16_64 0
		.amdhsa_float_denorm_mode_32 3
		.amdhsa_float_denorm_mode_16_64 3
		.amdhsa_dx10_clamp 1
		.amdhsa_ieee_mode 1
		.amdhsa_fp16_overflow 0
		.amdhsa_workgroup_processor_mode 1
		.amdhsa_memory_ordered 1
		.amdhsa_forward_progress 1
		.amdhsa_shared_vgpr_count 0
		.amdhsa_exception_fp_ieee_invalid_op 0
		.amdhsa_exception_fp_denorm_src 0
		.amdhsa_exception_fp_ieee_div_zero 0
		.amdhsa_exception_fp_ieee_overflow 0
		.amdhsa_exception_fp_ieee_underflow 0
		.amdhsa_exception_fp_ieee_inexact 0
		.amdhsa_exception_int_div_zero 0
	.end_amdhsa_kernel
	.section	.text._ZN12_GLOBAL__N_127rocblas_gemm_batched_kernelIDF16_Li16ELi16ELi64ELi64ELi4ELi64ELi4ELi4ELi64ELc67ELc78EKPKDF16_S3_KPDF16_EEvlllT_PT11_llS8_llS6_PT12_llPT13_lli,"axG",@progbits,_ZN12_GLOBAL__N_127rocblas_gemm_batched_kernelIDF16_Li16ELi16ELi64ELi64ELi4ELi64ELi4ELi4ELi64ELc67ELc78EKPKDF16_S3_KPDF16_EEvlllT_PT11_llS8_llS6_PT12_llPT13_lli,comdat
.Lfunc_end62:
	.size	_ZN12_GLOBAL__N_127rocblas_gemm_batched_kernelIDF16_Li16ELi16ELi64ELi64ELi4ELi64ELi4ELi4ELi64ELc67ELc78EKPKDF16_S3_KPDF16_EEvlllT_PT11_llS8_llS6_PT12_llPT13_lli, .Lfunc_end62-_ZN12_GLOBAL__N_127rocblas_gemm_batched_kernelIDF16_Li16ELi16ELi64ELi64ELi4ELi64ELi4ELi4ELi64ELc67ELc78EKPKDF16_S3_KPDF16_EEvlllT_PT11_llS8_llS6_PT12_llPT13_lli
                                        ; -- End function
	.set _ZN12_GLOBAL__N_127rocblas_gemm_batched_kernelIDF16_Li16ELi16ELi64ELi64ELi4ELi64ELi4ELi4ELi64ELc67ELc78EKPKDF16_S3_KPDF16_EEvlllT_PT11_llS8_llS6_PT12_llPT13_lli.num_vgpr, 36
	.set _ZN12_GLOBAL__N_127rocblas_gemm_batched_kernelIDF16_Li16ELi16ELi64ELi64ELi4ELi64ELi4ELi4ELi64ELc67ELc78EKPKDF16_S3_KPDF16_EEvlllT_PT11_llS8_llS6_PT12_llPT13_lli.num_agpr, 0
	.set _ZN12_GLOBAL__N_127rocblas_gemm_batched_kernelIDF16_Li16ELi16ELi64ELi64ELi4ELi64ELi4ELi4ELi64ELc67ELc78EKPKDF16_S3_KPDF16_EEvlllT_PT11_llS8_llS6_PT12_llPT13_lli.numbered_sgpr, 36
	.set _ZN12_GLOBAL__N_127rocblas_gemm_batched_kernelIDF16_Li16ELi16ELi64ELi64ELi4ELi64ELi4ELi4ELi64ELc67ELc78EKPKDF16_S3_KPDF16_EEvlllT_PT11_llS8_llS6_PT12_llPT13_lli.num_named_barrier, 0
	.set _ZN12_GLOBAL__N_127rocblas_gemm_batched_kernelIDF16_Li16ELi16ELi64ELi64ELi4ELi64ELi4ELi4ELi64ELc67ELc78EKPKDF16_S3_KPDF16_EEvlllT_PT11_llS8_llS6_PT12_llPT13_lli.private_seg_size, 0
	.set _ZN12_GLOBAL__N_127rocblas_gemm_batched_kernelIDF16_Li16ELi16ELi64ELi64ELi4ELi64ELi4ELi4ELi64ELc67ELc78EKPKDF16_S3_KPDF16_EEvlllT_PT11_llS8_llS6_PT12_llPT13_lli.uses_vcc, 1
	.set _ZN12_GLOBAL__N_127rocblas_gemm_batched_kernelIDF16_Li16ELi16ELi64ELi64ELi4ELi64ELi4ELi4ELi64ELc67ELc78EKPKDF16_S3_KPDF16_EEvlllT_PT11_llS8_llS6_PT12_llPT13_lli.uses_flat_scratch, 0
	.set _ZN12_GLOBAL__N_127rocblas_gemm_batched_kernelIDF16_Li16ELi16ELi64ELi64ELi4ELi64ELi4ELi4ELi64ELc67ELc78EKPKDF16_S3_KPDF16_EEvlllT_PT11_llS8_llS6_PT12_llPT13_lli.has_dyn_sized_stack, 0
	.set _ZN12_GLOBAL__N_127rocblas_gemm_batched_kernelIDF16_Li16ELi16ELi64ELi64ELi4ELi64ELi4ELi4ELi64ELc67ELc78EKPKDF16_S3_KPDF16_EEvlllT_PT11_llS8_llS6_PT12_llPT13_lli.has_recursion, 0
	.set _ZN12_GLOBAL__N_127rocblas_gemm_batched_kernelIDF16_Li16ELi16ELi64ELi64ELi4ELi64ELi4ELi4ELi64ELc67ELc78EKPKDF16_S3_KPDF16_EEvlllT_PT11_llS8_llS6_PT12_llPT13_lli.has_indirect_call, 0
	.section	.AMDGPU.csdata,"",@progbits
; Kernel info:
; codeLenInByte = 2420
; TotalNumSgprs: 38
; NumVgprs: 36
; ScratchSize: 0
; MemoryBound: 0
; FloatMode: 240
; IeeeMode: 1
; LDSByteSize: 1024 bytes/workgroup (compile time only)
; SGPRBlocks: 0
; VGPRBlocks: 4
; NumSGPRsForWavesPerEU: 38
; NumVGPRsForWavesPerEU: 36
; Occupancy: 16
; WaveLimiterHint : 1
; COMPUTE_PGM_RSRC2:SCRATCH_EN: 0
; COMPUTE_PGM_RSRC2:USER_SGPR: 6
; COMPUTE_PGM_RSRC2:TRAP_HANDLER: 0
; COMPUTE_PGM_RSRC2:TGID_X_EN: 1
; COMPUTE_PGM_RSRC2:TGID_Y_EN: 1
; COMPUTE_PGM_RSRC2:TGID_Z_EN: 1
; COMPUTE_PGM_RSRC2:TIDIG_COMP_CNT: 1
	.section	.text._ZN12_GLOBAL__N_127rocblas_gemm_batched_kernelIDF16_Li16ELi16ELi64ELi64ELi4ELi64ELi4ELi4ELi64ELc67ELc84EKPKDF16_S3_KPDF16_EEvlllT_PT11_llS8_llS6_PT12_llPT13_lli,"axG",@progbits,_ZN12_GLOBAL__N_127rocblas_gemm_batched_kernelIDF16_Li16ELi16ELi64ELi64ELi4ELi64ELi4ELi4ELi64ELc67ELc84EKPKDF16_S3_KPDF16_EEvlllT_PT11_llS8_llS6_PT12_llPT13_lli,comdat
	.globl	_ZN12_GLOBAL__N_127rocblas_gemm_batched_kernelIDF16_Li16ELi16ELi64ELi64ELi4ELi64ELi4ELi4ELi64ELc67ELc84EKPKDF16_S3_KPDF16_EEvlllT_PT11_llS8_llS6_PT12_llPT13_lli ; -- Begin function _ZN12_GLOBAL__N_127rocblas_gemm_batched_kernelIDF16_Li16ELi16ELi64ELi64ELi4ELi64ELi4ELi4ELi64ELc67ELc84EKPKDF16_S3_KPDF16_EEvlllT_PT11_llS8_llS6_PT12_llPT13_lli
	.p2align	8
	.type	_ZN12_GLOBAL__N_127rocblas_gemm_batched_kernelIDF16_Li16ELi16ELi64ELi64ELi4ELi64ELi4ELi4ELi64ELc67ELc84EKPKDF16_S3_KPDF16_EEvlllT_PT11_llS8_llS6_PT12_llPT13_lli,@function
_ZN12_GLOBAL__N_127rocblas_gemm_batched_kernelIDF16_Li16ELi16ELi64ELi64ELi4ELi64ELi4ELi4ELi64ELc67ELc84EKPKDF16_S3_KPDF16_EEvlllT_PT11_llS8_llS6_PT12_llPT13_lli: ; @_ZN12_GLOBAL__N_127rocblas_gemm_batched_kernelIDF16_Li16ELi16ELi64ELi64ELi4ELi64ELi4ELi4ELi64ELc67ELc84EKPKDF16_S3_KPDF16_EEvlllT_PT11_llS8_llS6_PT12_llPT13_lli
; %bb.0:
	s_clause 0x1
	s_load_dwordx8 s[12:19], s[4:5], 0x58
	s_load_dwordx2 s[30:31], s[4:5], 0x10
	s_mov_b32 s9, 0
	s_mov_b32 s0, s7
	s_lshl_b64 s[34:35], s[8:9], 3
	s_load_dwordx4 s[8:11], s[4:5], 0x78
	v_mov_b32_e32 v3, 0
	s_waitcnt lgkmcnt(0)
	s_add_u32 s2, s12, s34
	s_addc_u32 s3, s13, s35
	s_add_u32 s18, s18, s34
	s_addc_u32 s19, s19, s35
	s_load_dwordx2 s[12:13], s[2:3], 0x0
	s_load_dwordx2 s[18:19], s[18:19], 0x0
	v_cmp_lt_i64_e64 s2, s[30:31], 1
	s_ashr_i32 s7, s6, 31
	s_ashr_i32 s1, s0, 31
	s_lshl_b64 s[6:7], s[6:7], 6
	s_lshl_b64 s[28:29], s[0:1], 6
	s_and_b32 vcc_lo, exec_lo, s2
	s_cbranch_vccnz .LBB63_3
; %bb.1:
	s_clause 0x1
	s_load_dwordx8 s[20:27], s[4:5], 0x20
	s_load_dwordx4 s[0:3], s[4:5], 0x40
	v_lshl_add_u32 v8, v1, 4, v0
	v_and_b32_e32 v9, 3, v0
	v_lshlrev_b32_e32 v14, 1, v0
	v_lshl_add_u32 v15, v1, 3, 0x200
	v_and_b32_e32 v10, 63, v8
	v_lshrrev_b32_e32 v2, 2, v8
	v_lshlrev_b32_e32 v11, 1, v9
	v_lshrrev_b32_e32 v8, 6, v8
	v_add_co_u32 v6, s33, s6, v10
	v_add_co_ci_u32_e64 v7, null, s7, 0, s33
	v_lshlrev_b32_e32 v10, 1, v10
	v_lshl_or_b32 v11, v2, 3, v11
	v_lshlrev_b32_e32 v18, 1, v8
	s_waitcnt lgkmcnt(0)
	s_add_u32 s20, s20, s34
	s_addc_u32 s21, s21, s35
	s_add_u32 s26, s26, s34
	s_addc_u32 s27, s27, s35
	v_mad_u64_u32 v[4:5], null, s0, v9, v[2:3]
	s_load_dwordx2 s[26:27], s[26:27], 0x0
	v_mul_lo_u32 v12, s23, v6
	v_mul_lo_u32 v13, s22, v7
	v_mad_u64_u32 v[6:7], null, s22, v6, 0
	v_lshl_or_b32 v16, v8, 7, v10
	v_mov_b32_e32 v2, v5
	s_load_dwordx2 s[20:21], s[20:21], 0x0
	s_lshl_b64 s[2:3], s[2:3], 1
	v_add_nc_u32_e32 v17, 0x200, v11
	v_mov_b32_e32 v10, 0
	v_add3_u32 v7, v7, v13, v12
	v_mad_u64_u32 v[8:9], null, s1, v9, v[2:3]
	v_mov_b32_e32 v9, 0
	v_mov_b32_e32 v11, 0
	v_lshlrev_b64 v[5:6], 1, v[6:7]
	v_add_co_u32 v7, vcc_lo, v4, s28
	v_mov_b32_e32 v12, 0
	v_add_co_ci_u32_e64 v8, null, s29, v8, vcc_lo
	s_waitcnt lgkmcnt(0)
	s_add_u32 s22, s26, s2
	s_addc_u32 s23, s27, s3
	s_lshl_b64 s[2:3], s[24:25], 1
	v_mov_b32_e32 v13, 0
	v_add_co_u32 v2, vcc_lo, v5, s2
	v_add_co_ci_u32_e64 v6, null, s3, v6, vcc_lo
	v_lshlrev_b64 v[4:5], 1, v[7:8]
	v_add_co_u32 v2, vcc_lo, v2, v18
	v_add_co_ci_u32_e64 v7, null, 0, v6, vcc_lo
	v_mov_b32_e32 v8, 0
	v_add_co_u32 v4, vcc_lo, s22, v4
	v_add_co_ci_u32_e64 v5, null, s23, v5, vcc_lo
	v_add_co_u32 v6, vcc_lo, s20, v2
	v_add_co_ci_u32_e64 v7, null, s21, v7, vcc_lo
	v_mov_b32_e32 v2, 0
	s_lshl_b64 s[2:3], s[0:1], 3
	s_mov_b64 s[20:21], 0
.LBB63_2:                               ; =>This Inner Loop Header: Depth=1
	flat_load_ushort v18, v[6:7]
	s_add_u32 s20, s20, 4
	s_addc_u32 s21, s21, 0
	v_add_co_u32 v6, vcc_lo, v6, 8
	v_cmp_lt_i64_e64 s0, s[20:21], s[30:31]
	v_add_co_ci_u32_e64 v7, null, 0, v7, vcc_lo
	s_and_b32 vcc_lo, exec_lo, s0
	s_waitcnt vmcnt(0) lgkmcnt(0)
	ds_write_b16 v16, v18
	flat_load_ushort v18, v[4:5]
	v_add_co_u32 v4, s0, v4, s2
	v_add_co_ci_u32_e64 v5, null, s3, v5, s0
	s_waitcnt vmcnt(0) lgkmcnt(0)
	ds_write_b16 v17, v18
	s_waitcnt lgkmcnt(0)
	s_barrier
	buffer_gl0_inv
	ds_read_u16 v26, v14 offset:32
	ds_read_u16 v27, v14 offset:96
	;; [unrolled: 1-line block ×8, first 2 shown]
	ds_read2_b64 v[18:21], v15 offset1:16
	ds_read2_b64 v[22:25], v15 offset0:32 offset1:48
	s_waitcnt lgkmcnt(9)
	ds_read_u16_d16_hi v26, v14
	s_waitcnt lgkmcnt(9)
	ds_read_u16_d16_hi v27, v14 offset:64
	s_waitcnt lgkmcnt(9)
	ds_read_u16_d16_hi v28, v14 offset:128
	;; [unrolled: 2-line block ×7, first 2 shown]
	s_waitcnt lgkmcnt(0)
	s_barrier
	buffer_gl0_inv
	v_pk_fma_f16 v3, v26, v18, v3 op_sel_hi:[1,0,1]
	v_pk_fma_f16 v13, v27, v18, v13 op_sel_hi:[1,0,1]
	;; [unrolled: 1-line block ×8, first 2 shown]
	v_pk_fma_f16 v3, v28, v18, v3 op_sel:[0,1,0]
	v_pk_fma_f16 v13, v29, v18, v13 op_sel:[0,1,0]
	;; [unrolled: 1-line block ×8, first 2 shown]
	v_pk_fma_f16 v3, v30, v19, v3 op_sel_hi:[1,0,1]
	v_pk_fma_f16 v13, v31, v19, v13 op_sel_hi:[1,0,1]
	;; [unrolled: 1-line block ×8, first 2 shown]
	v_pk_fma_f16 v3, v32, v19, v3 op_sel:[0,1,0]
	v_pk_fma_f16 v13, v33, v19, v13 op_sel:[0,1,0]
	;; [unrolled: 1-line block ×8, first 2 shown]
	s_cbranch_vccnz .LBB63_2
	s_branch .LBB63_4
.LBB63_3:
	v_mov_b32_e32 v13, 0
	v_mov_b32_e32 v12, 0
	v_mov_b32_e32 v11, 0
	v_mov_b32_e32 v10, 0
	v_mov_b32_e32 v9, 0
	v_mov_b32_e32 v8, 0
	v_mov_b32_e32 v2, 0
.LBB63_4:
	s_clause 0x1
	s_load_dword s1, s[4:5], 0x50
	s_load_dword s0, s[4:5], 0x18
	v_add_co_u32 v17, s4, s28, v1
	v_add_co_ci_u32_e64 v21, null, s29, 0, s4
	v_add_co_u32 v0, s4, s6, v0
	v_add_co_ci_u32_e64 v1, null, s7, 0, s4
	v_mul_lo_u32 v19, v21, s8
	v_mul_lo_u32 v20, v17, s9
	s_lshl_b64 s[2:3], s[10:11], 1
	v_lshlrev_b64 v[0:1], 1, v[0:1]
	v_lshrrev_b32_e32 v18, 16, v3
	v_lshrrev_b32_e32 v16, 16, v13
	;; [unrolled: 1-line block ×6, first 2 shown]
	s_waitcnt lgkmcnt(0)
	v_cmp_neq_f16_e64 s4, s1, 0
	v_lshrrev_b32_e32 v5, 16, v8
	v_lshrrev_b32_e32 v4, 16, v2
	s_add_u32 s2, s18, s2
	s_addc_u32 s3, s19, s3
	s_and_b32 vcc_lo, exec_lo, s4
	s_mov_b32 s4, 0
	s_cbranch_vccnz .LBB63_8
; %bb.5:
	v_mad_u64_u32 v[22:23], null, v17, s8, 0
	s_lshl_b64 s[6:7], s[8:9], 5
	v_mul_f16_sdwa v26, s0, v3 dst_sel:DWORD dst_unused:UNUSED_PAD src0_sel:DWORD src1_sel:WORD_1
	v_mul_f16_e32 v27, s0, v3
	v_mul_f16_sdwa v28, s0, v13 dst_sel:DWORD dst_unused:UNUSED_PAD src0_sel:DWORD src1_sel:WORD_1
	v_mul_f16_e32 v29, s0, v13
	v_mul_f16_sdwa v30, s0, v12 dst_sel:DWORD dst_unused:UNUSED_PAD src0_sel:DWORD src1_sel:WORD_1
	v_add3_u32 v23, v23, v20, v19
	v_mul_f16_e32 v31, s0, v12
	v_mul_f16_sdwa v32, s0, v11 dst_sel:DWORD dst_unused:UNUSED_PAD src0_sel:DWORD src1_sel:WORD_1
	v_mul_f16_e32 v33, s0, v11
	v_lshlrev_b64 v[22:23], 1, v[22:23]
	v_add_co_u32 v22, vcc_lo, s2, v22
	v_add_co_ci_u32_e64 v23, null, s3, v23, vcc_lo
	v_add_co_u32 v34, vcc_lo, v22, s6
	v_add_co_ci_u32_e64 v35, null, s7, v23, vcc_lo
	;; [unrolled: 2-line block ×4, first 2 shown]
	flat_store_short v[22:23], v26
	flat_store_short v[22:23], v27 offset:32
	flat_store_short v[22:23], v28 offset:64
	flat_store_short v[22:23], v29 offset:96
	flat_store_short v[24:25], v30
	flat_store_short v[24:25], v31 offset:32
	v_add_co_u32 v26, vcc_lo, v34, s6
	v_add_co_ci_u32_e64 v27, null, s7, v35, vcc_lo
	v_mul_f16_sdwa v28, s0, v10 dst_sel:DWORD dst_unused:UNUSED_PAD src0_sel:DWORD src1_sel:WORD_1
	v_add_co_u32 v22, vcc_lo, v26, v0
	v_add_co_ci_u32_e64 v23, null, v27, v1, vcc_lo
	v_mul_f16_e32 v29, s0, v10
	v_mul_f16_sdwa v30, s0, v9 dst_sel:DWORD dst_unused:UNUSED_PAD src0_sel:DWORD src1_sel:WORD_1
	flat_store_short v[24:25], v32 offset:64
	flat_store_short v[24:25], v33 offset:96
	flat_store_short v[22:23], v28
	flat_store_short v[22:23], v29 offset:32
	flat_store_short v[22:23], v30 offset:64
	v_add_co_u32 v24, vcc_lo, v26, s6
	v_add_co_ci_u32_e64 v25, null, s7, v27, vcc_lo
	v_mul_f16_e32 v28, s0, v9
	v_add_co_u32 v24, vcc_lo, v24, v0
	v_mul_f16_sdwa v26, s0, v8 dst_sel:DWORD dst_unused:UNUSED_PAD src0_sel:DWORD src1_sel:WORD_1
	v_add_co_ci_u32_e64 v25, null, v25, v1, vcc_lo
	v_mul_f16_e32 v27, s0, v8
	v_mul_f16_sdwa v29, s0, v2 dst_sel:DWORD dst_unused:UNUSED_PAD src0_sel:DWORD src1_sel:WORD_1
	v_mul_f16_e32 v30, s0, v2
	flat_store_short v[22:23], v28 offset:96
	flat_store_short v[24:25], v26
	flat_store_short v[24:25], v27 offset:32
	flat_store_short v[24:25], v29 offset:64
	;; [unrolled: 1-line block ×3, first 2 shown]
	s_andn2_b32 vcc_lo, exec_lo, s4
	s_cbranch_vccnz .LBB63_7
.LBB63_6:
	v_mul_lo_u32 v23, v21, s14
	v_mul_lo_u32 v24, v17, s15
	v_mad_u64_u32 v[21:22], null, v17, s14, 0
	s_lshl_b64 s[4:5], s[16:17], 1
	s_add_u32 s4, s12, s4
	s_addc_u32 s5, s13, s5
	v_add3_u32 v22, v22, v24, v23
	v_mad_u64_u32 v[23:24], null, v17, s8, 0
	v_lshlrev_b64 v[21:22], 1, v[21:22]
	v_add3_u32 v24, v24, v20, v19
	v_add_co_u32 v25, vcc_lo, s4, v21
	v_add_co_ci_u32_e64 v26, null, s5, v22, vcc_lo
	v_lshlrev_b64 v[19:20], 1, v[23:24]
	v_add_co_u32 v21, vcc_lo, v25, v0
	v_add_co_ci_u32_e64 v22, null, v26, v1, vcc_lo
	s_lshl_b64 s[4:5], s[8:9], 5
	v_add_co_u32 v23, vcc_lo, s2, v19
	flat_load_ushort v27, v[21:22]
	v_add_co_ci_u32_e64 v24, null, s3, v20, vcc_lo
	v_add_co_u32 v19, vcc_lo, v23, v0
	s_lshl_b64 s[2:3], s[14:15], 5
	v_add_co_ci_u32_e64 v20, null, v24, v1, vcc_lo
	s_waitcnt vmcnt(0) lgkmcnt(0)
	v_mul_f16_e32 v17, s1, v27
	v_fmac_f16_e32 v17, s0, v18
	flat_store_short v[19:20], v17
	flat_load_ushort v17, v[21:22] offset:32
	s_waitcnt vmcnt(0) lgkmcnt(0)
	v_mul_f16_e32 v17, s1, v17
	v_fmac_f16_e32 v17, s0, v3
	flat_store_short v[19:20], v17 offset:32
	flat_load_ushort v3, v[21:22] offset:64
	s_waitcnt vmcnt(0) lgkmcnt(0)
	v_mul_f16_e32 v3, s1, v3
	v_fmac_f16_e32 v3, s0, v16
	flat_store_short v[19:20], v3 offset:64
	flat_load_ushort v3, v[21:22] offset:96
	v_add_co_u32 v21, vcc_lo, v25, s2
	v_add_co_ci_u32_e64 v22, null, s3, v26, vcc_lo
	v_add_co_u32 v16, vcc_lo, v21, v0
	v_add_co_ci_u32_e64 v17, null, v22, v1, vcc_lo
	s_waitcnt vmcnt(0) lgkmcnt(0)
	v_mul_f16_e32 v3, s1, v3
	v_fmac_f16_e32 v3, s0, v13
	v_add_co_u32 v13, vcc_lo, v23, s4
	flat_store_short v[19:20], v3 offset:96
	flat_load_ushort v3, v[16:17]
	v_add_co_ci_u32_e64 v20, null, s5, v24, vcc_lo
	v_add_co_u32 v18, vcc_lo, v13, v0
	v_add_co_ci_u32_e64 v19, null, v20, v1, vcc_lo
	s_waitcnt vmcnt(0) lgkmcnt(0)
	v_mul_f16_e32 v3, s1, v3
	v_fmac_f16_e32 v3, s0, v15
	v_add_co_u32 v15, vcc_lo, v21, s2
	flat_store_short v[18:19], v3
	flat_load_ushort v3, v[16:17] offset:32
	s_waitcnt vmcnt(0) lgkmcnt(0)
	v_mul_f16_e32 v3, s1, v3
	v_fmac_f16_e32 v3, s0, v12
	flat_store_short v[18:19], v3 offset:32
	flat_load_ushort v3, v[16:17] offset:64
	s_waitcnt vmcnt(0) lgkmcnt(0)
	v_mul_f16_e32 v3, s1, v3
	v_fmac_f16_e32 v3, s0, v14
	flat_store_short v[18:19], v3 offset:64
	flat_load_ushort v3, v[16:17] offset:96
	v_add_co_ci_u32_e64 v16, null, s3, v22, vcc_lo
	s_waitcnt vmcnt(0) lgkmcnt(0)
	v_mul_f16_e32 v3, s1, v3
	v_fmac_f16_e32 v3, s0, v11
	v_add_co_u32 v11, vcc_lo, v15, v0
	v_add_co_ci_u32_e64 v12, null, v16, v1, vcc_lo
	flat_store_short v[18:19], v3 offset:96
	v_add_co_u32 v17, vcc_lo, v13, s4
	flat_load_ushort v3, v[11:12]
	v_add_co_ci_u32_e64 v18, null, s5, v20, vcc_lo
	v_add_co_u32 v13, vcc_lo, v17, v0
	v_add_co_ci_u32_e64 v14, null, v18, v1, vcc_lo
	s_waitcnt vmcnt(0) lgkmcnt(0)
	v_mul_f16_e32 v3, s1, v3
	v_fmac_f16_e32 v3, s0, v7
	flat_store_short v[13:14], v3
	flat_load_ushort v3, v[11:12] offset:32
	s_waitcnt vmcnt(0) lgkmcnt(0)
	v_mul_f16_e32 v3, s1, v3
	v_fmac_f16_e32 v3, s0, v10
	flat_store_short v[13:14], v3 offset:32
	flat_load_ushort v3, v[11:12] offset:64
	s_waitcnt vmcnt(0) lgkmcnt(0)
	v_mul_f16_e32 v3, s1, v3
	v_fmac_f16_e32 v3, s0, v6
	v_add_co_u32 v6, vcc_lo, v15, s2
	v_add_co_ci_u32_e64 v7, null, s3, v16, vcc_lo
	flat_store_short v[13:14], v3 offset:64
	flat_load_ushort v3, v[11:12] offset:96
	v_add_co_u32 v6, vcc_lo, v6, v0
	v_add_co_ci_u32_e64 v7, null, v7, v1, vcc_lo
	s_waitcnt vmcnt(0) lgkmcnt(0)
	v_mul_f16_e32 v3, s1, v3
	v_fmac_f16_e32 v3, s0, v9
	v_add_co_u32 v9, vcc_lo, v17, s4
	v_add_co_ci_u32_e64 v10, null, s5, v18, vcc_lo
	flat_store_short v[13:14], v3 offset:96
	flat_load_ushort v3, v[6:7]
	v_add_co_u32 v0, vcc_lo, v9, v0
	v_add_co_ci_u32_e64 v1, null, v10, v1, vcc_lo
	s_waitcnt vmcnt(0) lgkmcnt(0)
	v_mul_f16_e32 v3, s1, v3
	v_fmac_f16_e32 v3, s0, v5
	flat_store_short v[0:1], v3
	flat_load_ushort v3, v[6:7] offset:32
	s_waitcnt vmcnt(0) lgkmcnt(0)
	v_mul_f16_e32 v3, s1, v3
	v_fmac_f16_e32 v3, s0, v8
	flat_store_short v[0:1], v3 offset:32
	flat_load_ushort v3, v[6:7] offset:64
	s_waitcnt vmcnt(0) lgkmcnt(0)
	v_mul_f16_e32 v3, s1, v3
	v_fmac_f16_e32 v3, s0, v4
	flat_store_short v[0:1], v3 offset:64
	;; [unrolled: 5-line block ×3, first 2 shown]
.LBB63_7:
	s_endpgm
.LBB63_8:
	s_branch .LBB63_6
	.section	.rodata,"a",@progbits
	.p2align	6, 0x0
	.amdhsa_kernel _ZN12_GLOBAL__N_127rocblas_gemm_batched_kernelIDF16_Li16ELi16ELi64ELi64ELi4ELi64ELi4ELi4ELi64ELc67ELc84EKPKDF16_S3_KPDF16_EEvlllT_PT11_llS8_llS6_PT12_llPT13_lli
		.amdhsa_group_segment_fixed_size 1024
		.amdhsa_private_segment_fixed_size 0
		.amdhsa_kernarg_size 140
		.amdhsa_user_sgpr_count 6
		.amdhsa_user_sgpr_private_segment_buffer 1
		.amdhsa_user_sgpr_dispatch_ptr 0
		.amdhsa_user_sgpr_queue_ptr 0
		.amdhsa_user_sgpr_kernarg_segment_ptr 1
		.amdhsa_user_sgpr_dispatch_id 0
		.amdhsa_user_sgpr_flat_scratch_init 0
		.amdhsa_user_sgpr_private_segment_size 0
		.amdhsa_wavefront_size32 1
		.amdhsa_uses_dynamic_stack 0
		.amdhsa_system_sgpr_private_segment_wavefront_offset 0
		.amdhsa_system_sgpr_workgroup_id_x 1
		.amdhsa_system_sgpr_workgroup_id_y 1
		.amdhsa_system_sgpr_workgroup_id_z 1
		.amdhsa_system_sgpr_workgroup_info 0
		.amdhsa_system_vgpr_workitem_id 1
		.amdhsa_next_free_vgpr 36
		.amdhsa_next_free_sgpr 36
		.amdhsa_reserve_vcc 1
		.amdhsa_reserve_flat_scratch 0
		.amdhsa_float_round_mode_32 0
		.amdhsa_float_round_mode_16_64 0
		.amdhsa_float_denorm_mode_32 3
		.amdhsa_float_denorm_mode_16_64 3
		.amdhsa_dx10_clamp 1
		.amdhsa_ieee_mode 1
		.amdhsa_fp16_overflow 0
		.amdhsa_workgroup_processor_mode 1
		.amdhsa_memory_ordered 1
		.amdhsa_forward_progress 1
		.amdhsa_shared_vgpr_count 0
		.amdhsa_exception_fp_ieee_invalid_op 0
		.amdhsa_exception_fp_denorm_src 0
		.amdhsa_exception_fp_ieee_div_zero 0
		.amdhsa_exception_fp_ieee_overflow 0
		.amdhsa_exception_fp_ieee_underflow 0
		.amdhsa_exception_fp_ieee_inexact 0
		.amdhsa_exception_int_div_zero 0
	.end_amdhsa_kernel
	.section	.text._ZN12_GLOBAL__N_127rocblas_gemm_batched_kernelIDF16_Li16ELi16ELi64ELi64ELi4ELi64ELi4ELi4ELi64ELc67ELc84EKPKDF16_S3_KPDF16_EEvlllT_PT11_llS8_llS6_PT12_llPT13_lli,"axG",@progbits,_ZN12_GLOBAL__N_127rocblas_gemm_batched_kernelIDF16_Li16ELi16ELi64ELi64ELi4ELi64ELi4ELi4ELi64ELc67ELc84EKPKDF16_S3_KPDF16_EEvlllT_PT11_llS8_llS6_PT12_llPT13_lli,comdat
.Lfunc_end63:
	.size	_ZN12_GLOBAL__N_127rocblas_gemm_batched_kernelIDF16_Li16ELi16ELi64ELi64ELi4ELi64ELi4ELi4ELi64ELc67ELc84EKPKDF16_S3_KPDF16_EEvlllT_PT11_llS8_llS6_PT12_llPT13_lli, .Lfunc_end63-_ZN12_GLOBAL__N_127rocblas_gemm_batched_kernelIDF16_Li16ELi16ELi64ELi64ELi4ELi64ELi4ELi4ELi64ELc67ELc84EKPKDF16_S3_KPDF16_EEvlllT_PT11_llS8_llS6_PT12_llPT13_lli
                                        ; -- End function
	.set _ZN12_GLOBAL__N_127rocblas_gemm_batched_kernelIDF16_Li16ELi16ELi64ELi64ELi4ELi64ELi4ELi4ELi64ELc67ELc84EKPKDF16_S3_KPDF16_EEvlllT_PT11_llS8_llS6_PT12_llPT13_lli.num_vgpr, 36
	.set _ZN12_GLOBAL__N_127rocblas_gemm_batched_kernelIDF16_Li16ELi16ELi64ELi64ELi4ELi64ELi4ELi4ELi64ELc67ELc84EKPKDF16_S3_KPDF16_EEvlllT_PT11_llS8_llS6_PT12_llPT13_lli.num_agpr, 0
	.set _ZN12_GLOBAL__N_127rocblas_gemm_batched_kernelIDF16_Li16ELi16ELi64ELi64ELi4ELi64ELi4ELi4ELi64ELc67ELc84EKPKDF16_S3_KPDF16_EEvlllT_PT11_llS8_llS6_PT12_llPT13_lli.numbered_sgpr, 36
	.set _ZN12_GLOBAL__N_127rocblas_gemm_batched_kernelIDF16_Li16ELi16ELi64ELi64ELi4ELi64ELi4ELi4ELi64ELc67ELc84EKPKDF16_S3_KPDF16_EEvlllT_PT11_llS8_llS6_PT12_llPT13_lli.num_named_barrier, 0
	.set _ZN12_GLOBAL__N_127rocblas_gemm_batched_kernelIDF16_Li16ELi16ELi64ELi64ELi4ELi64ELi4ELi4ELi64ELc67ELc84EKPKDF16_S3_KPDF16_EEvlllT_PT11_llS8_llS6_PT12_llPT13_lli.private_seg_size, 0
	.set _ZN12_GLOBAL__N_127rocblas_gemm_batched_kernelIDF16_Li16ELi16ELi64ELi64ELi4ELi64ELi4ELi4ELi64ELc67ELc84EKPKDF16_S3_KPDF16_EEvlllT_PT11_llS8_llS6_PT12_llPT13_lli.uses_vcc, 1
	.set _ZN12_GLOBAL__N_127rocblas_gemm_batched_kernelIDF16_Li16ELi16ELi64ELi64ELi4ELi64ELi4ELi4ELi64ELc67ELc84EKPKDF16_S3_KPDF16_EEvlllT_PT11_llS8_llS6_PT12_llPT13_lli.uses_flat_scratch, 0
	.set _ZN12_GLOBAL__N_127rocblas_gemm_batched_kernelIDF16_Li16ELi16ELi64ELi64ELi4ELi64ELi4ELi4ELi64ELc67ELc84EKPKDF16_S3_KPDF16_EEvlllT_PT11_llS8_llS6_PT12_llPT13_lli.has_dyn_sized_stack, 0
	.set _ZN12_GLOBAL__N_127rocblas_gemm_batched_kernelIDF16_Li16ELi16ELi64ELi64ELi4ELi64ELi4ELi4ELi64ELc67ELc84EKPKDF16_S3_KPDF16_EEvlllT_PT11_llS8_llS6_PT12_llPT13_lli.has_recursion, 0
	.set _ZN12_GLOBAL__N_127rocblas_gemm_batched_kernelIDF16_Li16ELi16ELi64ELi64ELi4ELi64ELi4ELi4ELi64ELc67ELc84EKPKDF16_S3_KPDF16_EEvlllT_PT11_llS8_llS6_PT12_llPT13_lli.has_indirect_call, 0
	.section	.AMDGPU.csdata,"",@progbits
; Kernel info:
; codeLenInByte = 2384
; TotalNumSgprs: 38
; NumVgprs: 36
; ScratchSize: 0
; MemoryBound: 0
; FloatMode: 240
; IeeeMode: 1
; LDSByteSize: 1024 bytes/workgroup (compile time only)
; SGPRBlocks: 0
; VGPRBlocks: 4
; NumSGPRsForWavesPerEU: 38
; NumVGPRsForWavesPerEU: 36
; Occupancy: 16
; WaveLimiterHint : 1
; COMPUTE_PGM_RSRC2:SCRATCH_EN: 0
; COMPUTE_PGM_RSRC2:USER_SGPR: 6
; COMPUTE_PGM_RSRC2:TRAP_HANDLER: 0
; COMPUTE_PGM_RSRC2:TGID_X_EN: 1
; COMPUTE_PGM_RSRC2:TGID_Y_EN: 1
; COMPUTE_PGM_RSRC2:TGID_Z_EN: 1
; COMPUTE_PGM_RSRC2:TIDIG_COMP_CNT: 1
	.section	.text._ZN12_GLOBAL__N_127rocblas_gemm_batched_kernelIDF16_Li16ELi16ELi64ELi64ELi4ELi64ELi4ELi4ELi64ELc78ELc67EKPKDF16_S3_KPDF16_EEvlllT_PT11_llS8_llS6_PT12_llPT13_lli,"axG",@progbits,_ZN12_GLOBAL__N_127rocblas_gemm_batched_kernelIDF16_Li16ELi16ELi64ELi64ELi4ELi64ELi4ELi4ELi64ELc78ELc67EKPKDF16_S3_KPDF16_EEvlllT_PT11_llS8_llS6_PT12_llPT13_lli,comdat
	.globl	_ZN12_GLOBAL__N_127rocblas_gemm_batched_kernelIDF16_Li16ELi16ELi64ELi64ELi4ELi64ELi4ELi4ELi64ELc78ELc67EKPKDF16_S3_KPDF16_EEvlllT_PT11_llS8_llS6_PT12_llPT13_lli ; -- Begin function _ZN12_GLOBAL__N_127rocblas_gemm_batched_kernelIDF16_Li16ELi16ELi64ELi64ELi4ELi64ELi4ELi4ELi64ELc78ELc67EKPKDF16_S3_KPDF16_EEvlllT_PT11_llS8_llS6_PT12_llPT13_lli
	.p2align	8
	.type	_ZN12_GLOBAL__N_127rocblas_gemm_batched_kernelIDF16_Li16ELi16ELi64ELi64ELi4ELi64ELi4ELi4ELi64ELc78ELc67EKPKDF16_S3_KPDF16_EEvlllT_PT11_llS8_llS6_PT12_llPT13_lli,@function
_ZN12_GLOBAL__N_127rocblas_gemm_batched_kernelIDF16_Li16ELi16ELi64ELi64ELi4ELi64ELi4ELi4ELi64ELc78ELc67EKPKDF16_S3_KPDF16_EEvlllT_PT11_llS8_llS6_PT12_llPT13_lli: ; @_ZN12_GLOBAL__N_127rocblas_gemm_batched_kernelIDF16_Li16ELi16ELi64ELi64ELi4ELi64ELi4ELi4ELi64ELc78ELc67EKPKDF16_S3_KPDF16_EEvlllT_PT11_llS8_llS6_PT12_llPT13_lli
; %bb.0:
	s_clause 0x1
	s_load_dwordx8 s[12:19], s[4:5], 0x58
	s_load_dwordx2 s[30:31], s[4:5], 0x10
	s_mov_b32 s9, 0
	s_mov_b32 s0, s7
	s_lshl_b64 s[34:35], s[8:9], 3
	s_load_dwordx4 s[8:11], s[4:5], 0x78
	v_mov_b32_e32 v3, 0
	s_waitcnt lgkmcnt(0)
	s_add_u32 s2, s12, s34
	s_addc_u32 s3, s13, s35
	s_add_u32 s18, s18, s34
	s_addc_u32 s19, s19, s35
	s_load_dwordx2 s[12:13], s[2:3], 0x0
	s_load_dwordx2 s[18:19], s[18:19], 0x0
	v_cmp_lt_i64_e64 s2, s[30:31], 1
	s_ashr_i32 s7, s6, 31
	s_ashr_i32 s1, s0, 31
	s_lshl_b64 s[6:7], s[6:7], 6
	s_lshl_b64 s[28:29], s[0:1], 6
	s_and_b32 vcc_lo, exec_lo, s2
	s_cbranch_vccnz .LBB64_3
; %bb.1:
	s_clause 0x1
	s_load_dwordx8 s[20:27], s[4:5], 0x20
	s_load_dwordx4 s[0:3], s[4:5], 0x40
	v_lshl_add_u32 v4, v1, 4, v0
	v_and_b32_e32 v8, 3, v0
	v_lshlrev_b32_e32 v14, 1, v0
	v_lshl_add_u32 v15, v1, 3, 0x200
	v_mov_b32_e32 v13, 0
	v_lshrrev_b32_e32 v2, 2, v4
	v_lshrrev_b32_e32 v9, 6, v4
	v_and_b32_e32 v10, 63, v4
	v_lshlrev_b32_e32 v11, 1, v8
	v_lshlrev_b32_e32 v12, 1, v10
	v_lshl_or_b32 v11, v2, 3, v11
	v_lshl_or_b32 v16, v9, 7, v12
	s_waitcnt lgkmcnt(0)
	v_mad_u64_u32 v[6:7], null, s22, v9, s[6:7]
	v_mad_u64_u32 v[4:5], null, s0, v8, v[2:3]
	s_add_u32 s20, s20, s34
	s_addc_u32 s21, s21, s35
	s_add_u32 s26, s26, s34
	s_addc_u32 s27, s27, s35
	s_load_dwordx2 s[20:21], s[20:21], 0x0
	s_load_dwordx2 s[26:27], s[26:27], 0x0
	v_mov_b32_e32 v2, v5
	v_mov_b32_e32 v5, v7
	v_add_co_u32 v4, vcc_lo, v4, s28
	s_lshl_b64 s[2:3], s[2:3], 1
	v_mad_u64_u32 v[7:8], null, s1, v8, v[2:3]
	v_mad_u64_u32 v[8:9], null, s23, v9, v[5:6]
	v_add_nc_u32_e32 v17, 0x200, v11
	v_mov_b32_e32 v2, 0
	v_mov_b32_e32 v9, 0
	;; [unrolled: 1-line block ×3, first 2 shown]
	v_add_co_ci_u32_e64 v5, null, s29, v7, vcc_lo
	v_add_co_u32 v6, vcc_lo, v6, v10
	v_add_co_ci_u32_e64 v7, null, 0, v8, vcc_lo
	v_lshlrev_b64 v[4:5], 1, v[4:5]
	s_waitcnt lgkmcnt(0)
	s_add_u32 s26, s26, s2
	s_addc_u32 s27, s27, s3
	v_lshlrev_b64 v[6:7], 1, v[6:7]
	s_lshl_b64 s[2:3], s[0:1], 3
	s_lshl_b64 s[0:1], s[24:25], 1
	v_add_co_u32 v4, vcc_lo, s26, v4
	s_add_u32 s0, s20, s0
	s_addc_u32 s1, s21, s1
	v_add_co_ci_u32_e64 v5, null, s27, v5, vcc_lo
	v_add_co_u32 v6, vcc_lo, s0, v6
	v_add_co_ci_u32_e64 v7, null, s1, v7, vcc_lo
	v_mov_b32_e32 v8, 0
	v_mov_b32_e32 v10, 0
	;; [unrolled: 1-line block ×3, first 2 shown]
	s_lshl_b64 s[20:21], s[22:23], 3
	s_mov_b64 s[22:23], 0
.LBB64_2:                               ; =>This Inner Loop Header: Depth=1
	flat_load_ushort v18, v[6:7]
	s_add_u32 s22, s22, 4
	s_addc_u32 s23, s23, 0
	v_add_co_u32 v6, vcc_lo, v6, s20
	v_cmp_lt_i64_e64 s0, s[22:23], s[30:31]
	v_add_co_ci_u32_e64 v7, null, s21, v7, vcc_lo
	s_and_b32 vcc_lo, exec_lo, s0
	s_waitcnt vmcnt(0) lgkmcnt(0)
	ds_write_b16 v16, v18
	flat_load_ushort v18, v[4:5]
	v_add_co_u32 v4, s0, v4, s2
	v_add_co_ci_u32_e64 v5, null, s3, v5, s0
	s_waitcnt vmcnt(0) lgkmcnt(0)
	ds_write_b16 v17, v18
	s_waitcnt lgkmcnt(0)
	s_barrier
	buffer_gl0_inv
	ds_read_u16 v26, v14 offset:32
	ds_read_u16 v27, v14 offset:96
	ds_read_u16 v28, v14 offset:160
	ds_read_u16 v29, v14 offset:224
	ds_read_u16 v30, v14 offset:288
	ds_read_u16 v31, v14 offset:352
	ds_read_u16 v32, v14 offset:416
	ds_read_u16 v33, v14 offset:480
	ds_read2_b64 v[18:21], v15 offset1:16
	ds_read2_b64 v[22:25], v15 offset0:32 offset1:48
	s_waitcnt lgkmcnt(9)
	ds_read_u16_d16_hi v26, v14
	s_waitcnt lgkmcnt(9)
	ds_read_u16_d16_hi v27, v14 offset:64
	s_waitcnt lgkmcnt(9)
	ds_read_u16_d16_hi v28, v14 offset:128
	;; [unrolled: 2-line block ×7, first 2 shown]
	s_waitcnt lgkmcnt(0)
	s_barrier
	buffer_gl0_inv
	v_pk_fma_f16 v3, v26, v18, v3 op_sel_hi:[1,0,1]
	v_pk_fma_f16 v13, v27, v18, v13 op_sel_hi:[1,0,1]
	v_pk_fma_f16 v12, v26, v20, v12 op_sel_hi:[1,0,1]
	v_pk_fma_f16 v11, v27, v20, v11 op_sel_hi:[1,0,1]
	v_pk_fma_f16 v10, v26, v22, v10 op_sel_hi:[1,0,1]
	v_pk_fma_f16 v9, v27, v22, v9 op_sel_hi:[1,0,1]
	v_pk_fma_f16 v8, v26, v24, v8 op_sel_hi:[1,0,1]
	v_pk_fma_f16 v2, v27, v24, v2 op_sel_hi:[1,0,1]
	v_pk_fma_f16 v3, v28, v18, v3 op_sel:[0,1,0]
	v_pk_fma_f16 v13, v29, v18, v13 op_sel:[0,1,0]
	;; [unrolled: 1-line block ×8, first 2 shown]
	v_pk_fma_f16 v3, v30, v19, v3 op_sel_hi:[1,0,1]
	v_pk_fma_f16 v13, v31, v19, v13 op_sel_hi:[1,0,1]
	;; [unrolled: 1-line block ×8, first 2 shown]
	v_pk_fma_f16 v3, v32, v19, v3 op_sel:[0,1,0]
	v_pk_fma_f16 v13, v33, v19, v13 op_sel:[0,1,0]
	;; [unrolled: 1-line block ×8, first 2 shown]
	s_cbranch_vccnz .LBB64_2
	s_branch .LBB64_4
.LBB64_3:
	v_mov_b32_e32 v13, 0
	v_mov_b32_e32 v12, 0
	;; [unrolled: 1-line block ×7, first 2 shown]
.LBB64_4:
	s_clause 0x1
	s_load_dword s1, s[4:5], 0x50
	s_load_dword s0, s[4:5], 0x18
	v_add_co_u32 v17, s4, s28, v1
	v_add_co_ci_u32_e64 v21, null, s29, 0, s4
	v_add_co_u32 v0, s4, s6, v0
	v_add_co_ci_u32_e64 v1, null, s7, 0, s4
	v_mul_lo_u32 v19, v21, s8
	v_mul_lo_u32 v20, v17, s9
	s_lshl_b64 s[2:3], s[10:11], 1
	v_lshlrev_b64 v[0:1], 1, v[0:1]
	v_lshrrev_b32_e32 v18, 16, v3
	v_lshrrev_b32_e32 v16, 16, v13
	;; [unrolled: 1-line block ×6, first 2 shown]
	s_waitcnt lgkmcnt(0)
	v_cmp_neq_f16_e64 s4, s1, 0
	v_lshrrev_b32_e32 v5, 16, v8
	v_lshrrev_b32_e32 v4, 16, v2
	s_add_u32 s2, s18, s2
	s_addc_u32 s3, s19, s3
	s_and_b32 vcc_lo, exec_lo, s4
	s_mov_b32 s4, 0
	s_cbranch_vccnz .LBB64_8
; %bb.5:
	v_mad_u64_u32 v[22:23], null, v17, s8, 0
	s_lshl_b64 s[6:7], s[8:9], 5
	v_mul_f16_sdwa v26, s0, v3 dst_sel:DWORD dst_unused:UNUSED_PAD src0_sel:DWORD src1_sel:WORD_1
	v_mul_f16_e32 v27, s0, v3
	v_mul_f16_sdwa v28, s0, v13 dst_sel:DWORD dst_unused:UNUSED_PAD src0_sel:DWORD src1_sel:WORD_1
	v_mul_f16_e32 v29, s0, v13
	v_mul_f16_sdwa v30, s0, v12 dst_sel:DWORD dst_unused:UNUSED_PAD src0_sel:DWORD src1_sel:WORD_1
	v_add3_u32 v23, v23, v20, v19
	v_mul_f16_e32 v31, s0, v12
	v_mul_f16_sdwa v32, s0, v11 dst_sel:DWORD dst_unused:UNUSED_PAD src0_sel:DWORD src1_sel:WORD_1
	v_mul_f16_e32 v33, s0, v11
	v_lshlrev_b64 v[22:23], 1, v[22:23]
	v_add_co_u32 v22, vcc_lo, s2, v22
	v_add_co_ci_u32_e64 v23, null, s3, v23, vcc_lo
	v_add_co_u32 v34, vcc_lo, v22, s6
	v_add_co_ci_u32_e64 v35, null, s7, v23, vcc_lo
	;; [unrolled: 2-line block ×4, first 2 shown]
	flat_store_short v[22:23], v26
	flat_store_short v[22:23], v27 offset:32
	flat_store_short v[22:23], v28 offset:64
	;; [unrolled: 1-line block ×3, first 2 shown]
	flat_store_short v[24:25], v30
	flat_store_short v[24:25], v31 offset:32
	v_add_co_u32 v26, vcc_lo, v34, s6
	v_add_co_ci_u32_e64 v27, null, s7, v35, vcc_lo
	v_mul_f16_sdwa v28, s0, v10 dst_sel:DWORD dst_unused:UNUSED_PAD src0_sel:DWORD src1_sel:WORD_1
	v_add_co_u32 v22, vcc_lo, v26, v0
	v_add_co_ci_u32_e64 v23, null, v27, v1, vcc_lo
	v_mul_f16_e32 v29, s0, v10
	v_mul_f16_sdwa v30, s0, v9 dst_sel:DWORD dst_unused:UNUSED_PAD src0_sel:DWORD src1_sel:WORD_1
	flat_store_short v[24:25], v32 offset:64
	flat_store_short v[24:25], v33 offset:96
	flat_store_short v[22:23], v28
	flat_store_short v[22:23], v29 offset:32
	flat_store_short v[22:23], v30 offset:64
	v_add_co_u32 v24, vcc_lo, v26, s6
	v_add_co_ci_u32_e64 v25, null, s7, v27, vcc_lo
	v_mul_f16_e32 v28, s0, v9
	v_add_co_u32 v24, vcc_lo, v24, v0
	v_mul_f16_sdwa v26, s0, v8 dst_sel:DWORD dst_unused:UNUSED_PAD src0_sel:DWORD src1_sel:WORD_1
	v_add_co_ci_u32_e64 v25, null, v25, v1, vcc_lo
	v_mul_f16_e32 v27, s0, v8
	v_mul_f16_sdwa v29, s0, v2 dst_sel:DWORD dst_unused:UNUSED_PAD src0_sel:DWORD src1_sel:WORD_1
	v_mul_f16_e32 v30, s0, v2
	flat_store_short v[22:23], v28 offset:96
	flat_store_short v[24:25], v26
	flat_store_short v[24:25], v27 offset:32
	flat_store_short v[24:25], v29 offset:64
	;; [unrolled: 1-line block ×3, first 2 shown]
	s_andn2_b32 vcc_lo, exec_lo, s4
	s_cbranch_vccnz .LBB64_7
.LBB64_6:
	v_mul_lo_u32 v23, v21, s14
	v_mul_lo_u32 v24, v17, s15
	v_mad_u64_u32 v[21:22], null, v17, s14, 0
	s_lshl_b64 s[4:5], s[16:17], 1
	s_add_u32 s4, s12, s4
	s_addc_u32 s5, s13, s5
	v_add3_u32 v22, v22, v24, v23
	v_mad_u64_u32 v[23:24], null, v17, s8, 0
	v_lshlrev_b64 v[21:22], 1, v[21:22]
	v_add3_u32 v24, v24, v20, v19
	v_add_co_u32 v25, vcc_lo, s4, v21
	v_add_co_ci_u32_e64 v26, null, s5, v22, vcc_lo
	v_lshlrev_b64 v[19:20], 1, v[23:24]
	v_add_co_u32 v21, vcc_lo, v25, v0
	v_add_co_ci_u32_e64 v22, null, v26, v1, vcc_lo
	s_lshl_b64 s[4:5], s[8:9], 5
	v_add_co_u32 v23, vcc_lo, s2, v19
	flat_load_ushort v27, v[21:22]
	v_add_co_ci_u32_e64 v24, null, s3, v20, vcc_lo
	v_add_co_u32 v19, vcc_lo, v23, v0
	s_lshl_b64 s[2:3], s[14:15], 5
	v_add_co_ci_u32_e64 v20, null, v24, v1, vcc_lo
	s_waitcnt vmcnt(0) lgkmcnt(0)
	v_mul_f16_e32 v17, s1, v27
	v_fmac_f16_e32 v17, s0, v18
	flat_store_short v[19:20], v17
	flat_load_ushort v17, v[21:22] offset:32
	s_waitcnt vmcnt(0) lgkmcnt(0)
	v_mul_f16_e32 v17, s1, v17
	v_fmac_f16_e32 v17, s0, v3
	flat_store_short v[19:20], v17 offset:32
	flat_load_ushort v3, v[21:22] offset:64
	s_waitcnt vmcnt(0) lgkmcnt(0)
	v_mul_f16_e32 v3, s1, v3
	v_fmac_f16_e32 v3, s0, v16
	flat_store_short v[19:20], v3 offset:64
	flat_load_ushort v3, v[21:22] offset:96
	v_add_co_u32 v21, vcc_lo, v25, s2
	v_add_co_ci_u32_e64 v22, null, s3, v26, vcc_lo
	v_add_co_u32 v16, vcc_lo, v21, v0
	v_add_co_ci_u32_e64 v17, null, v22, v1, vcc_lo
	s_waitcnt vmcnt(0) lgkmcnt(0)
	v_mul_f16_e32 v3, s1, v3
	v_fmac_f16_e32 v3, s0, v13
	v_add_co_u32 v13, vcc_lo, v23, s4
	flat_store_short v[19:20], v3 offset:96
	flat_load_ushort v3, v[16:17]
	v_add_co_ci_u32_e64 v20, null, s5, v24, vcc_lo
	v_add_co_u32 v18, vcc_lo, v13, v0
	v_add_co_ci_u32_e64 v19, null, v20, v1, vcc_lo
	s_waitcnt vmcnt(0) lgkmcnt(0)
	v_mul_f16_e32 v3, s1, v3
	v_fmac_f16_e32 v3, s0, v15
	v_add_co_u32 v15, vcc_lo, v21, s2
	flat_store_short v[18:19], v3
	flat_load_ushort v3, v[16:17] offset:32
	s_waitcnt vmcnt(0) lgkmcnt(0)
	v_mul_f16_e32 v3, s1, v3
	v_fmac_f16_e32 v3, s0, v12
	flat_store_short v[18:19], v3 offset:32
	flat_load_ushort v3, v[16:17] offset:64
	s_waitcnt vmcnt(0) lgkmcnt(0)
	v_mul_f16_e32 v3, s1, v3
	v_fmac_f16_e32 v3, s0, v14
	flat_store_short v[18:19], v3 offset:64
	flat_load_ushort v3, v[16:17] offset:96
	v_add_co_ci_u32_e64 v16, null, s3, v22, vcc_lo
	s_waitcnt vmcnt(0) lgkmcnt(0)
	v_mul_f16_e32 v3, s1, v3
	v_fmac_f16_e32 v3, s0, v11
	v_add_co_u32 v11, vcc_lo, v15, v0
	v_add_co_ci_u32_e64 v12, null, v16, v1, vcc_lo
	flat_store_short v[18:19], v3 offset:96
	v_add_co_u32 v17, vcc_lo, v13, s4
	flat_load_ushort v3, v[11:12]
	v_add_co_ci_u32_e64 v18, null, s5, v20, vcc_lo
	v_add_co_u32 v13, vcc_lo, v17, v0
	v_add_co_ci_u32_e64 v14, null, v18, v1, vcc_lo
	s_waitcnt vmcnt(0) lgkmcnt(0)
	v_mul_f16_e32 v3, s1, v3
	v_fmac_f16_e32 v3, s0, v7
	flat_store_short v[13:14], v3
	flat_load_ushort v3, v[11:12] offset:32
	s_waitcnt vmcnt(0) lgkmcnt(0)
	v_mul_f16_e32 v3, s1, v3
	v_fmac_f16_e32 v3, s0, v10
	flat_store_short v[13:14], v3 offset:32
	flat_load_ushort v3, v[11:12] offset:64
	s_waitcnt vmcnt(0) lgkmcnt(0)
	v_mul_f16_e32 v3, s1, v3
	v_fmac_f16_e32 v3, s0, v6
	v_add_co_u32 v6, vcc_lo, v15, s2
	v_add_co_ci_u32_e64 v7, null, s3, v16, vcc_lo
	flat_store_short v[13:14], v3 offset:64
	flat_load_ushort v3, v[11:12] offset:96
	v_add_co_u32 v6, vcc_lo, v6, v0
	v_add_co_ci_u32_e64 v7, null, v7, v1, vcc_lo
	s_waitcnt vmcnt(0) lgkmcnt(0)
	v_mul_f16_e32 v3, s1, v3
	v_fmac_f16_e32 v3, s0, v9
	v_add_co_u32 v9, vcc_lo, v17, s4
	v_add_co_ci_u32_e64 v10, null, s5, v18, vcc_lo
	flat_store_short v[13:14], v3 offset:96
	flat_load_ushort v3, v[6:7]
	v_add_co_u32 v0, vcc_lo, v9, v0
	v_add_co_ci_u32_e64 v1, null, v10, v1, vcc_lo
	s_waitcnt vmcnt(0) lgkmcnt(0)
	v_mul_f16_e32 v3, s1, v3
	v_fmac_f16_e32 v3, s0, v5
	flat_store_short v[0:1], v3
	flat_load_ushort v3, v[6:7] offset:32
	s_waitcnt vmcnt(0) lgkmcnt(0)
	v_mul_f16_e32 v3, s1, v3
	v_fmac_f16_e32 v3, s0, v8
	flat_store_short v[0:1], v3 offset:32
	flat_load_ushort v3, v[6:7] offset:64
	s_waitcnt vmcnt(0) lgkmcnt(0)
	v_mul_f16_e32 v3, s1, v3
	v_fmac_f16_e32 v3, s0, v4
	flat_store_short v[0:1], v3 offset:64
	;; [unrolled: 5-line block ×3, first 2 shown]
.LBB64_7:
	s_endpgm
.LBB64_8:
	s_branch .LBB64_6
	.section	.rodata,"a",@progbits
	.p2align	6, 0x0
	.amdhsa_kernel _ZN12_GLOBAL__N_127rocblas_gemm_batched_kernelIDF16_Li16ELi16ELi64ELi64ELi4ELi64ELi4ELi4ELi64ELc78ELc67EKPKDF16_S3_KPDF16_EEvlllT_PT11_llS8_llS6_PT12_llPT13_lli
		.amdhsa_group_segment_fixed_size 1024
		.amdhsa_private_segment_fixed_size 0
		.amdhsa_kernarg_size 140
		.amdhsa_user_sgpr_count 6
		.amdhsa_user_sgpr_private_segment_buffer 1
		.amdhsa_user_sgpr_dispatch_ptr 0
		.amdhsa_user_sgpr_queue_ptr 0
		.amdhsa_user_sgpr_kernarg_segment_ptr 1
		.amdhsa_user_sgpr_dispatch_id 0
		.amdhsa_user_sgpr_flat_scratch_init 0
		.amdhsa_user_sgpr_private_segment_size 0
		.amdhsa_wavefront_size32 1
		.amdhsa_uses_dynamic_stack 0
		.amdhsa_system_sgpr_private_segment_wavefront_offset 0
		.amdhsa_system_sgpr_workgroup_id_x 1
		.amdhsa_system_sgpr_workgroup_id_y 1
		.amdhsa_system_sgpr_workgroup_id_z 1
		.amdhsa_system_sgpr_workgroup_info 0
		.amdhsa_system_vgpr_workitem_id 1
		.amdhsa_next_free_vgpr 36
		.amdhsa_next_free_sgpr 36
		.amdhsa_reserve_vcc 1
		.amdhsa_reserve_flat_scratch 0
		.amdhsa_float_round_mode_32 0
		.amdhsa_float_round_mode_16_64 0
		.amdhsa_float_denorm_mode_32 3
		.amdhsa_float_denorm_mode_16_64 3
		.amdhsa_dx10_clamp 1
		.amdhsa_ieee_mode 1
		.amdhsa_fp16_overflow 0
		.amdhsa_workgroup_processor_mode 1
		.amdhsa_memory_ordered 1
		.amdhsa_forward_progress 1
		.amdhsa_shared_vgpr_count 0
		.amdhsa_exception_fp_ieee_invalid_op 0
		.amdhsa_exception_fp_denorm_src 0
		.amdhsa_exception_fp_ieee_div_zero 0
		.amdhsa_exception_fp_ieee_overflow 0
		.amdhsa_exception_fp_ieee_underflow 0
		.amdhsa_exception_fp_ieee_inexact 0
		.amdhsa_exception_int_div_zero 0
	.end_amdhsa_kernel
	.section	.text._ZN12_GLOBAL__N_127rocblas_gemm_batched_kernelIDF16_Li16ELi16ELi64ELi64ELi4ELi64ELi4ELi4ELi64ELc78ELc67EKPKDF16_S3_KPDF16_EEvlllT_PT11_llS8_llS6_PT12_llPT13_lli,"axG",@progbits,_ZN12_GLOBAL__N_127rocblas_gemm_batched_kernelIDF16_Li16ELi16ELi64ELi64ELi4ELi64ELi4ELi4ELi64ELc78ELc67EKPKDF16_S3_KPDF16_EEvlllT_PT11_llS8_llS6_PT12_llPT13_lli,comdat
.Lfunc_end64:
	.size	_ZN12_GLOBAL__N_127rocblas_gemm_batched_kernelIDF16_Li16ELi16ELi64ELi64ELi4ELi64ELi4ELi4ELi64ELc78ELc67EKPKDF16_S3_KPDF16_EEvlllT_PT11_llS8_llS6_PT12_llPT13_lli, .Lfunc_end64-_ZN12_GLOBAL__N_127rocblas_gemm_batched_kernelIDF16_Li16ELi16ELi64ELi64ELi4ELi64ELi4ELi4ELi64ELc78ELc67EKPKDF16_S3_KPDF16_EEvlllT_PT11_llS8_llS6_PT12_llPT13_lli
                                        ; -- End function
	.set _ZN12_GLOBAL__N_127rocblas_gemm_batched_kernelIDF16_Li16ELi16ELi64ELi64ELi4ELi64ELi4ELi4ELi64ELc78ELc67EKPKDF16_S3_KPDF16_EEvlllT_PT11_llS8_llS6_PT12_llPT13_lli.num_vgpr, 36
	.set _ZN12_GLOBAL__N_127rocblas_gemm_batched_kernelIDF16_Li16ELi16ELi64ELi64ELi4ELi64ELi4ELi4ELi64ELc78ELc67EKPKDF16_S3_KPDF16_EEvlllT_PT11_llS8_llS6_PT12_llPT13_lli.num_agpr, 0
	.set _ZN12_GLOBAL__N_127rocblas_gemm_batched_kernelIDF16_Li16ELi16ELi64ELi64ELi4ELi64ELi4ELi4ELi64ELc78ELc67EKPKDF16_S3_KPDF16_EEvlllT_PT11_llS8_llS6_PT12_llPT13_lli.numbered_sgpr, 36
	.set _ZN12_GLOBAL__N_127rocblas_gemm_batched_kernelIDF16_Li16ELi16ELi64ELi64ELi4ELi64ELi4ELi4ELi64ELc78ELc67EKPKDF16_S3_KPDF16_EEvlllT_PT11_llS8_llS6_PT12_llPT13_lli.num_named_barrier, 0
	.set _ZN12_GLOBAL__N_127rocblas_gemm_batched_kernelIDF16_Li16ELi16ELi64ELi64ELi4ELi64ELi4ELi4ELi64ELc78ELc67EKPKDF16_S3_KPDF16_EEvlllT_PT11_llS8_llS6_PT12_llPT13_lli.private_seg_size, 0
	.set _ZN12_GLOBAL__N_127rocblas_gemm_batched_kernelIDF16_Li16ELi16ELi64ELi64ELi4ELi64ELi4ELi4ELi64ELc78ELc67EKPKDF16_S3_KPDF16_EEvlllT_PT11_llS8_llS6_PT12_llPT13_lli.uses_vcc, 1
	.set _ZN12_GLOBAL__N_127rocblas_gemm_batched_kernelIDF16_Li16ELi16ELi64ELi64ELi4ELi64ELi4ELi4ELi64ELc78ELc67EKPKDF16_S3_KPDF16_EEvlllT_PT11_llS8_llS6_PT12_llPT13_lli.uses_flat_scratch, 0
	.set _ZN12_GLOBAL__N_127rocblas_gemm_batched_kernelIDF16_Li16ELi16ELi64ELi64ELi4ELi64ELi4ELi4ELi64ELc78ELc67EKPKDF16_S3_KPDF16_EEvlllT_PT11_llS8_llS6_PT12_llPT13_lli.has_dyn_sized_stack, 0
	.set _ZN12_GLOBAL__N_127rocblas_gemm_batched_kernelIDF16_Li16ELi16ELi64ELi64ELi4ELi64ELi4ELi4ELi64ELc78ELc67EKPKDF16_S3_KPDF16_EEvlllT_PT11_llS8_llS6_PT12_llPT13_lli.has_recursion, 0
	.set _ZN12_GLOBAL__N_127rocblas_gemm_batched_kernelIDF16_Li16ELi16ELi64ELi64ELi4ELi64ELi4ELi4ELi64ELc78ELc67EKPKDF16_S3_KPDF16_EEvlllT_PT11_llS8_llS6_PT12_llPT13_lli.has_indirect_call, 0
	.section	.AMDGPU.csdata,"",@progbits
; Kernel info:
; codeLenInByte = 2348
; TotalNumSgprs: 38
; NumVgprs: 36
; ScratchSize: 0
; MemoryBound: 0
; FloatMode: 240
; IeeeMode: 1
; LDSByteSize: 1024 bytes/workgroup (compile time only)
; SGPRBlocks: 0
; VGPRBlocks: 4
; NumSGPRsForWavesPerEU: 38
; NumVGPRsForWavesPerEU: 36
; Occupancy: 16
; WaveLimiterHint : 1
; COMPUTE_PGM_RSRC2:SCRATCH_EN: 0
; COMPUTE_PGM_RSRC2:USER_SGPR: 6
; COMPUTE_PGM_RSRC2:TRAP_HANDLER: 0
; COMPUTE_PGM_RSRC2:TGID_X_EN: 1
; COMPUTE_PGM_RSRC2:TGID_Y_EN: 1
; COMPUTE_PGM_RSRC2:TGID_Z_EN: 1
; COMPUTE_PGM_RSRC2:TIDIG_COMP_CNT: 1
	.section	.text._ZN12_GLOBAL__N_127rocblas_gemm_batched_kernelIDF16_Li16ELi16ELi64ELi64ELi4ELi64ELi4ELi4ELi64ELc84ELc67EKPKDF16_S3_KPDF16_EEvlllT_PT11_llS8_llS6_PT12_llPT13_lli,"axG",@progbits,_ZN12_GLOBAL__N_127rocblas_gemm_batched_kernelIDF16_Li16ELi16ELi64ELi64ELi4ELi64ELi4ELi4ELi64ELc84ELc67EKPKDF16_S3_KPDF16_EEvlllT_PT11_llS8_llS6_PT12_llPT13_lli,comdat
	.globl	_ZN12_GLOBAL__N_127rocblas_gemm_batched_kernelIDF16_Li16ELi16ELi64ELi64ELi4ELi64ELi4ELi4ELi64ELc84ELc67EKPKDF16_S3_KPDF16_EEvlllT_PT11_llS8_llS6_PT12_llPT13_lli ; -- Begin function _ZN12_GLOBAL__N_127rocblas_gemm_batched_kernelIDF16_Li16ELi16ELi64ELi64ELi4ELi64ELi4ELi4ELi64ELc84ELc67EKPKDF16_S3_KPDF16_EEvlllT_PT11_llS8_llS6_PT12_llPT13_lli
	.p2align	8
	.type	_ZN12_GLOBAL__N_127rocblas_gemm_batched_kernelIDF16_Li16ELi16ELi64ELi64ELi4ELi64ELi4ELi4ELi64ELc84ELc67EKPKDF16_S3_KPDF16_EEvlllT_PT11_llS8_llS6_PT12_llPT13_lli,@function
_ZN12_GLOBAL__N_127rocblas_gemm_batched_kernelIDF16_Li16ELi16ELi64ELi64ELi4ELi64ELi4ELi4ELi64ELc84ELc67EKPKDF16_S3_KPDF16_EEvlllT_PT11_llS8_llS6_PT12_llPT13_lli: ; @_ZN12_GLOBAL__N_127rocblas_gemm_batched_kernelIDF16_Li16ELi16ELi64ELi64ELi4ELi64ELi4ELi4ELi64ELc84ELc67EKPKDF16_S3_KPDF16_EEvlllT_PT11_llS8_llS6_PT12_llPT13_lli
; %bb.0:
	s_clause 0x1
	s_load_dwordx8 s[12:19], s[4:5], 0x58
	s_load_dwordx2 s[30:31], s[4:5], 0x10
	s_mov_b32 s9, 0
	s_mov_b32 s0, s7
	s_lshl_b64 s[34:35], s[8:9], 3
	s_load_dwordx4 s[8:11], s[4:5], 0x78
	v_mov_b32_e32 v3, 0
	s_waitcnt lgkmcnt(0)
	s_add_u32 s2, s12, s34
	s_addc_u32 s3, s13, s35
	s_add_u32 s18, s18, s34
	s_addc_u32 s19, s19, s35
	s_load_dwordx2 s[12:13], s[2:3], 0x0
	s_load_dwordx2 s[18:19], s[18:19], 0x0
	v_cmp_lt_i64_e64 s2, s[30:31], 1
	s_ashr_i32 s7, s6, 31
	s_ashr_i32 s1, s0, 31
	s_lshl_b64 s[6:7], s[6:7], 6
	s_lshl_b64 s[28:29], s[0:1], 6
	s_and_b32 vcc_lo, exec_lo, s2
	s_cbranch_vccnz .LBB65_3
; %bb.1:
	s_clause 0x1
	s_load_dwordx8 s[20:27], s[4:5], 0x20
	s_load_dwordx4 s[0:3], s[4:5], 0x40
	v_lshl_add_u32 v8, v1, 4, v0
	v_and_b32_e32 v9, 3, v0
	v_lshlrev_b32_e32 v14, 1, v0
	v_lshl_add_u32 v15, v1, 3, 0x200
	v_and_b32_e32 v10, 63, v8
	v_lshrrev_b32_e32 v2, 2, v8
	v_lshlrev_b32_e32 v11, 1, v9
	v_lshrrev_b32_e32 v8, 6, v8
	v_add_co_u32 v6, s33, s6, v10
	v_add_co_ci_u32_e64 v7, null, s7, 0, s33
	v_lshlrev_b32_e32 v10, 1, v10
	v_lshl_or_b32 v11, v2, 3, v11
	v_lshlrev_b32_e32 v18, 1, v8
	s_waitcnt lgkmcnt(0)
	s_add_u32 s20, s20, s34
	s_addc_u32 s21, s21, s35
	s_add_u32 s26, s26, s34
	s_addc_u32 s27, s27, s35
	v_mad_u64_u32 v[4:5], null, s0, v9, v[2:3]
	s_load_dwordx2 s[26:27], s[26:27], 0x0
	v_mul_lo_u32 v12, s23, v6
	v_mul_lo_u32 v13, s22, v7
	v_mad_u64_u32 v[6:7], null, s22, v6, 0
	v_lshl_or_b32 v16, v8, 7, v10
	v_mov_b32_e32 v2, v5
	s_load_dwordx2 s[20:21], s[20:21], 0x0
	s_lshl_b64 s[2:3], s[2:3], 1
	v_add_nc_u32_e32 v17, 0x200, v11
	v_mov_b32_e32 v10, 0
	v_add3_u32 v7, v7, v13, v12
	v_mad_u64_u32 v[8:9], null, s1, v9, v[2:3]
	v_mov_b32_e32 v9, 0
	v_mov_b32_e32 v11, 0
	v_lshlrev_b64 v[5:6], 1, v[6:7]
	v_add_co_u32 v7, vcc_lo, v4, s28
	v_mov_b32_e32 v12, 0
	v_add_co_ci_u32_e64 v8, null, s29, v8, vcc_lo
	s_waitcnt lgkmcnt(0)
	s_add_u32 s22, s26, s2
	s_addc_u32 s23, s27, s3
	s_lshl_b64 s[2:3], s[24:25], 1
	v_mov_b32_e32 v13, 0
	v_add_co_u32 v2, vcc_lo, v5, s2
	v_add_co_ci_u32_e64 v6, null, s3, v6, vcc_lo
	v_lshlrev_b64 v[4:5], 1, v[7:8]
	v_add_co_u32 v2, vcc_lo, v2, v18
	v_add_co_ci_u32_e64 v7, null, 0, v6, vcc_lo
	v_mov_b32_e32 v8, 0
	v_add_co_u32 v4, vcc_lo, s22, v4
	v_add_co_ci_u32_e64 v5, null, s23, v5, vcc_lo
	v_add_co_u32 v6, vcc_lo, s20, v2
	v_add_co_ci_u32_e64 v7, null, s21, v7, vcc_lo
	v_mov_b32_e32 v2, 0
	s_lshl_b64 s[2:3], s[0:1], 3
	s_mov_b64 s[20:21], 0
.LBB65_2:                               ; =>This Inner Loop Header: Depth=1
	flat_load_ushort v18, v[6:7]
	s_add_u32 s20, s20, 4
	s_addc_u32 s21, s21, 0
	v_add_co_u32 v6, vcc_lo, v6, 8
	v_cmp_lt_i64_e64 s0, s[20:21], s[30:31]
	v_add_co_ci_u32_e64 v7, null, 0, v7, vcc_lo
	s_and_b32 vcc_lo, exec_lo, s0
	s_waitcnt vmcnt(0) lgkmcnt(0)
	ds_write_b16 v16, v18
	flat_load_ushort v18, v[4:5]
	v_add_co_u32 v4, s0, v4, s2
	v_add_co_ci_u32_e64 v5, null, s3, v5, s0
	s_waitcnt vmcnt(0) lgkmcnt(0)
	ds_write_b16 v17, v18
	s_waitcnt lgkmcnt(0)
	s_barrier
	buffer_gl0_inv
	ds_read_u16 v26, v14 offset:32
	ds_read_u16 v27, v14 offset:96
	;; [unrolled: 1-line block ×8, first 2 shown]
	ds_read2_b64 v[18:21], v15 offset1:16
	ds_read2_b64 v[22:25], v15 offset0:32 offset1:48
	s_waitcnt lgkmcnt(9)
	ds_read_u16_d16_hi v26, v14
	s_waitcnt lgkmcnt(9)
	ds_read_u16_d16_hi v27, v14 offset:64
	s_waitcnt lgkmcnt(9)
	ds_read_u16_d16_hi v28, v14 offset:128
	;; [unrolled: 2-line block ×7, first 2 shown]
	s_waitcnt lgkmcnt(0)
	s_barrier
	buffer_gl0_inv
	v_pk_fma_f16 v3, v26, v18, v3 op_sel_hi:[1,0,1]
	v_pk_fma_f16 v13, v27, v18, v13 op_sel_hi:[1,0,1]
	;; [unrolled: 1-line block ×8, first 2 shown]
	v_pk_fma_f16 v3, v28, v18, v3 op_sel:[0,1,0]
	v_pk_fma_f16 v13, v29, v18, v13 op_sel:[0,1,0]
	;; [unrolled: 1-line block ×8, first 2 shown]
	v_pk_fma_f16 v3, v30, v19, v3 op_sel_hi:[1,0,1]
	v_pk_fma_f16 v13, v31, v19, v13 op_sel_hi:[1,0,1]
	v_pk_fma_f16 v12, v30, v21, v12 op_sel_hi:[1,0,1]
	v_pk_fma_f16 v11, v31, v21, v11 op_sel_hi:[1,0,1]
	v_pk_fma_f16 v10, v30, v23, v10 op_sel_hi:[1,0,1]
	v_pk_fma_f16 v9, v31, v23, v9 op_sel_hi:[1,0,1]
	v_pk_fma_f16 v8, v30, v25, v8 op_sel_hi:[1,0,1]
	v_pk_fma_f16 v2, v31, v25, v2 op_sel_hi:[1,0,1]
	v_pk_fma_f16 v3, v32, v19, v3 op_sel:[0,1,0]
	v_pk_fma_f16 v13, v33, v19, v13 op_sel:[0,1,0]
	v_pk_fma_f16 v12, v32, v21, v12 op_sel:[0,1,0]
	v_pk_fma_f16 v11, v33, v21, v11 op_sel:[0,1,0]
	v_pk_fma_f16 v10, v32, v23, v10 op_sel:[0,1,0]
	v_pk_fma_f16 v9, v33, v23, v9 op_sel:[0,1,0]
	v_pk_fma_f16 v8, v32, v25, v8 op_sel:[0,1,0]
	v_pk_fma_f16 v2, v33, v25, v2 op_sel:[0,1,0]
	s_cbranch_vccnz .LBB65_2
	s_branch .LBB65_4
.LBB65_3:
	v_mov_b32_e32 v13, 0
	v_mov_b32_e32 v12, 0
	;; [unrolled: 1-line block ×7, first 2 shown]
.LBB65_4:
	s_clause 0x1
	s_load_dword s1, s[4:5], 0x50
	s_load_dword s0, s[4:5], 0x18
	v_add_co_u32 v17, s4, s28, v1
	v_add_co_ci_u32_e64 v21, null, s29, 0, s4
	v_add_co_u32 v0, s4, s6, v0
	v_add_co_ci_u32_e64 v1, null, s7, 0, s4
	v_mul_lo_u32 v19, v21, s8
	v_mul_lo_u32 v20, v17, s9
	s_lshl_b64 s[2:3], s[10:11], 1
	v_lshlrev_b64 v[0:1], 1, v[0:1]
	v_lshrrev_b32_e32 v18, 16, v3
	v_lshrrev_b32_e32 v16, 16, v13
	;; [unrolled: 1-line block ×6, first 2 shown]
	s_waitcnt lgkmcnt(0)
	v_cmp_neq_f16_e64 s4, s1, 0
	v_lshrrev_b32_e32 v5, 16, v8
	v_lshrrev_b32_e32 v4, 16, v2
	s_add_u32 s2, s18, s2
	s_addc_u32 s3, s19, s3
	s_and_b32 vcc_lo, exec_lo, s4
	s_mov_b32 s4, 0
	s_cbranch_vccnz .LBB65_8
; %bb.5:
	v_mad_u64_u32 v[22:23], null, v17, s8, 0
	s_lshl_b64 s[6:7], s[8:9], 5
	v_mul_f16_sdwa v26, s0, v3 dst_sel:DWORD dst_unused:UNUSED_PAD src0_sel:DWORD src1_sel:WORD_1
	v_mul_f16_e32 v27, s0, v3
	v_mul_f16_sdwa v28, s0, v13 dst_sel:DWORD dst_unused:UNUSED_PAD src0_sel:DWORD src1_sel:WORD_1
	v_mul_f16_e32 v29, s0, v13
	v_mul_f16_sdwa v30, s0, v12 dst_sel:DWORD dst_unused:UNUSED_PAD src0_sel:DWORD src1_sel:WORD_1
	v_add3_u32 v23, v23, v20, v19
	v_mul_f16_e32 v31, s0, v12
	v_mul_f16_sdwa v32, s0, v11 dst_sel:DWORD dst_unused:UNUSED_PAD src0_sel:DWORD src1_sel:WORD_1
	v_mul_f16_e32 v33, s0, v11
	v_lshlrev_b64 v[22:23], 1, v[22:23]
	v_add_co_u32 v22, vcc_lo, s2, v22
	v_add_co_ci_u32_e64 v23, null, s3, v23, vcc_lo
	v_add_co_u32 v34, vcc_lo, v22, s6
	v_add_co_ci_u32_e64 v35, null, s7, v23, vcc_lo
	;; [unrolled: 2-line block ×4, first 2 shown]
	flat_store_short v[22:23], v26
	flat_store_short v[22:23], v27 offset:32
	flat_store_short v[22:23], v28 offset:64
	;; [unrolled: 1-line block ×3, first 2 shown]
	flat_store_short v[24:25], v30
	flat_store_short v[24:25], v31 offset:32
	v_add_co_u32 v26, vcc_lo, v34, s6
	v_add_co_ci_u32_e64 v27, null, s7, v35, vcc_lo
	v_mul_f16_sdwa v28, s0, v10 dst_sel:DWORD dst_unused:UNUSED_PAD src0_sel:DWORD src1_sel:WORD_1
	v_add_co_u32 v22, vcc_lo, v26, v0
	v_add_co_ci_u32_e64 v23, null, v27, v1, vcc_lo
	v_mul_f16_e32 v29, s0, v10
	v_mul_f16_sdwa v30, s0, v9 dst_sel:DWORD dst_unused:UNUSED_PAD src0_sel:DWORD src1_sel:WORD_1
	flat_store_short v[24:25], v32 offset:64
	flat_store_short v[24:25], v33 offset:96
	flat_store_short v[22:23], v28
	flat_store_short v[22:23], v29 offset:32
	flat_store_short v[22:23], v30 offset:64
	v_add_co_u32 v24, vcc_lo, v26, s6
	v_add_co_ci_u32_e64 v25, null, s7, v27, vcc_lo
	v_mul_f16_e32 v28, s0, v9
	v_add_co_u32 v24, vcc_lo, v24, v0
	v_mul_f16_sdwa v26, s0, v8 dst_sel:DWORD dst_unused:UNUSED_PAD src0_sel:DWORD src1_sel:WORD_1
	v_add_co_ci_u32_e64 v25, null, v25, v1, vcc_lo
	v_mul_f16_e32 v27, s0, v8
	v_mul_f16_sdwa v29, s0, v2 dst_sel:DWORD dst_unused:UNUSED_PAD src0_sel:DWORD src1_sel:WORD_1
	v_mul_f16_e32 v30, s0, v2
	flat_store_short v[22:23], v28 offset:96
	flat_store_short v[24:25], v26
	flat_store_short v[24:25], v27 offset:32
	flat_store_short v[24:25], v29 offset:64
	;; [unrolled: 1-line block ×3, first 2 shown]
	s_andn2_b32 vcc_lo, exec_lo, s4
	s_cbranch_vccnz .LBB65_7
.LBB65_6:
	v_mul_lo_u32 v23, v21, s14
	v_mul_lo_u32 v24, v17, s15
	v_mad_u64_u32 v[21:22], null, v17, s14, 0
	s_lshl_b64 s[4:5], s[16:17], 1
	s_add_u32 s4, s12, s4
	s_addc_u32 s5, s13, s5
	v_add3_u32 v22, v22, v24, v23
	v_mad_u64_u32 v[23:24], null, v17, s8, 0
	v_lshlrev_b64 v[21:22], 1, v[21:22]
	v_add3_u32 v24, v24, v20, v19
	v_add_co_u32 v25, vcc_lo, s4, v21
	v_add_co_ci_u32_e64 v26, null, s5, v22, vcc_lo
	v_lshlrev_b64 v[19:20], 1, v[23:24]
	v_add_co_u32 v21, vcc_lo, v25, v0
	v_add_co_ci_u32_e64 v22, null, v26, v1, vcc_lo
	s_lshl_b64 s[4:5], s[8:9], 5
	v_add_co_u32 v23, vcc_lo, s2, v19
	flat_load_ushort v27, v[21:22]
	v_add_co_ci_u32_e64 v24, null, s3, v20, vcc_lo
	v_add_co_u32 v19, vcc_lo, v23, v0
	s_lshl_b64 s[2:3], s[14:15], 5
	v_add_co_ci_u32_e64 v20, null, v24, v1, vcc_lo
	s_waitcnt vmcnt(0) lgkmcnt(0)
	v_mul_f16_e32 v17, s1, v27
	v_fmac_f16_e32 v17, s0, v18
	flat_store_short v[19:20], v17
	flat_load_ushort v17, v[21:22] offset:32
	s_waitcnt vmcnt(0) lgkmcnt(0)
	v_mul_f16_e32 v17, s1, v17
	v_fmac_f16_e32 v17, s0, v3
	flat_store_short v[19:20], v17 offset:32
	flat_load_ushort v3, v[21:22] offset:64
	s_waitcnt vmcnt(0) lgkmcnt(0)
	v_mul_f16_e32 v3, s1, v3
	v_fmac_f16_e32 v3, s0, v16
	flat_store_short v[19:20], v3 offset:64
	flat_load_ushort v3, v[21:22] offset:96
	v_add_co_u32 v21, vcc_lo, v25, s2
	v_add_co_ci_u32_e64 v22, null, s3, v26, vcc_lo
	v_add_co_u32 v16, vcc_lo, v21, v0
	v_add_co_ci_u32_e64 v17, null, v22, v1, vcc_lo
	s_waitcnt vmcnt(0) lgkmcnt(0)
	v_mul_f16_e32 v3, s1, v3
	v_fmac_f16_e32 v3, s0, v13
	v_add_co_u32 v13, vcc_lo, v23, s4
	flat_store_short v[19:20], v3 offset:96
	flat_load_ushort v3, v[16:17]
	v_add_co_ci_u32_e64 v20, null, s5, v24, vcc_lo
	v_add_co_u32 v18, vcc_lo, v13, v0
	v_add_co_ci_u32_e64 v19, null, v20, v1, vcc_lo
	s_waitcnt vmcnt(0) lgkmcnt(0)
	v_mul_f16_e32 v3, s1, v3
	v_fmac_f16_e32 v3, s0, v15
	v_add_co_u32 v15, vcc_lo, v21, s2
	flat_store_short v[18:19], v3
	flat_load_ushort v3, v[16:17] offset:32
	s_waitcnt vmcnt(0) lgkmcnt(0)
	v_mul_f16_e32 v3, s1, v3
	v_fmac_f16_e32 v3, s0, v12
	flat_store_short v[18:19], v3 offset:32
	flat_load_ushort v3, v[16:17] offset:64
	s_waitcnt vmcnt(0) lgkmcnt(0)
	v_mul_f16_e32 v3, s1, v3
	v_fmac_f16_e32 v3, s0, v14
	flat_store_short v[18:19], v3 offset:64
	flat_load_ushort v3, v[16:17] offset:96
	v_add_co_ci_u32_e64 v16, null, s3, v22, vcc_lo
	s_waitcnt vmcnt(0) lgkmcnt(0)
	v_mul_f16_e32 v3, s1, v3
	v_fmac_f16_e32 v3, s0, v11
	v_add_co_u32 v11, vcc_lo, v15, v0
	v_add_co_ci_u32_e64 v12, null, v16, v1, vcc_lo
	flat_store_short v[18:19], v3 offset:96
	v_add_co_u32 v17, vcc_lo, v13, s4
	flat_load_ushort v3, v[11:12]
	v_add_co_ci_u32_e64 v18, null, s5, v20, vcc_lo
	v_add_co_u32 v13, vcc_lo, v17, v0
	v_add_co_ci_u32_e64 v14, null, v18, v1, vcc_lo
	s_waitcnt vmcnt(0) lgkmcnt(0)
	v_mul_f16_e32 v3, s1, v3
	v_fmac_f16_e32 v3, s0, v7
	flat_store_short v[13:14], v3
	flat_load_ushort v3, v[11:12] offset:32
	s_waitcnt vmcnt(0) lgkmcnt(0)
	v_mul_f16_e32 v3, s1, v3
	v_fmac_f16_e32 v3, s0, v10
	flat_store_short v[13:14], v3 offset:32
	flat_load_ushort v3, v[11:12] offset:64
	s_waitcnt vmcnt(0) lgkmcnt(0)
	v_mul_f16_e32 v3, s1, v3
	v_fmac_f16_e32 v3, s0, v6
	v_add_co_u32 v6, vcc_lo, v15, s2
	v_add_co_ci_u32_e64 v7, null, s3, v16, vcc_lo
	flat_store_short v[13:14], v3 offset:64
	flat_load_ushort v3, v[11:12] offset:96
	v_add_co_u32 v6, vcc_lo, v6, v0
	v_add_co_ci_u32_e64 v7, null, v7, v1, vcc_lo
	s_waitcnt vmcnt(0) lgkmcnt(0)
	v_mul_f16_e32 v3, s1, v3
	v_fmac_f16_e32 v3, s0, v9
	v_add_co_u32 v9, vcc_lo, v17, s4
	v_add_co_ci_u32_e64 v10, null, s5, v18, vcc_lo
	flat_store_short v[13:14], v3 offset:96
	flat_load_ushort v3, v[6:7]
	v_add_co_u32 v0, vcc_lo, v9, v0
	v_add_co_ci_u32_e64 v1, null, v10, v1, vcc_lo
	s_waitcnt vmcnt(0) lgkmcnt(0)
	v_mul_f16_e32 v3, s1, v3
	v_fmac_f16_e32 v3, s0, v5
	flat_store_short v[0:1], v3
	flat_load_ushort v3, v[6:7] offset:32
	s_waitcnt vmcnt(0) lgkmcnt(0)
	v_mul_f16_e32 v3, s1, v3
	v_fmac_f16_e32 v3, s0, v8
	flat_store_short v[0:1], v3 offset:32
	flat_load_ushort v3, v[6:7] offset:64
	s_waitcnt vmcnt(0) lgkmcnt(0)
	v_mul_f16_e32 v3, s1, v3
	v_fmac_f16_e32 v3, s0, v4
	flat_store_short v[0:1], v3 offset:64
	;; [unrolled: 5-line block ×3, first 2 shown]
.LBB65_7:
	s_endpgm
.LBB65_8:
	s_branch .LBB65_6
	.section	.rodata,"a",@progbits
	.p2align	6, 0x0
	.amdhsa_kernel _ZN12_GLOBAL__N_127rocblas_gemm_batched_kernelIDF16_Li16ELi16ELi64ELi64ELi4ELi64ELi4ELi4ELi64ELc84ELc67EKPKDF16_S3_KPDF16_EEvlllT_PT11_llS8_llS6_PT12_llPT13_lli
		.amdhsa_group_segment_fixed_size 1024
		.amdhsa_private_segment_fixed_size 0
		.amdhsa_kernarg_size 140
		.amdhsa_user_sgpr_count 6
		.amdhsa_user_sgpr_private_segment_buffer 1
		.amdhsa_user_sgpr_dispatch_ptr 0
		.amdhsa_user_sgpr_queue_ptr 0
		.amdhsa_user_sgpr_kernarg_segment_ptr 1
		.amdhsa_user_sgpr_dispatch_id 0
		.amdhsa_user_sgpr_flat_scratch_init 0
		.amdhsa_user_sgpr_private_segment_size 0
		.amdhsa_wavefront_size32 1
		.amdhsa_uses_dynamic_stack 0
		.amdhsa_system_sgpr_private_segment_wavefront_offset 0
		.amdhsa_system_sgpr_workgroup_id_x 1
		.amdhsa_system_sgpr_workgroup_id_y 1
		.amdhsa_system_sgpr_workgroup_id_z 1
		.amdhsa_system_sgpr_workgroup_info 0
		.amdhsa_system_vgpr_workitem_id 1
		.amdhsa_next_free_vgpr 36
		.amdhsa_next_free_sgpr 36
		.amdhsa_reserve_vcc 1
		.amdhsa_reserve_flat_scratch 0
		.amdhsa_float_round_mode_32 0
		.amdhsa_float_round_mode_16_64 0
		.amdhsa_float_denorm_mode_32 3
		.amdhsa_float_denorm_mode_16_64 3
		.amdhsa_dx10_clamp 1
		.amdhsa_ieee_mode 1
		.amdhsa_fp16_overflow 0
		.amdhsa_workgroup_processor_mode 1
		.amdhsa_memory_ordered 1
		.amdhsa_forward_progress 1
		.amdhsa_shared_vgpr_count 0
		.amdhsa_exception_fp_ieee_invalid_op 0
		.amdhsa_exception_fp_denorm_src 0
		.amdhsa_exception_fp_ieee_div_zero 0
		.amdhsa_exception_fp_ieee_overflow 0
		.amdhsa_exception_fp_ieee_underflow 0
		.amdhsa_exception_fp_ieee_inexact 0
		.amdhsa_exception_int_div_zero 0
	.end_amdhsa_kernel
	.section	.text._ZN12_GLOBAL__N_127rocblas_gemm_batched_kernelIDF16_Li16ELi16ELi64ELi64ELi4ELi64ELi4ELi4ELi64ELc84ELc67EKPKDF16_S3_KPDF16_EEvlllT_PT11_llS8_llS6_PT12_llPT13_lli,"axG",@progbits,_ZN12_GLOBAL__N_127rocblas_gemm_batched_kernelIDF16_Li16ELi16ELi64ELi64ELi4ELi64ELi4ELi4ELi64ELc84ELc67EKPKDF16_S3_KPDF16_EEvlllT_PT11_llS8_llS6_PT12_llPT13_lli,comdat
.Lfunc_end65:
	.size	_ZN12_GLOBAL__N_127rocblas_gemm_batched_kernelIDF16_Li16ELi16ELi64ELi64ELi4ELi64ELi4ELi4ELi64ELc84ELc67EKPKDF16_S3_KPDF16_EEvlllT_PT11_llS8_llS6_PT12_llPT13_lli, .Lfunc_end65-_ZN12_GLOBAL__N_127rocblas_gemm_batched_kernelIDF16_Li16ELi16ELi64ELi64ELi4ELi64ELi4ELi4ELi64ELc84ELc67EKPKDF16_S3_KPDF16_EEvlllT_PT11_llS8_llS6_PT12_llPT13_lli
                                        ; -- End function
	.set _ZN12_GLOBAL__N_127rocblas_gemm_batched_kernelIDF16_Li16ELi16ELi64ELi64ELi4ELi64ELi4ELi4ELi64ELc84ELc67EKPKDF16_S3_KPDF16_EEvlllT_PT11_llS8_llS6_PT12_llPT13_lli.num_vgpr, 36
	.set _ZN12_GLOBAL__N_127rocblas_gemm_batched_kernelIDF16_Li16ELi16ELi64ELi64ELi4ELi64ELi4ELi4ELi64ELc84ELc67EKPKDF16_S3_KPDF16_EEvlllT_PT11_llS8_llS6_PT12_llPT13_lli.num_agpr, 0
	.set _ZN12_GLOBAL__N_127rocblas_gemm_batched_kernelIDF16_Li16ELi16ELi64ELi64ELi4ELi64ELi4ELi4ELi64ELc84ELc67EKPKDF16_S3_KPDF16_EEvlllT_PT11_llS8_llS6_PT12_llPT13_lli.numbered_sgpr, 36
	.set _ZN12_GLOBAL__N_127rocblas_gemm_batched_kernelIDF16_Li16ELi16ELi64ELi64ELi4ELi64ELi4ELi4ELi64ELc84ELc67EKPKDF16_S3_KPDF16_EEvlllT_PT11_llS8_llS6_PT12_llPT13_lli.num_named_barrier, 0
	.set _ZN12_GLOBAL__N_127rocblas_gemm_batched_kernelIDF16_Li16ELi16ELi64ELi64ELi4ELi64ELi4ELi4ELi64ELc84ELc67EKPKDF16_S3_KPDF16_EEvlllT_PT11_llS8_llS6_PT12_llPT13_lli.private_seg_size, 0
	.set _ZN12_GLOBAL__N_127rocblas_gemm_batched_kernelIDF16_Li16ELi16ELi64ELi64ELi4ELi64ELi4ELi4ELi64ELc84ELc67EKPKDF16_S3_KPDF16_EEvlllT_PT11_llS8_llS6_PT12_llPT13_lli.uses_vcc, 1
	.set _ZN12_GLOBAL__N_127rocblas_gemm_batched_kernelIDF16_Li16ELi16ELi64ELi64ELi4ELi64ELi4ELi4ELi64ELc84ELc67EKPKDF16_S3_KPDF16_EEvlllT_PT11_llS8_llS6_PT12_llPT13_lli.uses_flat_scratch, 0
	.set _ZN12_GLOBAL__N_127rocblas_gemm_batched_kernelIDF16_Li16ELi16ELi64ELi64ELi4ELi64ELi4ELi4ELi64ELc84ELc67EKPKDF16_S3_KPDF16_EEvlllT_PT11_llS8_llS6_PT12_llPT13_lli.has_dyn_sized_stack, 0
	.set _ZN12_GLOBAL__N_127rocblas_gemm_batched_kernelIDF16_Li16ELi16ELi64ELi64ELi4ELi64ELi4ELi4ELi64ELc84ELc67EKPKDF16_S3_KPDF16_EEvlllT_PT11_llS8_llS6_PT12_llPT13_lli.has_recursion, 0
	.set _ZN12_GLOBAL__N_127rocblas_gemm_batched_kernelIDF16_Li16ELi16ELi64ELi64ELi4ELi64ELi4ELi4ELi64ELc84ELc67EKPKDF16_S3_KPDF16_EEvlllT_PT11_llS8_llS6_PT12_llPT13_lli.has_indirect_call, 0
	.section	.AMDGPU.csdata,"",@progbits
; Kernel info:
; codeLenInByte = 2384
; TotalNumSgprs: 38
; NumVgprs: 36
; ScratchSize: 0
; MemoryBound: 0
; FloatMode: 240
; IeeeMode: 1
; LDSByteSize: 1024 bytes/workgroup (compile time only)
; SGPRBlocks: 0
; VGPRBlocks: 4
; NumSGPRsForWavesPerEU: 38
; NumVGPRsForWavesPerEU: 36
; Occupancy: 16
; WaveLimiterHint : 1
; COMPUTE_PGM_RSRC2:SCRATCH_EN: 0
; COMPUTE_PGM_RSRC2:USER_SGPR: 6
; COMPUTE_PGM_RSRC2:TRAP_HANDLER: 0
; COMPUTE_PGM_RSRC2:TGID_X_EN: 1
; COMPUTE_PGM_RSRC2:TGID_Y_EN: 1
; COMPUTE_PGM_RSRC2:TGID_Z_EN: 1
; COMPUTE_PGM_RSRC2:TIDIG_COMP_CNT: 1
	.section	.text._ZN12_GLOBAL__N_127rocblas_gemm_batched_kernelIDF16_Li16ELi16ELi32ELi32ELi8ELi32ELi8ELi8ELi32ELc78ELc78EKPKDF16_S3_KPDF16_EEvlllT_PT11_llS8_llS6_PT12_llPT13_lli,"axG",@progbits,_ZN12_GLOBAL__N_127rocblas_gemm_batched_kernelIDF16_Li16ELi16ELi32ELi32ELi8ELi32ELi8ELi8ELi32ELc78ELc78EKPKDF16_S3_KPDF16_EEvlllT_PT11_llS8_llS6_PT12_llPT13_lli,comdat
	.globl	_ZN12_GLOBAL__N_127rocblas_gemm_batched_kernelIDF16_Li16ELi16ELi32ELi32ELi8ELi32ELi8ELi8ELi32ELc78ELc78EKPKDF16_S3_KPDF16_EEvlllT_PT11_llS8_llS6_PT12_llPT13_lli ; -- Begin function _ZN12_GLOBAL__N_127rocblas_gemm_batched_kernelIDF16_Li16ELi16ELi32ELi32ELi8ELi32ELi8ELi8ELi32ELc78ELc78EKPKDF16_S3_KPDF16_EEvlllT_PT11_llS8_llS6_PT12_llPT13_lli
	.p2align	8
	.type	_ZN12_GLOBAL__N_127rocblas_gemm_batched_kernelIDF16_Li16ELi16ELi32ELi32ELi8ELi32ELi8ELi8ELi32ELc78ELc78EKPKDF16_S3_KPDF16_EEvlllT_PT11_llS8_llS6_PT12_llPT13_lli,@function
_ZN12_GLOBAL__N_127rocblas_gemm_batched_kernelIDF16_Li16ELi16ELi32ELi32ELi8ELi32ELi8ELi8ELi32ELc78ELc78EKPKDF16_S3_KPDF16_EEvlllT_PT11_llS8_llS6_PT12_llPT13_lli: ; @_ZN12_GLOBAL__N_127rocblas_gemm_batched_kernelIDF16_Li16ELi16ELi32ELi32ELi8ELi32ELi8ELi8ELi32ELc78ELc78EKPKDF16_S3_KPDF16_EEvlllT_PT11_llS8_llS6_PT12_llPT13_lli
; %bb.0:
	s_clause 0x1
	s_load_dwordx8 s[12:19], s[4:5], 0x58
	s_load_dwordx2 s[28:29], s[4:5], 0x10
	s_mov_b32 s9, 0
	s_mov_b32 s0, s7
	s_lshl_b64 s[34:35], s[8:9], 3
	s_load_dwordx4 s[8:11], s[4:5], 0x78
	s_waitcnt lgkmcnt(0)
	s_add_u32 s2, s12, s34
	s_addc_u32 s3, s13, s35
	s_add_u32 s18, s18, s34
	s_addc_u32 s19, s19, s35
	s_load_dwordx2 s[12:13], s[2:3], 0x0
	s_load_dwordx2 s[18:19], s[18:19], 0x0
	v_cmp_lt_i64_e64 s2, s[28:29], 1
	s_ashr_i32 s7, s6, 31
	s_ashr_i32 s1, s0, 31
	s_lshl_b64 s[6:7], s[6:7], 5
	s_lshl_b64 s[30:31], s[0:1], 5
	s_and_b32 vcc_lo, exec_lo, s2
	s_cbranch_vccnz .LBB66_3
; %bb.1:
	v_lshlrev_b32_e32 v2, 4, v1
	s_clause 0x1
	s_load_dwordx4 s[0:3], s[4:5], 0x40
	s_load_dwordx8 s[20:27], s[4:5], 0x20
	v_and_b32_e32 v4, 7, v0
	v_lshlrev_b32_e32 v8, 1, v0
	v_add_nc_u32_e32 v3, v2, v0
	v_add_nc_u32_e32 v9, 0x200, v2
	v_lshlrev_b32_e32 v7, 1, v4
	v_lshrrev_b32_e32 v5, 3, v3
	v_and_b32_e32 v12, 31, v3
	v_lshrrev_b32_e32 v13, 5, v3
	v_add_co_u32 v4, s33, v5, s30
	v_add_co_ci_u32_e64 v6, null, 0, s31, s33
	v_lshl_or_b32 v14, v5, 4, v7
	v_lshlrev_b32_e32 v10, 1, v12
	s_waitcnt lgkmcnt(0)
	v_mul_lo_u32 v11, s1, v4
	v_mul_lo_u32 v6, s0, v6
	v_mad_u64_u32 v[2:3], null, s0, v4, 0
	s_add_u32 s0, s20, s34
	v_mad_u64_u32 v[4:5], null, s22, v13, s[6:7]
	s_addc_u32 s1, s21, s35
	s_add_u32 s20, s26, s34
	s_addc_u32 s21, s27, s35
	v_add3_u32 v3, v3, v6, v11
	s_load_dwordx2 s[20:21], s[20:21], 0x0
	s_load_dwordx2 s[0:1], s[0:1], 0x0
	v_mad_u64_u32 v[5:6], null, s23, v13, v[5:6]
	v_lshlrev_b64 v[2:3], 1, v[2:3]
	s_lshl_b64 s[2:3], s[2:3], 1
	v_lshl_or_b32 v10, v13, 6, v10
	v_add_nc_u32_e32 v11, 0x200, v14
	v_add_co_u32 v6, vcc_lo, v2, s2
	v_add_co_ci_u32_e64 v13, null, s3, v3, vcc_lo
	v_add_co_u32 v2, vcc_lo, v4, v12
	v_add_co_ci_u32_e64 v3, null, 0, v5, vcc_lo
	v_add_co_u32 v6, vcc_lo, v6, v7
	v_add_co_ci_u32_e64 v7, null, 0, v13, vcc_lo
	v_lshlrev_b64 v[4:5], 1, v[2:3]
	s_lshl_b64 s[2:3], s[24:25], 1
	s_waitcnt lgkmcnt(0)
	v_add_co_u32 v2, vcc_lo, s20, v6
	s_add_u32 s0, s0, s2
	v_add_co_ci_u32_e64 v3, null, s21, v7, vcc_lo
	s_addc_u32 s1, s1, s3
	v_add_co_u32 v4, vcc_lo, s0, v4
	v_add_co_ci_u32_e64 v5, null, s1, v5, vcc_lo
	v_mov_b32_e32 v6, 0
	v_mov_b32_e32 v7, 0
	s_lshl_b64 s[2:3], s[22:23], 4
	s_mov_b64 s[20:21], 0
.LBB66_2:                               ; =>This Inner Loop Header: Depth=1
	flat_load_ushort v12, v[4:5]
	s_add_u32 s20, s20, 8
	s_addc_u32 s21, s21, 0
	v_add_co_u32 v4, vcc_lo, v4, s2
	v_cmp_lt_i64_e64 s0, s[20:21], s[28:29]
	v_add_co_ci_u32_e64 v5, null, s3, v5, vcc_lo
	s_and_b32 vcc_lo, exec_lo, s0
	s_waitcnt vmcnt(0) lgkmcnt(0)
	ds_write_b16 v10, v12
	flat_load_ushort v12, v[2:3]
	v_add_co_u32 v2, s0, v2, 16
	v_add_co_ci_u32_e64 v3, null, 0, v3, s0
	s_waitcnt vmcnt(0) lgkmcnt(0)
	ds_write_b16 v11, v12
	s_waitcnt lgkmcnt(0)
	s_barrier
	buffer_gl0_inv
	ds_read_u16 v20, v8 offset:32
	ds_read_u16 v21, v8 offset:96
	;; [unrolled: 1-line block ×3, first 2 shown]
	ds_read_b128 v[12:15], v9
	ds_read_b128 v[16:19], v9 offset:256
	ds_read_u16 v23, v8 offset:224
	ds_read_u16 v24, v8 offset:288
	;; [unrolled: 1-line block ×5, first 2 shown]
	s_waitcnt lgkmcnt(9)
	ds_read_u16_d16_hi v20, v8
	s_waitcnt lgkmcnt(9)
	ds_read_u16_d16_hi v21, v8 offset:64
	s_waitcnt lgkmcnt(9)
	ds_read_u16_d16_hi v22, v8 offset:128
	;; [unrolled: 2-line block ×7, first 2 shown]
	s_waitcnt lgkmcnt(0)
	s_barrier
	buffer_gl0_inv
	v_pk_fma_f16 v7, v20, v12, v7 op_sel_hi:[1,0,1]
	v_pk_fma_f16 v6, v20, v16, v6 op_sel_hi:[1,0,1]
	v_pk_fma_f16 v7, v21, v12, v7 op_sel:[0,1,0]
	v_pk_fma_f16 v6, v21, v16, v6 op_sel:[0,1,0]
	v_pk_fma_f16 v7, v22, v13, v7 op_sel_hi:[1,0,1]
	v_pk_fma_f16 v6, v22, v17, v6 op_sel_hi:[1,0,1]
	v_pk_fma_f16 v7, v23, v13, v7 op_sel:[0,1,0]
	v_pk_fma_f16 v6, v23, v17, v6 op_sel:[0,1,0]
	;; [unrolled: 4-line block ×4, first 2 shown]
	s_cbranch_vccnz .LBB66_2
	s_branch .LBB66_4
.LBB66_3:
	v_mov_b32_e32 v7, 0
	v_mov_b32_e32 v6, 0
.LBB66_4:
	s_clause 0x1
	s_load_dword s1, s[4:5], 0x50
	s_load_dword s0, s[4:5], 0x18
	v_add_co_u32 v3, s4, s30, v1
	v_add_co_ci_u32_e64 v9, null, s31, 0, s4
	v_add_co_u32 v0, s4, s6, v0
	v_add_co_ci_u32_e64 v1, null, s7, 0, s4
	v_mul_lo_u32 v5, v9, s8
	v_mul_lo_u32 v8, v3, s9
	s_lshl_b64 s[2:3], s[10:11], 1
	v_lshlrev_b64 v[0:1], 1, v[0:1]
	v_lshrrev_b32_e32 v4, 16, v7
	v_lshrrev_b32_e32 v2, 16, v6
	s_waitcnt lgkmcnt(0)
	s_add_u32 s2, s18, s2
	s_addc_u32 s3, s19, s3
	v_cmp_neq_f16_e64 s4, s1, 0
	s_and_b32 vcc_lo, exec_lo, s4
	s_mov_b32 s4, 0
	s_cbranch_vccnz .LBB66_8
; %bb.5:
	v_mad_u64_u32 v[10:11], null, v3, s8, 0
	s_lshl_b64 s[6:7], s[8:9], 5
	v_mul_f16_sdwa v14, s0, v7 dst_sel:DWORD dst_unused:UNUSED_PAD src0_sel:DWORD src1_sel:WORD_1
	v_mul_f16_e32 v15, s0, v7
	v_mul_f16_sdwa v16, s0, v6 dst_sel:DWORD dst_unused:UNUSED_PAD src0_sel:DWORD src1_sel:WORD_1
	v_mul_f16_e32 v17, s0, v6
	v_add3_u32 v11, v11, v8, v5
	v_lshlrev_b64 v[10:11], 1, v[10:11]
	v_add_co_u32 v10, vcc_lo, s2, v10
	v_add_co_ci_u32_e64 v11, null, s3, v11, vcc_lo
	v_add_co_u32 v12, vcc_lo, v10, s6
	v_add_co_ci_u32_e64 v13, null, s7, v11, vcc_lo
	;; [unrolled: 2-line block ×4, first 2 shown]
	flat_store_short v[10:11], v14
	flat_store_short v[10:11], v15 offset:32
	flat_store_short v[12:13], v16
	flat_store_short v[12:13], v17 offset:32
	s_andn2_b32 vcc_lo, exec_lo, s4
	s_cbranch_vccnz .LBB66_7
.LBB66_6:
	v_mul_lo_u32 v11, v9, s14
	v_mul_lo_u32 v12, v3, s15
	v_mad_u64_u32 v[9:10], null, v3, s14, 0
	s_lshl_b64 s[4:5], s[16:17], 1
	s_add_u32 s4, s12, s4
	s_addc_u32 s5, s13, s5
	v_add3_u32 v10, v10, v12, v11
	v_mad_u64_u32 v[11:12], null, v3, s8, 0
	v_lshlrev_b64 v[9:10], 1, v[9:10]
	v_add3_u32 v12, v12, v8, v5
	v_add_co_u32 v13, vcc_lo, s4, v9
	v_add_co_ci_u32_e64 v14, null, s5, v10, vcc_lo
	v_lshlrev_b64 v[11:12], 1, v[11:12]
	v_add_co_u32 v9, vcc_lo, v13, v0
	v_add_co_ci_u32_e64 v10, null, v14, v1, vcc_lo
	v_add_co_u32 v5, vcc_lo, s2, v11
	flat_load_ushort v15, v[9:10]
	v_add_co_ci_u32_e64 v8, null, s3, v12, vcc_lo
	v_add_co_u32 v11, vcc_lo, v5, v0
	s_lshl_b64 s[2:3], s[14:15], 5
	v_add_co_ci_u32_e64 v12, null, v8, v1, vcc_lo
	s_waitcnt vmcnt(0) lgkmcnt(0)
	v_mul_f16_e32 v3, s1, v15
	v_fmac_f16_e32 v3, s0, v4
	flat_store_short v[11:12], v3
	flat_load_ushort v3, v[9:10] offset:32
	s_waitcnt vmcnt(0) lgkmcnt(0)
	v_mul_f16_e32 v9, s1, v3
	v_add_co_u32 v3, vcc_lo, v13, s2
	v_add_co_ci_u32_e64 v4, null, s3, v14, vcc_lo
	v_fmac_f16_e32 v9, s0, v7
	v_add_co_u32 v3, vcc_lo, v3, v0
	v_add_co_ci_u32_e64 v4, null, v4, v1, vcc_lo
	flat_store_short v[11:12], v9 offset:32
	s_lshl_b64 s[2:3], s[8:9], 5
	flat_load_ushort v7, v[3:4]
	v_add_co_u32 v5, vcc_lo, v5, s2
	v_add_co_ci_u32_e64 v8, null, s3, v8, vcc_lo
	v_add_co_u32 v0, vcc_lo, v5, v0
	v_add_co_ci_u32_e64 v1, null, v8, v1, vcc_lo
	s_waitcnt vmcnt(0) lgkmcnt(0)
	v_mul_f16_e32 v7, s1, v7
	v_fmac_f16_e32 v7, s0, v2
	flat_store_short v[0:1], v7
	flat_load_ushort v2, v[3:4] offset:32
	s_waitcnt vmcnt(0) lgkmcnt(0)
	v_mul_f16_e32 v2, s1, v2
	v_fmac_f16_e32 v2, s0, v6
	flat_store_short v[0:1], v2 offset:32
.LBB66_7:
	s_endpgm
.LBB66_8:
	s_branch .LBB66_6
	.section	.rodata,"a",@progbits
	.p2align	6, 0x0
	.amdhsa_kernel _ZN12_GLOBAL__N_127rocblas_gemm_batched_kernelIDF16_Li16ELi16ELi32ELi32ELi8ELi32ELi8ELi8ELi32ELc78ELc78EKPKDF16_S3_KPDF16_EEvlllT_PT11_llS8_llS6_PT12_llPT13_lli
		.amdhsa_group_segment_fixed_size 1024
		.amdhsa_private_segment_fixed_size 0
		.amdhsa_kernarg_size 140
		.amdhsa_user_sgpr_count 6
		.amdhsa_user_sgpr_private_segment_buffer 1
		.amdhsa_user_sgpr_dispatch_ptr 0
		.amdhsa_user_sgpr_queue_ptr 0
		.amdhsa_user_sgpr_kernarg_segment_ptr 1
		.amdhsa_user_sgpr_dispatch_id 0
		.amdhsa_user_sgpr_flat_scratch_init 0
		.amdhsa_user_sgpr_private_segment_size 0
		.amdhsa_wavefront_size32 1
		.amdhsa_uses_dynamic_stack 0
		.amdhsa_system_sgpr_private_segment_wavefront_offset 0
		.amdhsa_system_sgpr_workgroup_id_x 1
		.amdhsa_system_sgpr_workgroup_id_y 1
		.amdhsa_system_sgpr_workgroup_id_z 1
		.amdhsa_system_sgpr_workgroup_info 0
		.amdhsa_system_vgpr_workitem_id 1
		.amdhsa_next_free_vgpr 28
		.amdhsa_next_free_sgpr 36
		.amdhsa_reserve_vcc 1
		.amdhsa_reserve_flat_scratch 0
		.amdhsa_float_round_mode_32 0
		.amdhsa_float_round_mode_16_64 0
		.amdhsa_float_denorm_mode_32 3
		.amdhsa_float_denorm_mode_16_64 3
		.amdhsa_dx10_clamp 1
		.amdhsa_ieee_mode 1
		.amdhsa_fp16_overflow 0
		.amdhsa_workgroup_processor_mode 1
		.amdhsa_memory_ordered 1
		.amdhsa_forward_progress 1
		.amdhsa_shared_vgpr_count 0
		.amdhsa_exception_fp_ieee_invalid_op 0
		.amdhsa_exception_fp_denorm_src 0
		.amdhsa_exception_fp_ieee_div_zero 0
		.amdhsa_exception_fp_ieee_overflow 0
		.amdhsa_exception_fp_ieee_underflow 0
		.amdhsa_exception_fp_ieee_inexact 0
		.amdhsa_exception_int_div_zero 0
	.end_amdhsa_kernel
	.section	.text._ZN12_GLOBAL__N_127rocblas_gemm_batched_kernelIDF16_Li16ELi16ELi32ELi32ELi8ELi32ELi8ELi8ELi32ELc78ELc78EKPKDF16_S3_KPDF16_EEvlllT_PT11_llS8_llS6_PT12_llPT13_lli,"axG",@progbits,_ZN12_GLOBAL__N_127rocblas_gemm_batched_kernelIDF16_Li16ELi16ELi32ELi32ELi8ELi32ELi8ELi8ELi32ELc78ELc78EKPKDF16_S3_KPDF16_EEvlllT_PT11_llS8_llS6_PT12_llPT13_lli,comdat
.Lfunc_end66:
	.size	_ZN12_GLOBAL__N_127rocblas_gemm_batched_kernelIDF16_Li16ELi16ELi32ELi32ELi8ELi32ELi8ELi8ELi32ELc78ELc78EKPKDF16_S3_KPDF16_EEvlllT_PT11_llS8_llS6_PT12_llPT13_lli, .Lfunc_end66-_ZN12_GLOBAL__N_127rocblas_gemm_batched_kernelIDF16_Li16ELi16ELi32ELi32ELi8ELi32ELi8ELi8ELi32ELc78ELc78EKPKDF16_S3_KPDF16_EEvlllT_PT11_llS8_llS6_PT12_llPT13_lli
                                        ; -- End function
	.set _ZN12_GLOBAL__N_127rocblas_gemm_batched_kernelIDF16_Li16ELi16ELi32ELi32ELi8ELi32ELi8ELi8ELi32ELc78ELc78EKPKDF16_S3_KPDF16_EEvlllT_PT11_llS8_llS6_PT12_llPT13_lli.num_vgpr, 28
	.set _ZN12_GLOBAL__N_127rocblas_gemm_batched_kernelIDF16_Li16ELi16ELi32ELi32ELi8ELi32ELi8ELi8ELi32ELc78ELc78EKPKDF16_S3_KPDF16_EEvlllT_PT11_llS8_llS6_PT12_llPT13_lli.num_agpr, 0
	.set _ZN12_GLOBAL__N_127rocblas_gemm_batched_kernelIDF16_Li16ELi16ELi32ELi32ELi8ELi32ELi8ELi8ELi32ELc78ELc78EKPKDF16_S3_KPDF16_EEvlllT_PT11_llS8_llS6_PT12_llPT13_lli.numbered_sgpr, 36
	.set _ZN12_GLOBAL__N_127rocblas_gemm_batched_kernelIDF16_Li16ELi16ELi32ELi32ELi8ELi32ELi8ELi8ELi32ELc78ELc78EKPKDF16_S3_KPDF16_EEvlllT_PT11_llS8_llS6_PT12_llPT13_lli.num_named_barrier, 0
	.set _ZN12_GLOBAL__N_127rocblas_gemm_batched_kernelIDF16_Li16ELi16ELi32ELi32ELi8ELi32ELi8ELi8ELi32ELc78ELc78EKPKDF16_S3_KPDF16_EEvlllT_PT11_llS8_llS6_PT12_llPT13_lli.private_seg_size, 0
	.set _ZN12_GLOBAL__N_127rocblas_gemm_batched_kernelIDF16_Li16ELi16ELi32ELi32ELi8ELi32ELi8ELi8ELi32ELc78ELc78EKPKDF16_S3_KPDF16_EEvlllT_PT11_llS8_llS6_PT12_llPT13_lli.uses_vcc, 1
	.set _ZN12_GLOBAL__N_127rocblas_gemm_batched_kernelIDF16_Li16ELi16ELi32ELi32ELi8ELi32ELi8ELi8ELi32ELc78ELc78EKPKDF16_S3_KPDF16_EEvlllT_PT11_llS8_llS6_PT12_llPT13_lli.uses_flat_scratch, 0
	.set _ZN12_GLOBAL__N_127rocblas_gemm_batched_kernelIDF16_Li16ELi16ELi32ELi32ELi8ELi32ELi8ELi8ELi32ELc78ELc78EKPKDF16_S3_KPDF16_EEvlllT_PT11_llS8_llS6_PT12_llPT13_lli.has_dyn_sized_stack, 0
	.set _ZN12_GLOBAL__N_127rocblas_gemm_batched_kernelIDF16_Li16ELi16ELi32ELi32ELi8ELi32ELi8ELi8ELi32ELc78ELc78EKPKDF16_S3_KPDF16_EEvlllT_PT11_llS8_llS6_PT12_llPT13_lli.has_recursion, 0
	.set _ZN12_GLOBAL__N_127rocblas_gemm_batched_kernelIDF16_Li16ELi16ELi32ELi32ELi8ELi32ELi8ELi8ELi32ELc78ELc78EKPKDF16_S3_KPDF16_EEvlllT_PT11_llS8_llS6_PT12_llPT13_lli.has_indirect_call, 0
	.section	.AMDGPU.csdata,"",@progbits
; Kernel info:
; codeLenInByte = 1480
; TotalNumSgprs: 38
; NumVgprs: 28
; ScratchSize: 0
; MemoryBound: 0
; FloatMode: 240
; IeeeMode: 1
; LDSByteSize: 1024 bytes/workgroup (compile time only)
; SGPRBlocks: 0
; VGPRBlocks: 3
; NumSGPRsForWavesPerEU: 38
; NumVGPRsForWavesPerEU: 28
; Occupancy: 16
; WaveLimiterHint : 1
; COMPUTE_PGM_RSRC2:SCRATCH_EN: 0
; COMPUTE_PGM_RSRC2:USER_SGPR: 6
; COMPUTE_PGM_RSRC2:TRAP_HANDLER: 0
; COMPUTE_PGM_RSRC2:TGID_X_EN: 1
; COMPUTE_PGM_RSRC2:TGID_Y_EN: 1
; COMPUTE_PGM_RSRC2:TGID_Z_EN: 1
; COMPUTE_PGM_RSRC2:TIDIG_COMP_CNT: 1
	.section	.text._ZN12_GLOBAL__N_127rocblas_gemm_batched_kernelIDF16_Li16ELi16ELi32ELi32ELi8ELi32ELi8ELi8ELi32ELc84ELc78EKPKDF16_S3_KPDF16_EEvlllT_PT11_llS8_llS6_PT12_llPT13_lli,"axG",@progbits,_ZN12_GLOBAL__N_127rocblas_gemm_batched_kernelIDF16_Li16ELi16ELi32ELi32ELi8ELi32ELi8ELi8ELi32ELc84ELc78EKPKDF16_S3_KPDF16_EEvlllT_PT11_llS8_llS6_PT12_llPT13_lli,comdat
	.globl	_ZN12_GLOBAL__N_127rocblas_gemm_batched_kernelIDF16_Li16ELi16ELi32ELi32ELi8ELi32ELi8ELi8ELi32ELc84ELc78EKPKDF16_S3_KPDF16_EEvlllT_PT11_llS8_llS6_PT12_llPT13_lli ; -- Begin function _ZN12_GLOBAL__N_127rocblas_gemm_batched_kernelIDF16_Li16ELi16ELi32ELi32ELi8ELi32ELi8ELi8ELi32ELc84ELc78EKPKDF16_S3_KPDF16_EEvlllT_PT11_llS8_llS6_PT12_llPT13_lli
	.p2align	8
	.type	_ZN12_GLOBAL__N_127rocblas_gemm_batched_kernelIDF16_Li16ELi16ELi32ELi32ELi8ELi32ELi8ELi8ELi32ELc84ELc78EKPKDF16_S3_KPDF16_EEvlllT_PT11_llS8_llS6_PT12_llPT13_lli,@function
_ZN12_GLOBAL__N_127rocblas_gemm_batched_kernelIDF16_Li16ELi16ELi32ELi32ELi8ELi32ELi8ELi8ELi32ELc84ELc78EKPKDF16_S3_KPDF16_EEvlllT_PT11_llS8_llS6_PT12_llPT13_lli: ; @_ZN12_GLOBAL__N_127rocblas_gemm_batched_kernelIDF16_Li16ELi16ELi32ELi32ELi8ELi32ELi8ELi8ELi32ELc84ELc78EKPKDF16_S3_KPDF16_EEvlllT_PT11_llS8_llS6_PT12_llPT13_lli
; %bb.0:
	s_clause 0x1
	s_load_dwordx8 s[12:19], s[4:5], 0x58
	s_load_dwordx2 s[28:29], s[4:5], 0x10
	s_mov_b32 s9, 0
	s_mov_b32 s0, s7
	s_lshl_b64 s[34:35], s[8:9], 3
	s_load_dwordx4 s[8:11], s[4:5], 0x78
	s_waitcnt lgkmcnt(0)
	s_add_u32 s2, s12, s34
	s_addc_u32 s3, s13, s35
	s_add_u32 s18, s18, s34
	s_addc_u32 s19, s19, s35
	s_load_dwordx2 s[12:13], s[2:3], 0x0
	s_load_dwordx2 s[18:19], s[18:19], 0x0
	v_cmp_lt_i64_e64 s2, s[28:29], 1
	s_ashr_i32 s7, s6, 31
	s_ashr_i32 s1, s0, 31
	s_lshl_b64 s[6:7], s[6:7], 5
	s_lshl_b64 s[30:31], s[0:1], 5
	s_and_b32 vcc_lo, exec_lo, s2
	s_cbranch_vccnz .LBB67_3
; %bb.1:
	v_lshlrev_b32_e32 v6, 4, v1
	s_clause 0x1
	s_load_dwordx8 s[20:27], s[4:5], 0x20
	s_load_dwordx4 s[0:3], s[4:5], 0x40
	v_and_b32_e32 v3, 7, v0
	v_add_nc_u32_e32 v2, v6, v0
	v_lshlrev_b32_e32 v12, 1, v3
	v_lshrrev_b32_e32 v7, 3, v2
	v_and_b32_e32 v8, 31, v2
	v_lshrrev_b32_e32 v13, 5, v2
	v_add_co_u32 v2, s33, v7, s30
	v_add_co_ci_u32_e64 v3, null, 0, s31, s33
	v_add_co_u32 v4, s33, s6, v8
	v_add_co_ci_u32_e64 v5, null, s7, 0, s33
	s_waitcnt lgkmcnt(0)
	v_mul_lo_u32 v9, s1, v2
	v_mul_lo_u32 v10, s0, v3
	v_mad_u64_u32 v[2:3], null, s0, v2, 0
	v_mul_lo_u32 v11, s23, v4
	v_mul_lo_u32 v14, s22, v5
	v_mad_u64_u32 v[4:5], null, s22, v4, 0
	s_add_u32 s20, s20, s34
	s_addc_u32 s21, s21, s35
	s_add_u32 s26, s26, s34
	v_add3_u32 v3, v3, v10, v9
	s_addc_u32 s27, s27, s35
	s_load_dwordx2 s[20:21], s[20:21], 0x0
	s_load_dwordx2 s[0:1], s[26:27], 0x0
	v_add3_u32 v5, v5, v14, v11
	v_lshlrev_b64 v[2:3], 1, v[2:3]
	s_lshl_b64 s[2:3], s[2:3], 1
	v_add_nc_u32_e32 v11, 0x200, v6
	v_lshlrev_b32_e32 v6, 1, v13
	v_lshlrev_b64 v[4:5], 1, v[4:5]
	v_lshlrev_b32_e32 v8, 1, v8
	v_add_co_u32 v2, vcc_lo, v2, s2
	v_add_co_ci_u32_e64 v3, null, s3, v3, vcc_lo
	s_lshl_b64 s[2:3], s[24:25], 1
	v_lshl_or_b32 v7, v7, 4, v12
	v_add_co_u32 v4, vcc_lo, v4, s2
	v_add_co_ci_u32_e64 v5, null, s3, v5, vcc_lo
	v_add_co_u32 v2, vcc_lo, v2, v12
	v_add_co_ci_u32_e64 v3, null, 0, v3, vcc_lo
	;; [unrolled: 2-line block ×3, first 2 shown]
	s_waitcnt lgkmcnt(0)
	v_add_co_u32 v2, vcc_lo, s0, v2
	v_add_co_ci_u32_e64 v3, null, s1, v3, vcc_lo
	v_add_co_u32 v4, vcc_lo, s20, v4
	v_lshl_or_b32 v8, v13, 6, v8
	v_add_nc_u32_e32 v9, 0x200, v7
	v_lshlrev_b32_e32 v10, 1, v0
	v_add_co_ci_u32_e64 v5, null, s21, v5, vcc_lo
	v_mov_b32_e32 v6, 0
	v_mov_b32_e32 v7, 0
	s_mov_b64 s[2:3], 0
.LBB67_2:                               ; =>This Inner Loop Header: Depth=1
	flat_load_ushort v12, v[4:5]
	s_add_u32 s2, s2, 8
	s_addc_u32 s3, s3, 0
	v_add_co_u32 v4, vcc_lo, v4, 16
	v_cmp_lt_i64_e64 s0, s[2:3], s[28:29]
	v_add_co_ci_u32_e64 v5, null, 0, v5, vcc_lo
	s_and_b32 vcc_lo, exec_lo, s0
	s_waitcnt vmcnt(0) lgkmcnt(0)
	ds_write_b16 v8, v12
	flat_load_ushort v12, v[2:3]
	v_add_co_u32 v2, s0, v2, 16
	v_add_co_ci_u32_e64 v3, null, 0, v3, s0
	s_waitcnt vmcnt(0) lgkmcnt(0)
	ds_write_b16 v9, v12
	s_waitcnt lgkmcnt(0)
	s_barrier
	buffer_gl0_inv
	ds_read_u16 v20, v10 offset:32
	ds_read_u16 v21, v10 offset:96
	;; [unrolled: 1-line block ×3, first 2 shown]
	ds_read_b128 v[12:15], v11
	ds_read_b128 v[16:19], v11 offset:256
	ds_read_u16 v23, v10 offset:224
	ds_read_u16 v24, v10 offset:288
	;; [unrolled: 1-line block ×5, first 2 shown]
	s_waitcnt lgkmcnt(9)
	ds_read_u16_d16_hi v20, v10
	s_waitcnt lgkmcnt(9)
	ds_read_u16_d16_hi v21, v10 offset:64
	s_waitcnt lgkmcnt(9)
	ds_read_u16_d16_hi v22, v10 offset:128
	;; [unrolled: 2-line block ×7, first 2 shown]
	s_waitcnt lgkmcnt(0)
	s_barrier
	buffer_gl0_inv
	v_pk_fma_f16 v7, v20, v12, v7 op_sel_hi:[1,0,1]
	v_pk_fma_f16 v6, v20, v16, v6 op_sel_hi:[1,0,1]
	v_pk_fma_f16 v7, v21, v12, v7 op_sel:[0,1,0]
	v_pk_fma_f16 v6, v21, v16, v6 op_sel:[0,1,0]
	v_pk_fma_f16 v7, v22, v13, v7 op_sel_hi:[1,0,1]
	v_pk_fma_f16 v6, v22, v17, v6 op_sel_hi:[1,0,1]
	v_pk_fma_f16 v7, v23, v13, v7 op_sel:[0,1,0]
	v_pk_fma_f16 v6, v23, v17, v6 op_sel:[0,1,0]
	;; [unrolled: 4-line block ×4, first 2 shown]
	s_cbranch_vccnz .LBB67_2
	s_branch .LBB67_4
.LBB67_3:
	v_mov_b32_e32 v7, 0
	v_mov_b32_e32 v6, 0
.LBB67_4:
	s_clause 0x1
	s_load_dword s1, s[4:5], 0x50
	s_load_dword s0, s[4:5], 0x18
	v_add_co_u32 v3, s4, s30, v1
	v_add_co_ci_u32_e64 v9, null, s31, 0, s4
	v_add_co_u32 v0, s4, s6, v0
	v_add_co_ci_u32_e64 v1, null, s7, 0, s4
	v_mul_lo_u32 v5, v9, s8
	v_mul_lo_u32 v8, v3, s9
	s_lshl_b64 s[2:3], s[10:11], 1
	v_lshlrev_b64 v[0:1], 1, v[0:1]
	v_lshrrev_b32_e32 v4, 16, v7
	v_lshrrev_b32_e32 v2, 16, v6
	s_waitcnt lgkmcnt(0)
	s_add_u32 s2, s18, s2
	s_addc_u32 s3, s19, s3
	v_cmp_neq_f16_e64 s4, s1, 0
	s_and_b32 vcc_lo, exec_lo, s4
	s_mov_b32 s4, 0
	s_cbranch_vccnz .LBB67_8
; %bb.5:
	v_mad_u64_u32 v[10:11], null, v3, s8, 0
	s_lshl_b64 s[6:7], s[8:9], 5
	v_mul_f16_sdwa v14, s0, v7 dst_sel:DWORD dst_unused:UNUSED_PAD src0_sel:DWORD src1_sel:WORD_1
	v_mul_f16_e32 v15, s0, v7
	v_mul_f16_sdwa v16, s0, v6 dst_sel:DWORD dst_unused:UNUSED_PAD src0_sel:DWORD src1_sel:WORD_1
	v_mul_f16_e32 v17, s0, v6
	v_add3_u32 v11, v11, v8, v5
	v_lshlrev_b64 v[10:11], 1, v[10:11]
	v_add_co_u32 v10, vcc_lo, s2, v10
	v_add_co_ci_u32_e64 v11, null, s3, v11, vcc_lo
	v_add_co_u32 v12, vcc_lo, v10, s6
	v_add_co_ci_u32_e64 v13, null, s7, v11, vcc_lo
	;; [unrolled: 2-line block ×4, first 2 shown]
	flat_store_short v[10:11], v14
	flat_store_short v[10:11], v15 offset:32
	flat_store_short v[12:13], v16
	flat_store_short v[12:13], v17 offset:32
	s_andn2_b32 vcc_lo, exec_lo, s4
	s_cbranch_vccnz .LBB67_7
.LBB67_6:
	v_mul_lo_u32 v11, v9, s14
	v_mul_lo_u32 v12, v3, s15
	v_mad_u64_u32 v[9:10], null, v3, s14, 0
	s_lshl_b64 s[4:5], s[16:17], 1
	s_add_u32 s4, s12, s4
	s_addc_u32 s5, s13, s5
	v_add3_u32 v10, v10, v12, v11
	v_mad_u64_u32 v[11:12], null, v3, s8, 0
	v_lshlrev_b64 v[9:10], 1, v[9:10]
	v_add3_u32 v12, v12, v8, v5
	v_add_co_u32 v13, vcc_lo, s4, v9
	v_add_co_ci_u32_e64 v14, null, s5, v10, vcc_lo
	v_lshlrev_b64 v[11:12], 1, v[11:12]
	v_add_co_u32 v9, vcc_lo, v13, v0
	v_add_co_ci_u32_e64 v10, null, v14, v1, vcc_lo
	v_add_co_u32 v5, vcc_lo, s2, v11
	flat_load_ushort v15, v[9:10]
	v_add_co_ci_u32_e64 v8, null, s3, v12, vcc_lo
	v_add_co_u32 v11, vcc_lo, v5, v0
	s_lshl_b64 s[2:3], s[14:15], 5
	v_add_co_ci_u32_e64 v12, null, v8, v1, vcc_lo
	s_waitcnt vmcnt(0) lgkmcnt(0)
	v_mul_f16_e32 v3, s1, v15
	v_fmac_f16_e32 v3, s0, v4
	flat_store_short v[11:12], v3
	flat_load_ushort v3, v[9:10] offset:32
	s_waitcnt vmcnt(0) lgkmcnt(0)
	v_mul_f16_e32 v9, s1, v3
	v_add_co_u32 v3, vcc_lo, v13, s2
	v_add_co_ci_u32_e64 v4, null, s3, v14, vcc_lo
	v_fmac_f16_e32 v9, s0, v7
	v_add_co_u32 v3, vcc_lo, v3, v0
	v_add_co_ci_u32_e64 v4, null, v4, v1, vcc_lo
	flat_store_short v[11:12], v9 offset:32
	s_lshl_b64 s[2:3], s[8:9], 5
	flat_load_ushort v7, v[3:4]
	v_add_co_u32 v5, vcc_lo, v5, s2
	v_add_co_ci_u32_e64 v8, null, s3, v8, vcc_lo
	v_add_co_u32 v0, vcc_lo, v5, v0
	v_add_co_ci_u32_e64 v1, null, v8, v1, vcc_lo
	s_waitcnt vmcnt(0) lgkmcnt(0)
	v_mul_f16_e32 v7, s1, v7
	v_fmac_f16_e32 v7, s0, v2
	flat_store_short v[0:1], v7
	flat_load_ushort v2, v[3:4] offset:32
	s_waitcnt vmcnt(0) lgkmcnt(0)
	v_mul_f16_e32 v2, s1, v2
	v_fmac_f16_e32 v2, s0, v6
	flat_store_short v[0:1], v2 offset:32
.LBB67_7:
	s_endpgm
.LBB67_8:
	s_branch .LBB67_6
	.section	.rodata,"a",@progbits
	.p2align	6, 0x0
	.amdhsa_kernel _ZN12_GLOBAL__N_127rocblas_gemm_batched_kernelIDF16_Li16ELi16ELi32ELi32ELi8ELi32ELi8ELi8ELi32ELc84ELc78EKPKDF16_S3_KPDF16_EEvlllT_PT11_llS8_llS6_PT12_llPT13_lli
		.amdhsa_group_segment_fixed_size 1024
		.amdhsa_private_segment_fixed_size 0
		.amdhsa_kernarg_size 140
		.amdhsa_user_sgpr_count 6
		.amdhsa_user_sgpr_private_segment_buffer 1
		.amdhsa_user_sgpr_dispatch_ptr 0
		.amdhsa_user_sgpr_queue_ptr 0
		.amdhsa_user_sgpr_kernarg_segment_ptr 1
		.amdhsa_user_sgpr_dispatch_id 0
		.amdhsa_user_sgpr_flat_scratch_init 0
		.amdhsa_user_sgpr_private_segment_size 0
		.amdhsa_wavefront_size32 1
		.amdhsa_uses_dynamic_stack 0
		.amdhsa_system_sgpr_private_segment_wavefront_offset 0
		.amdhsa_system_sgpr_workgroup_id_x 1
		.amdhsa_system_sgpr_workgroup_id_y 1
		.amdhsa_system_sgpr_workgroup_id_z 1
		.amdhsa_system_sgpr_workgroup_info 0
		.amdhsa_system_vgpr_workitem_id 1
		.amdhsa_next_free_vgpr 28
		.amdhsa_next_free_sgpr 36
		.amdhsa_reserve_vcc 1
		.amdhsa_reserve_flat_scratch 0
		.amdhsa_float_round_mode_32 0
		.amdhsa_float_round_mode_16_64 0
		.amdhsa_float_denorm_mode_32 3
		.amdhsa_float_denorm_mode_16_64 3
		.amdhsa_dx10_clamp 1
		.amdhsa_ieee_mode 1
		.amdhsa_fp16_overflow 0
		.amdhsa_workgroup_processor_mode 1
		.amdhsa_memory_ordered 1
		.amdhsa_forward_progress 1
		.amdhsa_shared_vgpr_count 0
		.amdhsa_exception_fp_ieee_invalid_op 0
		.amdhsa_exception_fp_denorm_src 0
		.amdhsa_exception_fp_ieee_div_zero 0
		.amdhsa_exception_fp_ieee_overflow 0
		.amdhsa_exception_fp_ieee_underflow 0
		.amdhsa_exception_fp_ieee_inexact 0
		.amdhsa_exception_int_div_zero 0
	.end_amdhsa_kernel
	.section	.text._ZN12_GLOBAL__N_127rocblas_gemm_batched_kernelIDF16_Li16ELi16ELi32ELi32ELi8ELi32ELi8ELi8ELi32ELc84ELc78EKPKDF16_S3_KPDF16_EEvlllT_PT11_llS8_llS6_PT12_llPT13_lli,"axG",@progbits,_ZN12_GLOBAL__N_127rocblas_gemm_batched_kernelIDF16_Li16ELi16ELi32ELi32ELi8ELi32ELi8ELi8ELi32ELc84ELc78EKPKDF16_S3_KPDF16_EEvlllT_PT11_llS8_llS6_PT12_llPT13_lli,comdat
.Lfunc_end67:
	.size	_ZN12_GLOBAL__N_127rocblas_gemm_batched_kernelIDF16_Li16ELi16ELi32ELi32ELi8ELi32ELi8ELi8ELi32ELc84ELc78EKPKDF16_S3_KPDF16_EEvlllT_PT11_llS8_llS6_PT12_llPT13_lli, .Lfunc_end67-_ZN12_GLOBAL__N_127rocblas_gemm_batched_kernelIDF16_Li16ELi16ELi32ELi32ELi8ELi32ELi8ELi8ELi32ELc84ELc78EKPKDF16_S3_KPDF16_EEvlllT_PT11_llS8_llS6_PT12_llPT13_lli
                                        ; -- End function
	.set _ZN12_GLOBAL__N_127rocblas_gemm_batched_kernelIDF16_Li16ELi16ELi32ELi32ELi8ELi32ELi8ELi8ELi32ELc84ELc78EKPKDF16_S3_KPDF16_EEvlllT_PT11_llS8_llS6_PT12_llPT13_lli.num_vgpr, 28
	.set _ZN12_GLOBAL__N_127rocblas_gemm_batched_kernelIDF16_Li16ELi16ELi32ELi32ELi8ELi32ELi8ELi8ELi32ELc84ELc78EKPKDF16_S3_KPDF16_EEvlllT_PT11_llS8_llS6_PT12_llPT13_lli.num_agpr, 0
	.set _ZN12_GLOBAL__N_127rocblas_gemm_batched_kernelIDF16_Li16ELi16ELi32ELi32ELi8ELi32ELi8ELi8ELi32ELc84ELc78EKPKDF16_S3_KPDF16_EEvlllT_PT11_llS8_llS6_PT12_llPT13_lli.numbered_sgpr, 36
	.set _ZN12_GLOBAL__N_127rocblas_gemm_batched_kernelIDF16_Li16ELi16ELi32ELi32ELi8ELi32ELi8ELi8ELi32ELc84ELc78EKPKDF16_S3_KPDF16_EEvlllT_PT11_llS8_llS6_PT12_llPT13_lli.num_named_barrier, 0
	.set _ZN12_GLOBAL__N_127rocblas_gemm_batched_kernelIDF16_Li16ELi16ELi32ELi32ELi8ELi32ELi8ELi8ELi32ELc84ELc78EKPKDF16_S3_KPDF16_EEvlllT_PT11_llS8_llS6_PT12_llPT13_lli.private_seg_size, 0
	.set _ZN12_GLOBAL__N_127rocblas_gemm_batched_kernelIDF16_Li16ELi16ELi32ELi32ELi8ELi32ELi8ELi8ELi32ELc84ELc78EKPKDF16_S3_KPDF16_EEvlllT_PT11_llS8_llS6_PT12_llPT13_lli.uses_vcc, 1
	.set _ZN12_GLOBAL__N_127rocblas_gemm_batched_kernelIDF16_Li16ELi16ELi32ELi32ELi8ELi32ELi8ELi8ELi32ELc84ELc78EKPKDF16_S3_KPDF16_EEvlllT_PT11_llS8_llS6_PT12_llPT13_lli.uses_flat_scratch, 0
	.set _ZN12_GLOBAL__N_127rocblas_gemm_batched_kernelIDF16_Li16ELi16ELi32ELi32ELi8ELi32ELi8ELi8ELi32ELc84ELc78EKPKDF16_S3_KPDF16_EEvlllT_PT11_llS8_llS6_PT12_llPT13_lli.has_dyn_sized_stack, 0
	.set _ZN12_GLOBAL__N_127rocblas_gemm_batched_kernelIDF16_Li16ELi16ELi32ELi32ELi8ELi32ELi8ELi8ELi32ELc84ELc78EKPKDF16_S3_KPDF16_EEvlllT_PT11_llS8_llS6_PT12_llPT13_lli.has_recursion, 0
	.set _ZN12_GLOBAL__N_127rocblas_gemm_batched_kernelIDF16_Li16ELi16ELi32ELi32ELi8ELi32ELi8ELi8ELi32ELc84ELc78EKPKDF16_S3_KPDF16_EEvlllT_PT11_llS8_llS6_PT12_llPT13_lli.has_indirect_call, 0
	.section	.AMDGPU.csdata,"",@progbits
; Kernel info:
; codeLenInByte = 1520
; TotalNumSgprs: 38
; NumVgprs: 28
; ScratchSize: 0
; MemoryBound: 0
; FloatMode: 240
; IeeeMode: 1
; LDSByteSize: 1024 bytes/workgroup (compile time only)
; SGPRBlocks: 0
; VGPRBlocks: 3
; NumSGPRsForWavesPerEU: 38
; NumVGPRsForWavesPerEU: 28
; Occupancy: 16
; WaveLimiterHint : 1
; COMPUTE_PGM_RSRC2:SCRATCH_EN: 0
; COMPUTE_PGM_RSRC2:USER_SGPR: 6
; COMPUTE_PGM_RSRC2:TRAP_HANDLER: 0
; COMPUTE_PGM_RSRC2:TGID_X_EN: 1
; COMPUTE_PGM_RSRC2:TGID_Y_EN: 1
; COMPUTE_PGM_RSRC2:TGID_Z_EN: 1
; COMPUTE_PGM_RSRC2:TIDIG_COMP_CNT: 1
	.section	.text._ZN12_GLOBAL__N_127rocblas_gemm_batched_kernelIDF16_Li16ELi16ELi32ELi32ELi8ELi32ELi8ELi8ELi32ELc78ELc84EKPKDF16_S3_KPDF16_EEvlllT_PT11_llS8_llS6_PT12_llPT13_lli,"axG",@progbits,_ZN12_GLOBAL__N_127rocblas_gemm_batched_kernelIDF16_Li16ELi16ELi32ELi32ELi8ELi32ELi8ELi8ELi32ELc78ELc84EKPKDF16_S3_KPDF16_EEvlllT_PT11_llS8_llS6_PT12_llPT13_lli,comdat
	.globl	_ZN12_GLOBAL__N_127rocblas_gemm_batched_kernelIDF16_Li16ELi16ELi32ELi32ELi8ELi32ELi8ELi8ELi32ELc78ELc84EKPKDF16_S3_KPDF16_EEvlllT_PT11_llS8_llS6_PT12_llPT13_lli ; -- Begin function _ZN12_GLOBAL__N_127rocblas_gemm_batched_kernelIDF16_Li16ELi16ELi32ELi32ELi8ELi32ELi8ELi8ELi32ELc78ELc84EKPKDF16_S3_KPDF16_EEvlllT_PT11_llS8_llS6_PT12_llPT13_lli
	.p2align	8
	.type	_ZN12_GLOBAL__N_127rocblas_gemm_batched_kernelIDF16_Li16ELi16ELi32ELi32ELi8ELi32ELi8ELi8ELi32ELc78ELc84EKPKDF16_S3_KPDF16_EEvlllT_PT11_llS8_llS6_PT12_llPT13_lli,@function
_ZN12_GLOBAL__N_127rocblas_gemm_batched_kernelIDF16_Li16ELi16ELi32ELi32ELi8ELi32ELi8ELi8ELi32ELc78ELc84EKPKDF16_S3_KPDF16_EEvlllT_PT11_llS8_llS6_PT12_llPT13_lli: ; @_ZN12_GLOBAL__N_127rocblas_gemm_batched_kernelIDF16_Li16ELi16ELi32ELi32ELi8ELi32ELi8ELi8ELi32ELc78ELc84EKPKDF16_S3_KPDF16_EEvlllT_PT11_llS8_llS6_PT12_llPT13_lli
; %bb.0:
	s_clause 0x1
	s_load_dwordx8 s[12:19], s[4:5], 0x58
	s_load_dwordx2 s[28:29], s[4:5], 0x10
	s_mov_b32 s9, 0
	s_mov_b32 s0, s7
	s_lshl_b64 s[34:35], s[8:9], 3
	s_load_dwordx4 s[8:11], s[4:5], 0x78
	v_mov_b32_e32 v3, 0
	s_waitcnt lgkmcnt(0)
	s_add_u32 s2, s12, s34
	s_addc_u32 s3, s13, s35
	s_add_u32 s18, s18, s34
	s_addc_u32 s19, s19, s35
	s_load_dwordx2 s[12:13], s[2:3], 0x0
	s_load_dwordx2 s[18:19], s[18:19], 0x0
	v_cmp_lt_i64_e64 s2, s[28:29], 1
	s_ashr_i32 s7, s6, 31
	s_ashr_i32 s1, s0, 31
	s_lshl_b64 s[6:7], s[6:7], 5
	s_lshl_b64 s[30:31], s[0:1], 5
	s_and_b32 vcc_lo, exec_lo, s2
	s_cbranch_vccnz .LBB68_3
; %bb.1:
	s_clause 0x1
	s_load_dwordx8 s[20:27], s[4:5], 0x20
	s_load_dwordx4 s[0:3], s[4:5], 0x40
	v_lshlrev_b32_e32 v9, 4, v1
	v_and_b32_e32 v11, 7, v0
	v_lshlrev_b32_e32 v8, 1, v0
	v_add_nc_u32_e32 v4, v9, v0
	v_lshlrev_b32_e32 v10, 1, v11
	v_add_nc_u32_e32 v9, 0x200, v9
	v_lshrrev_b32_e32 v2, 3, v4
	v_lshrrev_b32_e32 v14, 5, v4
	v_and_b32_e32 v15, 31, v4
	v_lshl_or_b32 v16, v2, 4, v10
	v_lshlrev_b32_e32 v12, 1, v15
	s_waitcnt lgkmcnt(0)
	v_mad_u64_u32 v[6:7], null, s22, v14, s[6:7]
	v_mad_u64_u32 v[4:5], null, s0, v11, v[2:3]
	s_add_u32 s20, s20, s34
	s_addc_u32 s21, s21, s35
	s_add_u32 s26, s26, s34
	s_addc_u32 s27, s27, s35
	s_load_dwordx2 s[20:21], s[20:21], 0x0
	s_load_dwordx2 s[26:27], s[26:27], 0x0
	v_mov_b32_e32 v2, v5
	v_mov_b32_e32 v5, v7
	v_lshl_or_b32 v10, v14, 6, v12
	v_add_co_u32 v4, vcc_lo, v4, s30
	v_mad_u64_u32 v[12:13], null, s1, v11, v[2:3]
	v_mad_u64_u32 v[13:14], null, s23, v14, v[5:6]
	s_lshl_b64 s[2:3], s[2:3], 1
	v_add_nc_u32_e32 v11, 0x200, v16
	v_mov_b32_e32 v2, 0
	v_add_co_ci_u32_e64 v5, null, s31, v12, vcc_lo
	v_add_co_u32 v6, vcc_lo, v6, v15
	v_add_co_ci_u32_e64 v7, null, 0, v13, vcc_lo
	v_lshlrev_b64 v[4:5], 1, v[4:5]
	s_waitcnt lgkmcnt(0)
	s_add_u32 s26, s26, s2
	s_addc_u32 s27, s27, s3
	v_lshlrev_b64 v[6:7], 1, v[6:7]
	s_lshl_b64 s[2:3], s[0:1], 4
	s_lshl_b64 s[0:1], s[24:25], 1
	v_add_co_u32 v4, vcc_lo, s26, v4
	s_add_u32 s0, s20, s0
	s_addc_u32 s1, s21, s1
	v_add_co_ci_u32_e64 v5, null, s27, v5, vcc_lo
	v_add_co_u32 v6, vcc_lo, s0, v6
	v_add_co_ci_u32_e64 v7, null, s1, v7, vcc_lo
	s_lshl_b64 s[20:21], s[22:23], 4
	s_mov_b64 s[22:23], 0
.LBB68_2:                               ; =>This Inner Loop Header: Depth=1
	flat_load_ushort v12, v[6:7]
	s_add_u32 s22, s22, 8
	s_addc_u32 s23, s23, 0
	v_add_co_u32 v6, vcc_lo, v6, s20
	v_cmp_lt_i64_e64 s0, s[22:23], s[28:29]
	v_add_co_ci_u32_e64 v7, null, s21, v7, vcc_lo
	s_and_b32 vcc_lo, exec_lo, s0
	s_waitcnt vmcnt(0) lgkmcnt(0)
	ds_write_b16 v10, v12
	flat_load_ushort v12, v[4:5]
	v_add_co_u32 v4, s0, v4, s2
	v_add_co_ci_u32_e64 v5, null, s3, v5, s0
	s_waitcnt vmcnt(0) lgkmcnt(0)
	ds_write_b16 v11, v12
	s_waitcnt lgkmcnt(0)
	s_barrier
	buffer_gl0_inv
	ds_read_u16 v20, v8 offset:32
	ds_read_u16 v21, v8 offset:96
	;; [unrolled: 1-line block ×3, first 2 shown]
	ds_read_b128 v[12:15], v9
	ds_read_b128 v[16:19], v9 offset:256
	ds_read_u16 v23, v8 offset:224
	ds_read_u16 v24, v8 offset:288
	;; [unrolled: 1-line block ×5, first 2 shown]
	s_waitcnt lgkmcnt(9)
	ds_read_u16_d16_hi v20, v8
	s_waitcnt lgkmcnt(9)
	ds_read_u16_d16_hi v21, v8 offset:64
	s_waitcnt lgkmcnt(9)
	ds_read_u16_d16_hi v22, v8 offset:128
	;; [unrolled: 2-line block ×7, first 2 shown]
	s_waitcnt lgkmcnt(0)
	s_barrier
	buffer_gl0_inv
	v_pk_fma_f16 v3, v20, v12, v3 op_sel_hi:[1,0,1]
	v_pk_fma_f16 v2, v20, v16, v2 op_sel_hi:[1,0,1]
	v_pk_fma_f16 v3, v21, v12, v3 op_sel:[0,1,0]
	v_pk_fma_f16 v2, v21, v16, v2 op_sel:[0,1,0]
	v_pk_fma_f16 v3, v22, v13, v3 op_sel_hi:[1,0,1]
	v_pk_fma_f16 v2, v22, v17, v2 op_sel_hi:[1,0,1]
	v_pk_fma_f16 v3, v23, v13, v3 op_sel:[0,1,0]
	v_pk_fma_f16 v2, v23, v17, v2 op_sel:[0,1,0]
	;; [unrolled: 4-line block ×4, first 2 shown]
	s_cbranch_vccnz .LBB68_2
	s_branch .LBB68_4
.LBB68_3:
	v_mov_b32_e32 v2, 0
.LBB68_4:
	s_clause 0x1
	s_load_dword s1, s[4:5], 0x50
	s_load_dword s0, s[4:5], 0x18
	v_add_co_u32 v5, s4, s30, v1
	v_add_co_ci_u32_e64 v9, null, s31, 0, s4
	v_add_co_u32 v0, s4, s6, v0
	v_add_co_ci_u32_e64 v1, null, s7, 0, s4
	v_mul_lo_u32 v7, v9, s8
	v_mul_lo_u32 v8, v5, s9
	s_lshl_b64 s[2:3], s[10:11], 1
	v_lshlrev_b64 v[0:1], 1, v[0:1]
	v_lshrrev_b32_e32 v6, 16, v3
	v_lshrrev_b32_e32 v4, 16, v2
	s_waitcnt lgkmcnt(0)
	s_add_u32 s2, s18, s2
	s_addc_u32 s3, s19, s3
	v_cmp_neq_f16_e64 s4, s1, 0
	s_and_b32 vcc_lo, exec_lo, s4
	s_mov_b32 s4, 0
	s_cbranch_vccnz .LBB68_8
; %bb.5:
	v_mad_u64_u32 v[10:11], null, v5, s8, 0
	s_lshl_b64 s[6:7], s[8:9], 5
	v_mul_f16_sdwa v14, s0, v3 dst_sel:DWORD dst_unused:UNUSED_PAD src0_sel:DWORD src1_sel:WORD_1
	v_mul_f16_e32 v15, s0, v3
	v_mul_f16_sdwa v16, s0, v2 dst_sel:DWORD dst_unused:UNUSED_PAD src0_sel:DWORD src1_sel:WORD_1
	v_mul_f16_e32 v17, s0, v2
	v_add3_u32 v11, v11, v8, v7
	v_lshlrev_b64 v[10:11], 1, v[10:11]
	v_add_co_u32 v10, vcc_lo, s2, v10
	v_add_co_ci_u32_e64 v11, null, s3, v11, vcc_lo
	v_add_co_u32 v12, vcc_lo, v10, s6
	v_add_co_ci_u32_e64 v13, null, s7, v11, vcc_lo
	;; [unrolled: 2-line block ×4, first 2 shown]
	flat_store_short v[10:11], v14
	flat_store_short v[10:11], v15 offset:32
	flat_store_short v[12:13], v16
	flat_store_short v[12:13], v17 offset:32
	s_andn2_b32 vcc_lo, exec_lo, s4
	s_cbranch_vccnz .LBB68_7
.LBB68_6:
	v_mul_lo_u32 v11, v9, s14
	v_mul_lo_u32 v12, v5, s15
	v_mad_u64_u32 v[9:10], null, v5, s14, 0
	s_lshl_b64 s[4:5], s[16:17], 1
	s_add_u32 s4, s12, s4
	s_addc_u32 s5, s13, s5
	v_add3_u32 v10, v10, v12, v11
	v_mad_u64_u32 v[11:12], null, v5, s8, 0
	v_lshlrev_b64 v[9:10], 1, v[9:10]
	v_add3_u32 v12, v12, v8, v7
	v_add_co_u32 v13, vcc_lo, s4, v9
	v_add_co_ci_u32_e64 v14, null, s5, v10, vcc_lo
	v_lshlrev_b64 v[7:8], 1, v[11:12]
	v_add_co_u32 v9, vcc_lo, v13, v0
	v_add_co_ci_u32_e64 v10, null, v14, v1, vcc_lo
	v_add_co_u32 v11, vcc_lo, s2, v7
	flat_load_ushort v15, v[9:10]
	v_add_co_ci_u32_e64 v12, null, s3, v8, vcc_lo
	v_add_co_u32 v7, vcc_lo, v11, v0
	s_lshl_b64 s[2:3], s[14:15], 5
	v_add_co_ci_u32_e64 v8, null, v12, v1, vcc_lo
	s_waitcnt vmcnt(0) lgkmcnt(0)
	v_mul_f16_e32 v5, s1, v15
	v_fmac_f16_e32 v5, s0, v6
	flat_store_short v[7:8], v5
	flat_load_ushort v5, v[9:10] offset:32
	s_waitcnt vmcnt(0) lgkmcnt(0)
	v_mul_f16_e32 v9, s1, v5
	v_add_co_u32 v5, vcc_lo, v13, s2
	v_add_co_ci_u32_e64 v6, null, s3, v14, vcc_lo
	v_fmac_f16_e32 v9, s0, v3
	v_add_co_u32 v5, vcc_lo, v5, v0
	v_add_co_ci_u32_e64 v6, null, v6, v1, vcc_lo
	flat_store_short v[7:8], v9 offset:32
	s_lshl_b64 s[2:3], s[8:9], 5
	flat_load_ushort v3, v[5:6]
	v_add_co_u32 v7, vcc_lo, v11, s2
	v_add_co_ci_u32_e64 v8, null, s3, v12, vcc_lo
	v_add_co_u32 v0, vcc_lo, v7, v0
	v_add_co_ci_u32_e64 v1, null, v8, v1, vcc_lo
	s_waitcnt vmcnt(0) lgkmcnt(0)
	v_mul_f16_e32 v3, s1, v3
	v_fmac_f16_e32 v3, s0, v4
	flat_store_short v[0:1], v3
	flat_load_ushort v3, v[5:6] offset:32
	s_waitcnt vmcnt(0) lgkmcnt(0)
	v_mul_f16_e32 v3, s1, v3
	v_fmac_f16_e32 v3, s0, v2
	flat_store_short v[0:1], v3 offset:32
.LBB68_7:
	s_endpgm
.LBB68_8:
	s_branch .LBB68_6
	.section	.rodata,"a",@progbits
	.p2align	6, 0x0
	.amdhsa_kernel _ZN12_GLOBAL__N_127rocblas_gemm_batched_kernelIDF16_Li16ELi16ELi32ELi32ELi8ELi32ELi8ELi8ELi32ELc78ELc84EKPKDF16_S3_KPDF16_EEvlllT_PT11_llS8_llS6_PT12_llPT13_lli
		.amdhsa_group_segment_fixed_size 1024
		.amdhsa_private_segment_fixed_size 0
		.amdhsa_kernarg_size 140
		.amdhsa_user_sgpr_count 6
		.amdhsa_user_sgpr_private_segment_buffer 1
		.amdhsa_user_sgpr_dispatch_ptr 0
		.amdhsa_user_sgpr_queue_ptr 0
		.amdhsa_user_sgpr_kernarg_segment_ptr 1
		.amdhsa_user_sgpr_dispatch_id 0
		.amdhsa_user_sgpr_flat_scratch_init 0
		.amdhsa_user_sgpr_private_segment_size 0
		.amdhsa_wavefront_size32 1
		.amdhsa_uses_dynamic_stack 0
		.amdhsa_system_sgpr_private_segment_wavefront_offset 0
		.amdhsa_system_sgpr_workgroup_id_x 1
		.amdhsa_system_sgpr_workgroup_id_y 1
		.amdhsa_system_sgpr_workgroup_id_z 1
		.amdhsa_system_sgpr_workgroup_info 0
		.amdhsa_system_vgpr_workitem_id 1
		.amdhsa_next_free_vgpr 28
		.amdhsa_next_free_sgpr 36
		.amdhsa_reserve_vcc 1
		.amdhsa_reserve_flat_scratch 0
		.amdhsa_float_round_mode_32 0
		.amdhsa_float_round_mode_16_64 0
		.amdhsa_float_denorm_mode_32 3
		.amdhsa_float_denorm_mode_16_64 3
		.amdhsa_dx10_clamp 1
		.amdhsa_ieee_mode 1
		.amdhsa_fp16_overflow 0
		.amdhsa_workgroup_processor_mode 1
		.amdhsa_memory_ordered 1
		.amdhsa_forward_progress 1
		.amdhsa_shared_vgpr_count 0
		.amdhsa_exception_fp_ieee_invalid_op 0
		.amdhsa_exception_fp_denorm_src 0
		.amdhsa_exception_fp_ieee_div_zero 0
		.amdhsa_exception_fp_ieee_overflow 0
		.amdhsa_exception_fp_ieee_underflow 0
		.amdhsa_exception_fp_ieee_inexact 0
		.amdhsa_exception_int_div_zero 0
	.end_amdhsa_kernel
	.section	.text._ZN12_GLOBAL__N_127rocblas_gemm_batched_kernelIDF16_Li16ELi16ELi32ELi32ELi8ELi32ELi8ELi8ELi32ELc78ELc84EKPKDF16_S3_KPDF16_EEvlllT_PT11_llS8_llS6_PT12_llPT13_lli,"axG",@progbits,_ZN12_GLOBAL__N_127rocblas_gemm_batched_kernelIDF16_Li16ELi16ELi32ELi32ELi8ELi32ELi8ELi8ELi32ELc78ELc84EKPKDF16_S3_KPDF16_EEvlllT_PT11_llS8_llS6_PT12_llPT13_lli,comdat
.Lfunc_end68:
	.size	_ZN12_GLOBAL__N_127rocblas_gemm_batched_kernelIDF16_Li16ELi16ELi32ELi32ELi8ELi32ELi8ELi8ELi32ELc78ELc84EKPKDF16_S3_KPDF16_EEvlllT_PT11_llS8_llS6_PT12_llPT13_lli, .Lfunc_end68-_ZN12_GLOBAL__N_127rocblas_gemm_batched_kernelIDF16_Li16ELi16ELi32ELi32ELi8ELi32ELi8ELi8ELi32ELc78ELc84EKPKDF16_S3_KPDF16_EEvlllT_PT11_llS8_llS6_PT12_llPT13_lli
                                        ; -- End function
	.set _ZN12_GLOBAL__N_127rocblas_gemm_batched_kernelIDF16_Li16ELi16ELi32ELi32ELi8ELi32ELi8ELi8ELi32ELc78ELc84EKPKDF16_S3_KPDF16_EEvlllT_PT11_llS8_llS6_PT12_llPT13_lli.num_vgpr, 28
	.set _ZN12_GLOBAL__N_127rocblas_gemm_batched_kernelIDF16_Li16ELi16ELi32ELi32ELi8ELi32ELi8ELi8ELi32ELc78ELc84EKPKDF16_S3_KPDF16_EEvlllT_PT11_llS8_llS6_PT12_llPT13_lli.num_agpr, 0
	.set _ZN12_GLOBAL__N_127rocblas_gemm_batched_kernelIDF16_Li16ELi16ELi32ELi32ELi8ELi32ELi8ELi8ELi32ELc78ELc84EKPKDF16_S3_KPDF16_EEvlllT_PT11_llS8_llS6_PT12_llPT13_lli.numbered_sgpr, 36
	.set _ZN12_GLOBAL__N_127rocblas_gemm_batched_kernelIDF16_Li16ELi16ELi32ELi32ELi8ELi32ELi8ELi8ELi32ELc78ELc84EKPKDF16_S3_KPDF16_EEvlllT_PT11_llS8_llS6_PT12_llPT13_lli.num_named_barrier, 0
	.set _ZN12_GLOBAL__N_127rocblas_gemm_batched_kernelIDF16_Li16ELi16ELi32ELi32ELi8ELi32ELi8ELi8ELi32ELc78ELc84EKPKDF16_S3_KPDF16_EEvlllT_PT11_llS8_llS6_PT12_llPT13_lli.private_seg_size, 0
	.set _ZN12_GLOBAL__N_127rocblas_gemm_batched_kernelIDF16_Li16ELi16ELi32ELi32ELi8ELi32ELi8ELi8ELi32ELc78ELc84EKPKDF16_S3_KPDF16_EEvlllT_PT11_llS8_llS6_PT12_llPT13_lli.uses_vcc, 1
	.set _ZN12_GLOBAL__N_127rocblas_gemm_batched_kernelIDF16_Li16ELi16ELi32ELi32ELi8ELi32ELi8ELi8ELi32ELc78ELc84EKPKDF16_S3_KPDF16_EEvlllT_PT11_llS8_llS6_PT12_llPT13_lli.uses_flat_scratch, 0
	.set _ZN12_GLOBAL__N_127rocblas_gemm_batched_kernelIDF16_Li16ELi16ELi32ELi32ELi8ELi32ELi8ELi8ELi32ELc78ELc84EKPKDF16_S3_KPDF16_EEvlllT_PT11_llS8_llS6_PT12_llPT13_lli.has_dyn_sized_stack, 0
	.set _ZN12_GLOBAL__N_127rocblas_gemm_batched_kernelIDF16_Li16ELi16ELi32ELi32ELi8ELi32ELi8ELi8ELi32ELc78ELc84EKPKDF16_S3_KPDF16_EEvlllT_PT11_llS8_llS6_PT12_llPT13_lli.has_recursion, 0
	.set _ZN12_GLOBAL__N_127rocblas_gemm_batched_kernelIDF16_Li16ELi16ELi32ELi32ELi8ELi32ELi8ELi8ELi32ELc78ELc84EKPKDF16_S3_KPDF16_EEvlllT_PT11_llS8_llS6_PT12_llPT13_lli.has_indirect_call, 0
	.section	.AMDGPU.csdata,"",@progbits
; Kernel info:
; codeLenInByte = 1448
; TotalNumSgprs: 38
; NumVgprs: 28
; ScratchSize: 0
; MemoryBound: 0
; FloatMode: 240
; IeeeMode: 1
; LDSByteSize: 1024 bytes/workgroup (compile time only)
; SGPRBlocks: 0
; VGPRBlocks: 3
; NumSGPRsForWavesPerEU: 38
; NumVGPRsForWavesPerEU: 28
; Occupancy: 16
; WaveLimiterHint : 1
; COMPUTE_PGM_RSRC2:SCRATCH_EN: 0
; COMPUTE_PGM_RSRC2:USER_SGPR: 6
; COMPUTE_PGM_RSRC2:TRAP_HANDLER: 0
; COMPUTE_PGM_RSRC2:TGID_X_EN: 1
; COMPUTE_PGM_RSRC2:TGID_Y_EN: 1
; COMPUTE_PGM_RSRC2:TGID_Z_EN: 1
; COMPUTE_PGM_RSRC2:TIDIG_COMP_CNT: 1
	.section	.text._ZN12_GLOBAL__N_127rocblas_gemm_batched_kernelIDF16_Li16ELi16ELi32ELi32ELi8ELi32ELi8ELi8ELi32ELc84ELc84EKPKDF16_S3_KPDF16_EEvlllT_PT11_llS8_llS6_PT12_llPT13_lli,"axG",@progbits,_ZN12_GLOBAL__N_127rocblas_gemm_batched_kernelIDF16_Li16ELi16ELi32ELi32ELi8ELi32ELi8ELi8ELi32ELc84ELc84EKPKDF16_S3_KPDF16_EEvlllT_PT11_llS8_llS6_PT12_llPT13_lli,comdat
	.globl	_ZN12_GLOBAL__N_127rocblas_gemm_batched_kernelIDF16_Li16ELi16ELi32ELi32ELi8ELi32ELi8ELi8ELi32ELc84ELc84EKPKDF16_S3_KPDF16_EEvlllT_PT11_llS8_llS6_PT12_llPT13_lli ; -- Begin function _ZN12_GLOBAL__N_127rocblas_gemm_batched_kernelIDF16_Li16ELi16ELi32ELi32ELi8ELi32ELi8ELi8ELi32ELc84ELc84EKPKDF16_S3_KPDF16_EEvlllT_PT11_llS8_llS6_PT12_llPT13_lli
	.p2align	8
	.type	_ZN12_GLOBAL__N_127rocblas_gemm_batched_kernelIDF16_Li16ELi16ELi32ELi32ELi8ELi32ELi8ELi8ELi32ELc84ELc84EKPKDF16_S3_KPDF16_EEvlllT_PT11_llS8_llS6_PT12_llPT13_lli,@function
_ZN12_GLOBAL__N_127rocblas_gemm_batched_kernelIDF16_Li16ELi16ELi32ELi32ELi8ELi32ELi8ELi8ELi32ELc84ELc84EKPKDF16_S3_KPDF16_EEvlllT_PT11_llS8_llS6_PT12_llPT13_lli: ; @_ZN12_GLOBAL__N_127rocblas_gemm_batched_kernelIDF16_Li16ELi16ELi32ELi32ELi8ELi32ELi8ELi8ELi32ELc84ELc84EKPKDF16_S3_KPDF16_EEvlllT_PT11_llS8_llS6_PT12_llPT13_lli
; %bb.0:
	s_clause 0x1
	s_load_dwordx8 s[12:19], s[4:5], 0x58
	s_load_dwordx2 s[28:29], s[4:5], 0x10
	s_mov_b32 s9, 0
	s_mov_b32 s0, s7
	s_lshl_b64 s[34:35], s[8:9], 3
	s_load_dwordx4 s[8:11], s[4:5], 0x78
	v_mov_b32_e32 v3, 0
	s_waitcnt lgkmcnt(0)
	s_add_u32 s2, s12, s34
	s_addc_u32 s3, s13, s35
	s_add_u32 s18, s18, s34
	s_addc_u32 s19, s19, s35
	s_load_dwordx2 s[12:13], s[2:3], 0x0
	s_load_dwordx2 s[18:19], s[18:19], 0x0
	v_cmp_lt_i64_e64 s2, s[28:29], 1
	s_ashr_i32 s7, s6, 31
	s_ashr_i32 s1, s0, 31
	s_lshl_b64 s[6:7], s[6:7], 5
	s_lshl_b64 s[30:31], s[0:1], 5
	s_and_b32 vcc_lo, exec_lo, s2
	s_cbranch_vccnz .LBB69_3
; %bb.1:
	s_clause 0x1
	s_load_dwordx8 s[20:27], s[4:5], 0x20
	s_load_dwordx4 s[0:3], s[4:5], 0x40
	v_lshlrev_b32_e32 v9, 4, v1
	v_and_b32_e32 v11, 7, v0
	v_lshlrev_b32_e32 v8, 1, v0
	v_add_nc_u32_e32 v10, v9, v0
	v_lshlrev_b32_e32 v13, 1, v11
	v_add_nc_u32_e32 v9, 0x200, v9
	v_and_b32_e32 v12, 31, v10
	v_lshrrev_b32_e32 v2, 3, v10
	v_lshrrev_b32_e32 v10, 5, v10
	v_add_co_u32 v6, s33, s6, v12
	v_add_co_ci_u32_e64 v7, null, s7, 0, s33
	s_waitcnt lgkmcnt(0)
	s_add_u32 s20, s20, s34
	s_addc_u32 s21, s21, s35
	s_add_u32 s26, s26, s34
	s_addc_u32 s27, s27, s35
	v_mad_u64_u32 v[4:5], null, s0, v11, v[2:3]
	s_load_dwordx2 s[26:27], s[26:27], 0x0
	v_mul_lo_u32 v14, s23, v6
	v_mul_lo_u32 v15, s22, v7
	v_mad_u64_u32 v[6:7], null, s22, v6, 0
	v_lshlrev_b32_e32 v12, 1, v12
	v_lshl_or_b32 v16, v2, 4, v13
	v_mov_b32_e32 v2, v5
	v_lshlrev_b32_e32 v17, 1, v10
	s_load_dwordx2 s[20:21], s[20:21], 0x0
	v_lshl_or_b32 v10, v10, 6, v12
	v_add3_u32 v7, v7, v15, v14
	v_mad_u64_u32 v[12:13], null, s1, v11, v[2:3]
	s_lshl_b64 s[2:3], s[2:3], 1
	v_add_co_u32 v13, vcc_lo, v4, s30
	v_lshlrev_b64 v[5:6], 1, v[6:7]
	v_add_nc_u32_e32 v11, 0x200, v16
	v_add_co_ci_u32_e64 v14, null, s31, v12, vcc_lo
	s_waitcnt lgkmcnt(0)
	s_add_u32 s22, s26, s2
	s_addc_u32 s23, s27, s3
	s_lshl_b64 s[2:3], s[24:25], 1
	v_add_co_u32 v2, vcc_lo, v5, s2
	v_add_co_ci_u32_e64 v6, null, s3, v6, vcc_lo
	v_lshlrev_b64 v[4:5], 1, v[13:14]
	v_add_co_u32 v2, vcc_lo, v2, v17
	v_add_co_ci_u32_e64 v7, null, 0, v6, vcc_lo
	s_lshl_b64 s[2:3], s[0:1], 4
	v_add_co_u32 v4, vcc_lo, s22, v4
	v_add_co_ci_u32_e64 v5, null, s23, v5, vcc_lo
	v_add_co_u32 v6, vcc_lo, s20, v2
	v_add_co_ci_u32_e64 v7, null, s21, v7, vcc_lo
	v_mov_b32_e32 v2, 0
	s_mov_b64 s[20:21], 0
.LBB69_2:                               ; =>This Inner Loop Header: Depth=1
	flat_load_ushort v12, v[6:7]
	s_add_u32 s20, s20, 8
	s_addc_u32 s21, s21, 0
	v_add_co_u32 v6, vcc_lo, v6, 16
	v_cmp_lt_i64_e64 s0, s[20:21], s[28:29]
	v_add_co_ci_u32_e64 v7, null, 0, v7, vcc_lo
	s_and_b32 vcc_lo, exec_lo, s0
	s_waitcnt vmcnt(0) lgkmcnt(0)
	ds_write_b16 v10, v12
	flat_load_ushort v12, v[4:5]
	v_add_co_u32 v4, s0, v4, s2
	v_add_co_ci_u32_e64 v5, null, s3, v5, s0
	s_waitcnt vmcnt(0) lgkmcnt(0)
	ds_write_b16 v11, v12
	s_waitcnt lgkmcnt(0)
	s_barrier
	buffer_gl0_inv
	ds_read_u16 v20, v8 offset:32
	ds_read_u16 v21, v8 offset:96
	;; [unrolled: 1-line block ×3, first 2 shown]
	ds_read_b128 v[12:15], v9
	ds_read_b128 v[16:19], v9 offset:256
	ds_read_u16 v23, v8 offset:224
	ds_read_u16 v24, v8 offset:288
	;; [unrolled: 1-line block ×5, first 2 shown]
	s_waitcnt lgkmcnt(9)
	ds_read_u16_d16_hi v20, v8
	s_waitcnt lgkmcnt(9)
	ds_read_u16_d16_hi v21, v8 offset:64
	s_waitcnt lgkmcnt(9)
	ds_read_u16_d16_hi v22, v8 offset:128
	;; [unrolled: 2-line block ×7, first 2 shown]
	s_waitcnt lgkmcnt(0)
	s_barrier
	buffer_gl0_inv
	v_pk_fma_f16 v3, v20, v12, v3 op_sel_hi:[1,0,1]
	v_pk_fma_f16 v2, v20, v16, v2 op_sel_hi:[1,0,1]
	v_pk_fma_f16 v3, v21, v12, v3 op_sel:[0,1,0]
	v_pk_fma_f16 v2, v21, v16, v2 op_sel:[0,1,0]
	v_pk_fma_f16 v3, v22, v13, v3 op_sel_hi:[1,0,1]
	v_pk_fma_f16 v2, v22, v17, v2 op_sel_hi:[1,0,1]
	v_pk_fma_f16 v3, v23, v13, v3 op_sel:[0,1,0]
	v_pk_fma_f16 v2, v23, v17, v2 op_sel:[0,1,0]
	;; [unrolled: 4-line block ×4, first 2 shown]
	s_cbranch_vccnz .LBB69_2
	s_branch .LBB69_4
.LBB69_3:
	v_mov_b32_e32 v2, 0
.LBB69_4:
	s_clause 0x1
	s_load_dword s1, s[4:5], 0x50
	s_load_dword s0, s[4:5], 0x18
	v_add_co_u32 v5, s4, s30, v1
	v_add_co_ci_u32_e64 v9, null, s31, 0, s4
	v_add_co_u32 v0, s4, s6, v0
	v_add_co_ci_u32_e64 v1, null, s7, 0, s4
	v_mul_lo_u32 v7, v9, s8
	v_mul_lo_u32 v8, v5, s9
	s_lshl_b64 s[2:3], s[10:11], 1
	v_lshlrev_b64 v[0:1], 1, v[0:1]
	v_lshrrev_b32_e32 v6, 16, v3
	v_lshrrev_b32_e32 v4, 16, v2
	s_waitcnt lgkmcnt(0)
	s_add_u32 s2, s18, s2
	s_addc_u32 s3, s19, s3
	v_cmp_neq_f16_e64 s4, s1, 0
	s_and_b32 vcc_lo, exec_lo, s4
	s_mov_b32 s4, 0
	s_cbranch_vccnz .LBB69_8
; %bb.5:
	v_mad_u64_u32 v[10:11], null, v5, s8, 0
	s_lshl_b64 s[6:7], s[8:9], 5
	v_mul_f16_sdwa v14, s0, v3 dst_sel:DWORD dst_unused:UNUSED_PAD src0_sel:DWORD src1_sel:WORD_1
	v_mul_f16_e32 v15, s0, v3
	v_mul_f16_sdwa v16, s0, v2 dst_sel:DWORD dst_unused:UNUSED_PAD src0_sel:DWORD src1_sel:WORD_1
	v_mul_f16_e32 v17, s0, v2
	v_add3_u32 v11, v11, v8, v7
	v_lshlrev_b64 v[10:11], 1, v[10:11]
	v_add_co_u32 v10, vcc_lo, s2, v10
	v_add_co_ci_u32_e64 v11, null, s3, v11, vcc_lo
	v_add_co_u32 v12, vcc_lo, v10, s6
	v_add_co_ci_u32_e64 v13, null, s7, v11, vcc_lo
	;; [unrolled: 2-line block ×4, first 2 shown]
	flat_store_short v[10:11], v14
	flat_store_short v[10:11], v15 offset:32
	flat_store_short v[12:13], v16
	flat_store_short v[12:13], v17 offset:32
	s_andn2_b32 vcc_lo, exec_lo, s4
	s_cbranch_vccnz .LBB69_7
.LBB69_6:
	v_mul_lo_u32 v11, v9, s14
	v_mul_lo_u32 v12, v5, s15
	v_mad_u64_u32 v[9:10], null, v5, s14, 0
	s_lshl_b64 s[4:5], s[16:17], 1
	s_add_u32 s4, s12, s4
	s_addc_u32 s5, s13, s5
	v_add3_u32 v10, v10, v12, v11
	v_mad_u64_u32 v[11:12], null, v5, s8, 0
	v_lshlrev_b64 v[9:10], 1, v[9:10]
	v_add3_u32 v12, v12, v8, v7
	v_add_co_u32 v13, vcc_lo, s4, v9
	v_add_co_ci_u32_e64 v14, null, s5, v10, vcc_lo
	v_lshlrev_b64 v[7:8], 1, v[11:12]
	v_add_co_u32 v9, vcc_lo, v13, v0
	v_add_co_ci_u32_e64 v10, null, v14, v1, vcc_lo
	v_add_co_u32 v11, vcc_lo, s2, v7
	flat_load_ushort v15, v[9:10]
	v_add_co_ci_u32_e64 v12, null, s3, v8, vcc_lo
	v_add_co_u32 v7, vcc_lo, v11, v0
	s_lshl_b64 s[2:3], s[14:15], 5
	v_add_co_ci_u32_e64 v8, null, v12, v1, vcc_lo
	s_waitcnt vmcnt(0) lgkmcnt(0)
	v_mul_f16_e32 v5, s1, v15
	v_fmac_f16_e32 v5, s0, v6
	flat_store_short v[7:8], v5
	flat_load_ushort v5, v[9:10] offset:32
	s_waitcnt vmcnt(0) lgkmcnt(0)
	v_mul_f16_e32 v9, s1, v5
	v_add_co_u32 v5, vcc_lo, v13, s2
	v_add_co_ci_u32_e64 v6, null, s3, v14, vcc_lo
	v_fmac_f16_e32 v9, s0, v3
	v_add_co_u32 v5, vcc_lo, v5, v0
	v_add_co_ci_u32_e64 v6, null, v6, v1, vcc_lo
	flat_store_short v[7:8], v9 offset:32
	s_lshl_b64 s[2:3], s[8:9], 5
	flat_load_ushort v3, v[5:6]
	v_add_co_u32 v7, vcc_lo, v11, s2
	v_add_co_ci_u32_e64 v8, null, s3, v12, vcc_lo
	v_add_co_u32 v0, vcc_lo, v7, v0
	v_add_co_ci_u32_e64 v1, null, v8, v1, vcc_lo
	s_waitcnt vmcnt(0) lgkmcnt(0)
	v_mul_f16_e32 v3, s1, v3
	v_fmac_f16_e32 v3, s0, v4
	flat_store_short v[0:1], v3
	flat_load_ushort v3, v[5:6] offset:32
	s_waitcnt vmcnt(0) lgkmcnt(0)
	v_mul_f16_e32 v3, s1, v3
	v_fmac_f16_e32 v3, s0, v2
	flat_store_short v[0:1], v3 offset:32
.LBB69_7:
	s_endpgm
.LBB69_8:
	s_branch .LBB69_6
	.section	.rodata,"a",@progbits
	.p2align	6, 0x0
	.amdhsa_kernel _ZN12_GLOBAL__N_127rocblas_gemm_batched_kernelIDF16_Li16ELi16ELi32ELi32ELi8ELi32ELi8ELi8ELi32ELc84ELc84EKPKDF16_S3_KPDF16_EEvlllT_PT11_llS8_llS6_PT12_llPT13_lli
		.amdhsa_group_segment_fixed_size 1024
		.amdhsa_private_segment_fixed_size 0
		.amdhsa_kernarg_size 140
		.amdhsa_user_sgpr_count 6
		.amdhsa_user_sgpr_private_segment_buffer 1
		.amdhsa_user_sgpr_dispatch_ptr 0
		.amdhsa_user_sgpr_queue_ptr 0
		.amdhsa_user_sgpr_kernarg_segment_ptr 1
		.amdhsa_user_sgpr_dispatch_id 0
		.amdhsa_user_sgpr_flat_scratch_init 0
		.amdhsa_user_sgpr_private_segment_size 0
		.amdhsa_wavefront_size32 1
		.amdhsa_uses_dynamic_stack 0
		.amdhsa_system_sgpr_private_segment_wavefront_offset 0
		.amdhsa_system_sgpr_workgroup_id_x 1
		.amdhsa_system_sgpr_workgroup_id_y 1
		.amdhsa_system_sgpr_workgroup_id_z 1
		.amdhsa_system_sgpr_workgroup_info 0
		.amdhsa_system_vgpr_workitem_id 1
		.amdhsa_next_free_vgpr 28
		.amdhsa_next_free_sgpr 36
		.amdhsa_reserve_vcc 1
		.amdhsa_reserve_flat_scratch 0
		.amdhsa_float_round_mode_32 0
		.amdhsa_float_round_mode_16_64 0
		.amdhsa_float_denorm_mode_32 3
		.amdhsa_float_denorm_mode_16_64 3
		.amdhsa_dx10_clamp 1
		.amdhsa_ieee_mode 1
		.amdhsa_fp16_overflow 0
		.amdhsa_workgroup_processor_mode 1
		.amdhsa_memory_ordered 1
		.amdhsa_forward_progress 1
		.amdhsa_shared_vgpr_count 0
		.amdhsa_exception_fp_ieee_invalid_op 0
		.amdhsa_exception_fp_denorm_src 0
		.amdhsa_exception_fp_ieee_div_zero 0
		.amdhsa_exception_fp_ieee_overflow 0
		.amdhsa_exception_fp_ieee_underflow 0
		.amdhsa_exception_fp_ieee_inexact 0
		.amdhsa_exception_int_div_zero 0
	.end_amdhsa_kernel
	.section	.text._ZN12_GLOBAL__N_127rocblas_gemm_batched_kernelIDF16_Li16ELi16ELi32ELi32ELi8ELi32ELi8ELi8ELi32ELc84ELc84EKPKDF16_S3_KPDF16_EEvlllT_PT11_llS8_llS6_PT12_llPT13_lli,"axG",@progbits,_ZN12_GLOBAL__N_127rocblas_gemm_batched_kernelIDF16_Li16ELi16ELi32ELi32ELi8ELi32ELi8ELi8ELi32ELc84ELc84EKPKDF16_S3_KPDF16_EEvlllT_PT11_llS8_llS6_PT12_llPT13_lli,comdat
.Lfunc_end69:
	.size	_ZN12_GLOBAL__N_127rocblas_gemm_batched_kernelIDF16_Li16ELi16ELi32ELi32ELi8ELi32ELi8ELi8ELi32ELc84ELc84EKPKDF16_S3_KPDF16_EEvlllT_PT11_llS8_llS6_PT12_llPT13_lli, .Lfunc_end69-_ZN12_GLOBAL__N_127rocblas_gemm_batched_kernelIDF16_Li16ELi16ELi32ELi32ELi8ELi32ELi8ELi8ELi32ELc84ELc84EKPKDF16_S3_KPDF16_EEvlllT_PT11_llS8_llS6_PT12_llPT13_lli
                                        ; -- End function
	.set _ZN12_GLOBAL__N_127rocblas_gemm_batched_kernelIDF16_Li16ELi16ELi32ELi32ELi8ELi32ELi8ELi8ELi32ELc84ELc84EKPKDF16_S3_KPDF16_EEvlllT_PT11_llS8_llS6_PT12_llPT13_lli.num_vgpr, 28
	.set _ZN12_GLOBAL__N_127rocblas_gemm_batched_kernelIDF16_Li16ELi16ELi32ELi32ELi8ELi32ELi8ELi8ELi32ELc84ELc84EKPKDF16_S3_KPDF16_EEvlllT_PT11_llS8_llS6_PT12_llPT13_lli.num_agpr, 0
	.set _ZN12_GLOBAL__N_127rocblas_gemm_batched_kernelIDF16_Li16ELi16ELi32ELi32ELi8ELi32ELi8ELi8ELi32ELc84ELc84EKPKDF16_S3_KPDF16_EEvlllT_PT11_llS8_llS6_PT12_llPT13_lli.numbered_sgpr, 36
	.set _ZN12_GLOBAL__N_127rocblas_gemm_batched_kernelIDF16_Li16ELi16ELi32ELi32ELi8ELi32ELi8ELi8ELi32ELc84ELc84EKPKDF16_S3_KPDF16_EEvlllT_PT11_llS8_llS6_PT12_llPT13_lli.num_named_barrier, 0
	.set _ZN12_GLOBAL__N_127rocblas_gemm_batched_kernelIDF16_Li16ELi16ELi32ELi32ELi8ELi32ELi8ELi8ELi32ELc84ELc84EKPKDF16_S3_KPDF16_EEvlllT_PT11_llS8_llS6_PT12_llPT13_lli.private_seg_size, 0
	.set _ZN12_GLOBAL__N_127rocblas_gemm_batched_kernelIDF16_Li16ELi16ELi32ELi32ELi8ELi32ELi8ELi8ELi32ELc84ELc84EKPKDF16_S3_KPDF16_EEvlllT_PT11_llS8_llS6_PT12_llPT13_lli.uses_vcc, 1
	.set _ZN12_GLOBAL__N_127rocblas_gemm_batched_kernelIDF16_Li16ELi16ELi32ELi32ELi8ELi32ELi8ELi8ELi32ELc84ELc84EKPKDF16_S3_KPDF16_EEvlllT_PT11_llS8_llS6_PT12_llPT13_lli.uses_flat_scratch, 0
	.set _ZN12_GLOBAL__N_127rocblas_gemm_batched_kernelIDF16_Li16ELi16ELi32ELi32ELi8ELi32ELi8ELi8ELi32ELc84ELc84EKPKDF16_S3_KPDF16_EEvlllT_PT11_llS8_llS6_PT12_llPT13_lli.has_dyn_sized_stack, 0
	.set _ZN12_GLOBAL__N_127rocblas_gemm_batched_kernelIDF16_Li16ELi16ELi32ELi32ELi8ELi32ELi8ELi8ELi32ELc84ELc84EKPKDF16_S3_KPDF16_EEvlllT_PT11_llS8_llS6_PT12_llPT13_lli.has_recursion, 0
	.set _ZN12_GLOBAL__N_127rocblas_gemm_batched_kernelIDF16_Li16ELi16ELi32ELi32ELi8ELi32ELi8ELi8ELi32ELc84ELc84EKPKDF16_S3_KPDF16_EEvlllT_PT11_llS8_llS6_PT12_llPT13_lli.has_indirect_call, 0
	.section	.AMDGPU.csdata,"",@progbits
; Kernel info:
; codeLenInByte = 1484
; TotalNumSgprs: 38
; NumVgprs: 28
; ScratchSize: 0
; MemoryBound: 0
; FloatMode: 240
; IeeeMode: 1
; LDSByteSize: 1024 bytes/workgroup (compile time only)
; SGPRBlocks: 0
; VGPRBlocks: 3
; NumSGPRsForWavesPerEU: 38
; NumVGPRsForWavesPerEU: 28
; Occupancy: 16
; WaveLimiterHint : 1
; COMPUTE_PGM_RSRC2:SCRATCH_EN: 0
; COMPUTE_PGM_RSRC2:USER_SGPR: 6
; COMPUTE_PGM_RSRC2:TRAP_HANDLER: 0
; COMPUTE_PGM_RSRC2:TGID_X_EN: 1
; COMPUTE_PGM_RSRC2:TGID_Y_EN: 1
; COMPUTE_PGM_RSRC2:TGID_Z_EN: 1
; COMPUTE_PGM_RSRC2:TIDIG_COMP_CNT: 1
	.section	.text._ZN12_GLOBAL__N_127rocblas_gemm_batched_kernelIDF16_Li16ELi16ELi32ELi32ELi8ELi32ELi8ELi8ELi32ELc67ELc67EKPKDF16_S3_KPDF16_EEvlllT_PT11_llS8_llS6_PT12_llPT13_lli,"axG",@progbits,_ZN12_GLOBAL__N_127rocblas_gemm_batched_kernelIDF16_Li16ELi16ELi32ELi32ELi8ELi32ELi8ELi8ELi32ELc67ELc67EKPKDF16_S3_KPDF16_EEvlllT_PT11_llS8_llS6_PT12_llPT13_lli,comdat
	.globl	_ZN12_GLOBAL__N_127rocblas_gemm_batched_kernelIDF16_Li16ELi16ELi32ELi32ELi8ELi32ELi8ELi8ELi32ELc67ELc67EKPKDF16_S3_KPDF16_EEvlllT_PT11_llS8_llS6_PT12_llPT13_lli ; -- Begin function _ZN12_GLOBAL__N_127rocblas_gemm_batched_kernelIDF16_Li16ELi16ELi32ELi32ELi8ELi32ELi8ELi8ELi32ELc67ELc67EKPKDF16_S3_KPDF16_EEvlllT_PT11_llS8_llS6_PT12_llPT13_lli
	.p2align	8
	.type	_ZN12_GLOBAL__N_127rocblas_gemm_batched_kernelIDF16_Li16ELi16ELi32ELi32ELi8ELi32ELi8ELi8ELi32ELc67ELc67EKPKDF16_S3_KPDF16_EEvlllT_PT11_llS8_llS6_PT12_llPT13_lli,@function
_ZN12_GLOBAL__N_127rocblas_gemm_batched_kernelIDF16_Li16ELi16ELi32ELi32ELi8ELi32ELi8ELi8ELi32ELc67ELc67EKPKDF16_S3_KPDF16_EEvlllT_PT11_llS8_llS6_PT12_llPT13_lli: ; @_ZN12_GLOBAL__N_127rocblas_gemm_batched_kernelIDF16_Li16ELi16ELi32ELi32ELi8ELi32ELi8ELi8ELi32ELc67ELc67EKPKDF16_S3_KPDF16_EEvlllT_PT11_llS8_llS6_PT12_llPT13_lli
; %bb.0:
	s_clause 0x1
	s_load_dwordx8 s[12:19], s[4:5], 0x58
	s_load_dwordx2 s[28:29], s[4:5], 0x10
	s_mov_b32 s9, 0
	s_mov_b32 s0, s7
	s_lshl_b64 s[34:35], s[8:9], 3
	s_load_dwordx4 s[8:11], s[4:5], 0x78
	v_mov_b32_e32 v3, 0
	s_waitcnt lgkmcnt(0)
	s_add_u32 s2, s12, s34
	s_addc_u32 s3, s13, s35
	s_add_u32 s18, s18, s34
	s_addc_u32 s19, s19, s35
	s_load_dwordx2 s[12:13], s[2:3], 0x0
	s_load_dwordx2 s[18:19], s[18:19], 0x0
	v_cmp_lt_i64_e64 s2, s[28:29], 1
	s_ashr_i32 s7, s6, 31
	s_ashr_i32 s1, s0, 31
	s_lshl_b64 s[6:7], s[6:7], 5
	s_lshl_b64 s[30:31], s[0:1], 5
	s_and_b32 vcc_lo, exec_lo, s2
	s_cbranch_vccnz .LBB70_3
; %bb.1:
	s_clause 0x1
	s_load_dwordx8 s[20:27], s[4:5], 0x20
	s_load_dwordx4 s[0:3], s[4:5], 0x40
	v_lshlrev_b32_e32 v9, 4, v1
	v_and_b32_e32 v11, 7, v0
	v_lshlrev_b32_e32 v8, 1, v0
	v_add_nc_u32_e32 v10, v9, v0
	v_lshlrev_b32_e32 v13, 1, v11
	v_add_nc_u32_e32 v9, 0x200, v9
	v_and_b32_e32 v12, 31, v10
	v_lshrrev_b32_e32 v2, 3, v10
	v_lshrrev_b32_e32 v10, 5, v10
	v_add_co_u32 v6, s33, s6, v12
	v_add_co_ci_u32_e64 v7, null, s7, 0, s33
	s_waitcnt lgkmcnt(0)
	s_add_u32 s20, s20, s34
	s_addc_u32 s21, s21, s35
	s_add_u32 s26, s26, s34
	s_addc_u32 s27, s27, s35
	v_mad_u64_u32 v[4:5], null, s0, v11, v[2:3]
	s_load_dwordx2 s[26:27], s[26:27], 0x0
	v_mul_lo_u32 v14, s23, v6
	v_mul_lo_u32 v15, s22, v7
	v_mad_u64_u32 v[6:7], null, s22, v6, 0
	v_lshlrev_b32_e32 v12, 1, v12
	v_lshl_or_b32 v16, v2, 4, v13
	v_mov_b32_e32 v2, v5
	v_lshlrev_b32_e32 v17, 1, v10
	s_load_dwordx2 s[20:21], s[20:21], 0x0
	v_lshl_or_b32 v10, v10, 6, v12
	v_add3_u32 v7, v7, v15, v14
	v_mad_u64_u32 v[12:13], null, s1, v11, v[2:3]
	s_lshl_b64 s[2:3], s[2:3], 1
	v_add_co_u32 v13, vcc_lo, v4, s30
	v_lshlrev_b64 v[5:6], 1, v[6:7]
	v_add_nc_u32_e32 v11, 0x200, v16
	v_add_co_ci_u32_e64 v14, null, s31, v12, vcc_lo
	s_waitcnt lgkmcnt(0)
	s_add_u32 s22, s26, s2
	s_addc_u32 s23, s27, s3
	s_lshl_b64 s[2:3], s[24:25], 1
	v_add_co_u32 v2, vcc_lo, v5, s2
	v_add_co_ci_u32_e64 v6, null, s3, v6, vcc_lo
	v_lshlrev_b64 v[4:5], 1, v[13:14]
	v_add_co_u32 v2, vcc_lo, v2, v17
	v_add_co_ci_u32_e64 v7, null, 0, v6, vcc_lo
	s_lshl_b64 s[2:3], s[0:1], 4
	v_add_co_u32 v4, vcc_lo, s22, v4
	v_add_co_ci_u32_e64 v5, null, s23, v5, vcc_lo
	v_add_co_u32 v6, vcc_lo, s20, v2
	v_add_co_ci_u32_e64 v7, null, s21, v7, vcc_lo
	v_mov_b32_e32 v2, 0
	s_mov_b64 s[20:21], 0
.LBB70_2:                               ; =>This Inner Loop Header: Depth=1
	flat_load_ushort v12, v[6:7]
	s_add_u32 s20, s20, 8
	s_addc_u32 s21, s21, 0
	v_add_co_u32 v6, vcc_lo, v6, 16
	v_cmp_lt_i64_e64 s0, s[20:21], s[28:29]
	v_add_co_ci_u32_e64 v7, null, 0, v7, vcc_lo
	s_and_b32 vcc_lo, exec_lo, s0
	s_waitcnt vmcnt(0) lgkmcnt(0)
	ds_write_b16 v10, v12
	flat_load_ushort v12, v[4:5]
	v_add_co_u32 v4, s0, v4, s2
	v_add_co_ci_u32_e64 v5, null, s3, v5, s0
	s_waitcnt vmcnt(0) lgkmcnt(0)
	ds_write_b16 v11, v12
	s_waitcnt lgkmcnt(0)
	s_barrier
	buffer_gl0_inv
	ds_read_u16 v20, v8 offset:32
	ds_read_u16 v21, v8 offset:96
	;; [unrolled: 1-line block ×3, first 2 shown]
	ds_read_b128 v[12:15], v9
	ds_read_b128 v[16:19], v9 offset:256
	ds_read_u16 v23, v8 offset:224
	ds_read_u16 v24, v8 offset:288
	;; [unrolled: 1-line block ×5, first 2 shown]
	s_waitcnt lgkmcnt(9)
	ds_read_u16_d16_hi v20, v8
	s_waitcnt lgkmcnt(9)
	ds_read_u16_d16_hi v21, v8 offset:64
	s_waitcnt lgkmcnt(9)
	ds_read_u16_d16_hi v22, v8 offset:128
	;; [unrolled: 2-line block ×7, first 2 shown]
	s_waitcnt lgkmcnt(0)
	s_barrier
	buffer_gl0_inv
	v_pk_fma_f16 v3, v20, v12, v3 op_sel_hi:[1,0,1]
	v_pk_fma_f16 v2, v20, v16, v2 op_sel_hi:[1,0,1]
	v_pk_fma_f16 v3, v21, v12, v3 op_sel:[0,1,0]
	v_pk_fma_f16 v2, v21, v16, v2 op_sel:[0,1,0]
	v_pk_fma_f16 v3, v22, v13, v3 op_sel_hi:[1,0,1]
	v_pk_fma_f16 v2, v22, v17, v2 op_sel_hi:[1,0,1]
	v_pk_fma_f16 v3, v23, v13, v3 op_sel:[0,1,0]
	v_pk_fma_f16 v2, v23, v17, v2 op_sel:[0,1,0]
	;; [unrolled: 4-line block ×4, first 2 shown]
	s_cbranch_vccnz .LBB70_2
	s_branch .LBB70_4
.LBB70_3:
	v_mov_b32_e32 v2, 0
.LBB70_4:
	s_clause 0x1
	s_load_dword s1, s[4:5], 0x50
	s_load_dword s0, s[4:5], 0x18
	v_add_co_u32 v5, s4, s30, v1
	v_add_co_ci_u32_e64 v9, null, s31, 0, s4
	v_add_co_u32 v0, s4, s6, v0
	v_add_co_ci_u32_e64 v1, null, s7, 0, s4
	v_mul_lo_u32 v7, v9, s8
	v_mul_lo_u32 v8, v5, s9
	s_lshl_b64 s[2:3], s[10:11], 1
	v_lshlrev_b64 v[0:1], 1, v[0:1]
	v_lshrrev_b32_e32 v6, 16, v3
	v_lshrrev_b32_e32 v4, 16, v2
	s_waitcnt lgkmcnt(0)
	s_add_u32 s2, s18, s2
	s_addc_u32 s3, s19, s3
	v_cmp_neq_f16_e64 s4, s1, 0
	s_and_b32 vcc_lo, exec_lo, s4
	s_mov_b32 s4, 0
	s_cbranch_vccnz .LBB70_8
; %bb.5:
	v_mad_u64_u32 v[10:11], null, v5, s8, 0
	s_lshl_b64 s[6:7], s[8:9], 5
	v_mul_f16_sdwa v14, s0, v3 dst_sel:DWORD dst_unused:UNUSED_PAD src0_sel:DWORD src1_sel:WORD_1
	v_mul_f16_e32 v15, s0, v3
	v_mul_f16_sdwa v16, s0, v2 dst_sel:DWORD dst_unused:UNUSED_PAD src0_sel:DWORD src1_sel:WORD_1
	v_mul_f16_e32 v17, s0, v2
	v_add3_u32 v11, v11, v8, v7
	v_lshlrev_b64 v[10:11], 1, v[10:11]
	v_add_co_u32 v10, vcc_lo, s2, v10
	v_add_co_ci_u32_e64 v11, null, s3, v11, vcc_lo
	v_add_co_u32 v12, vcc_lo, v10, s6
	v_add_co_ci_u32_e64 v13, null, s7, v11, vcc_lo
	v_add_co_u32 v10, vcc_lo, v10, v0
	v_add_co_ci_u32_e64 v11, null, v11, v1, vcc_lo
	v_add_co_u32 v12, vcc_lo, v12, v0
	v_add_co_ci_u32_e64 v13, null, v13, v1, vcc_lo
	flat_store_short v[10:11], v14
	flat_store_short v[10:11], v15 offset:32
	flat_store_short v[12:13], v16
	flat_store_short v[12:13], v17 offset:32
	s_andn2_b32 vcc_lo, exec_lo, s4
	s_cbranch_vccnz .LBB70_7
.LBB70_6:
	v_mul_lo_u32 v11, v9, s14
	v_mul_lo_u32 v12, v5, s15
	v_mad_u64_u32 v[9:10], null, v5, s14, 0
	s_lshl_b64 s[4:5], s[16:17], 1
	s_add_u32 s4, s12, s4
	s_addc_u32 s5, s13, s5
	v_add3_u32 v10, v10, v12, v11
	v_mad_u64_u32 v[11:12], null, v5, s8, 0
	v_lshlrev_b64 v[9:10], 1, v[9:10]
	v_add3_u32 v12, v12, v8, v7
	v_add_co_u32 v13, vcc_lo, s4, v9
	v_add_co_ci_u32_e64 v14, null, s5, v10, vcc_lo
	v_lshlrev_b64 v[7:8], 1, v[11:12]
	v_add_co_u32 v9, vcc_lo, v13, v0
	v_add_co_ci_u32_e64 v10, null, v14, v1, vcc_lo
	v_add_co_u32 v11, vcc_lo, s2, v7
	flat_load_ushort v15, v[9:10]
	v_add_co_ci_u32_e64 v12, null, s3, v8, vcc_lo
	v_add_co_u32 v7, vcc_lo, v11, v0
	s_lshl_b64 s[2:3], s[14:15], 5
	v_add_co_ci_u32_e64 v8, null, v12, v1, vcc_lo
	s_waitcnt vmcnt(0) lgkmcnt(0)
	v_mul_f16_e32 v5, s1, v15
	v_fmac_f16_e32 v5, s0, v6
	flat_store_short v[7:8], v5
	flat_load_ushort v5, v[9:10] offset:32
	s_waitcnt vmcnt(0) lgkmcnt(0)
	v_mul_f16_e32 v9, s1, v5
	v_add_co_u32 v5, vcc_lo, v13, s2
	v_add_co_ci_u32_e64 v6, null, s3, v14, vcc_lo
	v_fmac_f16_e32 v9, s0, v3
	v_add_co_u32 v5, vcc_lo, v5, v0
	v_add_co_ci_u32_e64 v6, null, v6, v1, vcc_lo
	flat_store_short v[7:8], v9 offset:32
	s_lshl_b64 s[2:3], s[8:9], 5
	flat_load_ushort v3, v[5:6]
	v_add_co_u32 v7, vcc_lo, v11, s2
	v_add_co_ci_u32_e64 v8, null, s3, v12, vcc_lo
	v_add_co_u32 v0, vcc_lo, v7, v0
	v_add_co_ci_u32_e64 v1, null, v8, v1, vcc_lo
	s_waitcnt vmcnt(0) lgkmcnt(0)
	v_mul_f16_e32 v3, s1, v3
	v_fmac_f16_e32 v3, s0, v4
	flat_store_short v[0:1], v3
	flat_load_ushort v3, v[5:6] offset:32
	s_waitcnt vmcnt(0) lgkmcnt(0)
	v_mul_f16_e32 v3, s1, v3
	v_fmac_f16_e32 v3, s0, v2
	flat_store_short v[0:1], v3 offset:32
.LBB70_7:
	s_endpgm
.LBB70_8:
	s_branch .LBB70_6
	.section	.rodata,"a",@progbits
	.p2align	6, 0x0
	.amdhsa_kernel _ZN12_GLOBAL__N_127rocblas_gemm_batched_kernelIDF16_Li16ELi16ELi32ELi32ELi8ELi32ELi8ELi8ELi32ELc67ELc67EKPKDF16_S3_KPDF16_EEvlllT_PT11_llS8_llS6_PT12_llPT13_lli
		.amdhsa_group_segment_fixed_size 1024
		.amdhsa_private_segment_fixed_size 0
		.amdhsa_kernarg_size 140
		.amdhsa_user_sgpr_count 6
		.amdhsa_user_sgpr_private_segment_buffer 1
		.amdhsa_user_sgpr_dispatch_ptr 0
		.amdhsa_user_sgpr_queue_ptr 0
		.amdhsa_user_sgpr_kernarg_segment_ptr 1
		.amdhsa_user_sgpr_dispatch_id 0
		.amdhsa_user_sgpr_flat_scratch_init 0
		.amdhsa_user_sgpr_private_segment_size 0
		.amdhsa_wavefront_size32 1
		.amdhsa_uses_dynamic_stack 0
		.amdhsa_system_sgpr_private_segment_wavefront_offset 0
		.amdhsa_system_sgpr_workgroup_id_x 1
		.amdhsa_system_sgpr_workgroup_id_y 1
		.amdhsa_system_sgpr_workgroup_id_z 1
		.amdhsa_system_sgpr_workgroup_info 0
		.amdhsa_system_vgpr_workitem_id 1
		.amdhsa_next_free_vgpr 28
		.amdhsa_next_free_sgpr 36
		.amdhsa_reserve_vcc 1
		.amdhsa_reserve_flat_scratch 0
		.amdhsa_float_round_mode_32 0
		.amdhsa_float_round_mode_16_64 0
		.amdhsa_float_denorm_mode_32 3
		.amdhsa_float_denorm_mode_16_64 3
		.amdhsa_dx10_clamp 1
		.amdhsa_ieee_mode 1
		.amdhsa_fp16_overflow 0
		.amdhsa_workgroup_processor_mode 1
		.amdhsa_memory_ordered 1
		.amdhsa_forward_progress 1
		.amdhsa_shared_vgpr_count 0
		.amdhsa_exception_fp_ieee_invalid_op 0
		.amdhsa_exception_fp_denorm_src 0
		.amdhsa_exception_fp_ieee_div_zero 0
		.amdhsa_exception_fp_ieee_overflow 0
		.amdhsa_exception_fp_ieee_underflow 0
		.amdhsa_exception_fp_ieee_inexact 0
		.amdhsa_exception_int_div_zero 0
	.end_amdhsa_kernel
	.section	.text._ZN12_GLOBAL__N_127rocblas_gemm_batched_kernelIDF16_Li16ELi16ELi32ELi32ELi8ELi32ELi8ELi8ELi32ELc67ELc67EKPKDF16_S3_KPDF16_EEvlllT_PT11_llS8_llS6_PT12_llPT13_lli,"axG",@progbits,_ZN12_GLOBAL__N_127rocblas_gemm_batched_kernelIDF16_Li16ELi16ELi32ELi32ELi8ELi32ELi8ELi8ELi32ELc67ELc67EKPKDF16_S3_KPDF16_EEvlllT_PT11_llS8_llS6_PT12_llPT13_lli,comdat
.Lfunc_end70:
	.size	_ZN12_GLOBAL__N_127rocblas_gemm_batched_kernelIDF16_Li16ELi16ELi32ELi32ELi8ELi32ELi8ELi8ELi32ELc67ELc67EKPKDF16_S3_KPDF16_EEvlllT_PT11_llS8_llS6_PT12_llPT13_lli, .Lfunc_end70-_ZN12_GLOBAL__N_127rocblas_gemm_batched_kernelIDF16_Li16ELi16ELi32ELi32ELi8ELi32ELi8ELi8ELi32ELc67ELc67EKPKDF16_S3_KPDF16_EEvlllT_PT11_llS8_llS6_PT12_llPT13_lli
                                        ; -- End function
	.set _ZN12_GLOBAL__N_127rocblas_gemm_batched_kernelIDF16_Li16ELi16ELi32ELi32ELi8ELi32ELi8ELi8ELi32ELc67ELc67EKPKDF16_S3_KPDF16_EEvlllT_PT11_llS8_llS6_PT12_llPT13_lli.num_vgpr, 28
	.set _ZN12_GLOBAL__N_127rocblas_gemm_batched_kernelIDF16_Li16ELi16ELi32ELi32ELi8ELi32ELi8ELi8ELi32ELc67ELc67EKPKDF16_S3_KPDF16_EEvlllT_PT11_llS8_llS6_PT12_llPT13_lli.num_agpr, 0
	.set _ZN12_GLOBAL__N_127rocblas_gemm_batched_kernelIDF16_Li16ELi16ELi32ELi32ELi8ELi32ELi8ELi8ELi32ELc67ELc67EKPKDF16_S3_KPDF16_EEvlllT_PT11_llS8_llS6_PT12_llPT13_lli.numbered_sgpr, 36
	.set _ZN12_GLOBAL__N_127rocblas_gemm_batched_kernelIDF16_Li16ELi16ELi32ELi32ELi8ELi32ELi8ELi8ELi32ELc67ELc67EKPKDF16_S3_KPDF16_EEvlllT_PT11_llS8_llS6_PT12_llPT13_lli.num_named_barrier, 0
	.set _ZN12_GLOBAL__N_127rocblas_gemm_batched_kernelIDF16_Li16ELi16ELi32ELi32ELi8ELi32ELi8ELi8ELi32ELc67ELc67EKPKDF16_S3_KPDF16_EEvlllT_PT11_llS8_llS6_PT12_llPT13_lli.private_seg_size, 0
	.set _ZN12_GLOBAL__N_127rocblas_gemm_batched_kernelIDF16_Li16ELi16ELi32ELi32ELi8ELi32ELi8ELi8ELi32ELc67ELc67EKPKDF16_S3_KPDF16_EEvlllT_PT11_llS8_llS6_PT12_llPT13_lli.uses_vcc, 1
	.set _ZN12_GLOBAL__N_127rocblas_gemm_batched_kernelIDF16_Li16ELi16ELi32ELi32ELi8ELi32ELi8ELi8ELi32ELc67ELc67EKPKDF16_S3_KPDF16_EEvlllT_PT11_llS8_llS6_PT12_llPT13_lli.uses_flat_scratch, 0
	.set _ZN12_GLOBAL__N_127rocblas_gemm_batched_kernelIDF16_Li16ELi16ELi32ELi32ELi8ELi32ELi8ELi8ELi32ELc67ELc67EKPKDF16_S3_KPDF16_EEvlllT_PT11_llS8_llS6_PT12_llPT13_lli.has_dyn_sized_stack, 0
	.set _ZN12_GLOBAL__N_127rocblas_gemm_batched_kernelIDF16_Li16ELi16ELi32ELi32ELi8ELi32ELi8ELi8ELi32ELc67ELc67EKPKDF16_S3_KPDF16_EEvlllT_PT11_llS8_llS6_PT12_llPT13_lli.has_recursion, 0
	.set _ZN12_GLOBAL__N_127rocblas_gemm_batched_kernelIDF16_Li16ELi16ELi32ELi32ELi8ELi32ELi8ELi8ELi32ELc67ELc67EKPKDF16_S3_KPDF16_EEvlllT_PT11_llS8_llS6_PT12_llPT13_lli.has_indirect_call, 0
	.section	.AMDGPU.csdata,"",@progbits
; Kernel info:
; codeLenInByte = 1484
; TotalNumSgprs: 38
; NumVgprs: 28
; ScratchSize: 0
; MemoryBound: 0
; FloatMode: 240
; IeeeMode: 1
; LDSByteSize: 1024 bytes/workgroup (compile time only)
; SGPRBlocks: 0
; VGPRBlocks: 3
; NumSGPRsForWavesPerEU: 38
; NumVGPRsForWavesPerEU: 28
; Occupancy: 16
; WaveLimiterHint : 1
; COMPUTE_PGM_RSRC2:SCRATCH_EN: 0
; COMPUTE_PGM_RSRC2:USER_SGPR: 6
; COMPUTE_PGM_RSRC2:TRAP_HANDLER: 0
; COMPUTE_PGM_RSRC2:TGID_X_EN: 1
; COMPUTE_PGM_RSRC2:TGID_Y_EN: 1
; COMPUTE_PGM_RSRC2:TGID_Z_EN: 1
; COMPUTE_PGM_RSRC2:TIDIG_COMP_CNT: 1
	.section	.text._ZN12_GLOBAL__N_127rocblas_gemm_batched_kernelIDF16_Li16ELi16ELi32ELi32ELi8ELi32ELi8ELi8ELi32ELc67ELc78EKPKDF16_S3_KPDF16_EEvlllT_PT11_llS8_llS6_PT12_llPT13_lli,"axG",@progbits,_ZN12_GLOBAL__N_127rocblas_gemm_batched_kernelIDF16_Li16ELi16ELi32ELi32ELi8ELi32ELi8ELi8ELi32ELc67ELc78EKPKDF16_S3_KPDF16_EEvlllT_PT11_llS8_llS6_PT12_llPT13_lli,comdat
	.globl	_ZN12_GLOBAL__N_127rocblas_gemm_batched_kernelIDF16_Li16ELi16ELi32ELi32ELi8ELi32ELi8ELi8ELi32ELc67ELc78EKPKDF16_S3_KPDF16_EEvlllT_PT11_llS8_llS6_PT12_llPT13_lli ; -- Begin function _ZN12_GLOBAL__N_127rocblas_gemm_batched_kernelIDF16_Li16ELi16ELi32ELi32ELi8ELi32ELi8ELi8ELi32ELc67ELc78EKPKDF16_S3_KPDF16_EEvlllT_PT11_llS8_llS6_PT12_llPT13_lli
	.p2align	8
	.type	_ZN12_GLOBAL__N_127rocblas_gemm_batched_kernelIDF16_Li16ELi16ELi32ELi32ELi8ELi32ELi8ELi8ELi32ELc67ELc78EKPKDF16_S3_KPDF16_EEvlllT_PT11_llS8_llS6_PT12_llPT13_lli,@function
_ZN12_GLOBAL__N_127rocblas_gemm_batched_kernelIDF16_Li16ELi16ELi32ELi32ELi8ELi32ELi8ELi8ELi32ELc67ELc78EKPKDF16_S3_KPDF16_EEvlllT_PT11_llS8_llS6_PT12_llPT13_lli: ; @_ZN12_GLOBAL__N_127rocblas_gemm_batched_kernelIDF16_Li16ELi16ELi32ELi32ELi8ELi32ELi8ELi8ELi32ELc67ELc78EKPKDF16_S3_KPDF16_EEvlllT_PT11_llS8_llS6_PT12_llPT13_lli
; %bb.0:
	s_clause 0x1
	s_load_dwordx8 s[12:19], s[4:5], 0x58
	s_load_dwordx2 s[28:29], s[4:5], 0x10
	s_mov_b32 s9, 0
	s_mov_b32 s0, s7
	s_lshl_b64 s[34:35], s[8:9], 3
	s_load_dwordx4 s[8:11], s[4:5], 0x78
	s_waitcnt lgkmcnt(0)
	s_add_u32 s2, s12, s34
	s_addc_u32 s3, s13, s35
	s_add_u32 s18, s18, s34
	s_addc_u32 s19, s19, s35
	s_load_dwordx2 s[12:13], s[2:3], 0x0
	s_load_dwordx2 s[18:19], s[18:19], 0x0
	v_cmp_lt_i64_e64 s2, s[28:29], 1
	s_ashr_i32 s7, s6, 31
	s_ashr_i32 s1, s0, 31
	s_lshl_b64 s[6:7], s[6:7], 5
	s_lshl_b64 s[30:31], s[0:1], 5
	s_and_b32 vcc_lo, exec_lo, s2
	s_cbranch_vccnz .LBB71_3
; %bb.1:
	v_lshlrev_b32_e32 v6, 4, v1
	s_clause 0x1
	s_load_dwordx8 s[20:27], s[4:5], 0x20
	s_load_dwordx4 s[0:3], s[4:5], 0x40
	v_and_b32_e32 v3, 7, v0
	v_add_nc_u32_e32 v2, v6, v0
	v_lshlrev_b32_e32 v12, 1, v3
	v_lshrrev_b32_e32 v7, 3, v2
	v_and_b32_e32 v8, 31, v2
	v_lshrrev_b32_e32 v13, 5, v2
	v_add_co_u32 v2, s33, v7, s30
	v_add_co_ci_u32_e64 v3, null, 0, s31, s33
	v_add_co_u32 v4, s33, s6, v8
	v_add_co_ci_u32_e64 v5, null, s7, 0, s33
	s_waitcnt lgkmcnt(0)
	v_mul_lo_u32 v9, s1, v2
	v_mul_lo_u32 v10, s0, v3
	v_mad_u64_u32 v[2:3], null, s0, v2, 0
	v_mul_lo_u32 v11, s23, v4
	v_mul_lo_u32 v14, s22, v5
	v_mad_u64_u32 v[4:5], null, s22, v4, 0
	s_add_u32 s20, s20, s34
	s_addc_u32 s21, s21, s35
	s_add_u32 s26, s26, s34
	v_add3_u32 v3, v3, v10, v9
	s_addc_u32 s27, s27, s35
	s_load_dwordx2 s[20:21], s[20:21], 0x0
	s_load_dwordx2 s[0:1], s[26:27], 0x0
	v_add3_u32 v5, v5, v14, v11
	v_lshlrev_b64 v[2:3], 1, v[2:3]
	s_lshl_b64 s[2:3], s[2:3], 1
	v_add_nc_u32_e32 v11, 0x200, v6
	v_lshlrev_b32_e32 v6, 1, v13
	v_lshlrev_b64 v[4:5], 1, v[4:5]
	v_lshlrev_b32_e32 v8, 1, v8
	v_add_co_u32 v2, vcc_lo, v2, s2
	v_add_co_ci_u32_e64 v3, null, s3, v3, vcc_lo
	s_lshl_b64 s[2:3], s[24:25], 1
	v_lshl_or_b32 v7, v7, 4, v12
	v_add_co_u32 v4, vcc_lo, v4, s2
	v_add_co_ci_u32_e64 v5, null, s3, v5, vcc_lo
	v_add_co_u32 v2, vcc_lo, v2, v12
	v_add_co_ci_u32_e64 v3, null, 0, v3, vcc_lo
	;; [unrolled: 2-line block ×3, first 2 shown]
	s_waitcnt lgkmcnt(0)
	v_add_co_u32 v2, vcc_lo, s0, v2
	v_add_co_ci_u32_e64 v3, null, s1, v3, vcc_lo
	v_add_co_u32 v4, vcc_lo, s20, v4
	v_lshl_or_b32 v8, v13, 6, v8
	v_add_nc_u32_e32 v9, 0x200, v7
	v_lshlrev_b32_e32 v10, 1, v0
	v_add_co_ci_u32_e64 v5, null, s21, v5, vcc_lo
	v_mov_b32_e32 v6, 0
	v_mov_b32_e32 v7, 0
	s_mov_b64 s[2:3], 0
.LBB71_2:                               ; =>This Inner Loop Header: Depth=1
	flat_load_ushort v12, v[4:5]
	s_add_u32 s2, s2, 8
	s_addc_u32 s3, s3, 0
	v_add_co_u32 v4, vcc_lo, v4, 16
	v_cmp_lt_i64_e64 s0, s[2:3], s[28:29]
	v_add_co_ci_u32_e64 v5, null, 0, v5, vcc_lo
	s_and_b32 vcc_lo, exec_lo, s0
	s_waitcnt vmcnt(0) lgkmcnt(0)
	ds_write_b16 v8, v12
	flat_load_ushort v12, v[2:3]
	v_add_co_u32 v2, s0, v2, 16
	v_add_co_ci_u32_e64 v3, null, 0, v3, s0
	s_waitcnt vmcnt(0) lgkmcnt(0)
	ds_write_b16 v9, v12
	s_waitcnt lgkmcnt(0)
	s_barrier
	buffer_gl0_inv
	ds_read_u16 v20, v10 offset:32
	ds_read_u16 v21, v10 offset:96
	;; [unrolled: 1-line block ×3, first 2 shown]
	ds_read_b128 v[12:15], v11
	ds_read_b128 v[16:19], v11 offset:256
	ds_read_u16 v23, v10 offset:224
	ds_read_u16 v24, v10 offset:288
	;; [unrolled: 1-line block ×5, first 2 shown]
	s_waitcnt lgkmcnt(9)
	ds_read_u16_d16_hi v20, v10
	s_waitcnt lgkmcnt(9)
	ds_read_u16_d16_hi v21, v10 offset:64
	s_waitcnt lgkmcnt(9)
	ds_read_u16_d16_hi v22, v10 offset:128
	;; [unrolled: 2-line block ×7, first 2 shown]
	s_waitcnt lgkmcnt(0)
	s_barrier
	buffer_gl0_inv
	v_pk_fma_f16 v7, v20, v12, v7 op_sel_hi:[1,0,1]
	v_pk_fma_f16 v6, v20, v16, v6 op_sel_hi:[1,0,1]
	v_pk_fma_f16 v7, v21, v12, v7 op_sel:[0,1,0]
	v_pk_fma_f16 v6, v21, v16, v6 op_sel:[0,1,0]
	v_pk_fma_f16 v7, v22, v13, v7 op_sel_hi:[1,0,1]
	v_pk_fma_f16 v6, v22, v17, v6 op_sel_hi:[1,0,1]
	v_pk_fma_f16 v7, v23, v13, v7 op_sel:[0,1,0]
	v_pk_fma_f16 v6, v23, v17, v6 op_sel:[0,1,0]
	;; [unrolled: 4-line block ×4, first 2 shown]
	s_cbranch_vccnz .LBB71_2
	s_branch .LBB71_4
.LBB71_3:
	v_mov_b32_e32 v7, 0
	v_mov_b32_e32 v6, 0
.LBB71_4:
	s_clause 0x1
	s_load_dword s1, s[4:5], 0x50
	s_load_dword s0, s[4:5], 0x18
	v_add_co_u32 v3, s4, s30, v1
	v_add_co_ci_u32_e64 v9, null, s31, 0, s4
	v_add_co_u32 v0, s4, s6, v0
	v_add_co_ci_u32_e64 v1, null, s7, 0, s4
	v_mul_lo_u32 v5, v9, s8
	v_mul_lo_u32 v8, v3, s9
	s_lshl_b64 s[2:3], s[10:11], 1
	v_lshlrev_b64 v[0:1], 1, v[0:1]
	v_lshrrev_b32_e32 v4, 16, v7
	v_lshrrev_b32_e32 v2, 16, v6
	s_waitcnt lgkmcnt(0)
	s_add_u32 s2, s18, s2
	s_addc_u32 s3, s19, s3
	v_cmp_neq_f16_e64 s4, s1, 0
	s_and_b32 vcc_lo, exec_lo, s4
	s_mov_b32 s4, 0
	s_cbranch_vccnz .LBB71_8
; %bb.5:
	v_mad_u64_u32 v[10:11], null, v3, s8, 0
	s_lshl_b64 s[6:7], s[8:9], 5
	v_mul_f16_sdwa v14, s0, v7 dst_sel:DWORD dst_unused:UNUSED_PAD src0_sel:DWORD src1_sel:WORD_1
	v_mul_f16_e32 v15, s0, v7
	v_mul_f16_sdwa v16, s0, v6 dst_sel:DWORD dst_unused:UNUSED_PAD src0_sel:DWORD src1_sel:WORD_1
	v_mul_f16_e32 v17, s0, v6
	v_add3_u32 v11, v11, v8, v5
	v_lshlrev_b64 v[10:11], 1, v[10:11]
	v_add_co_u32 v10, vcc_lo, s2, v10
	v_add_co_ci_u32_e64 v11, null, s3, v11, vcc_lo
	v_add_co_u32 v12, vcc_lo, v10, s6
	v_add_co_ci_u32_e64 v13, null, s7, v11, vcc_lo
	;; [unrolled: 2-line block ×4, first 2 shown]
	flat_store_short v[10:11], v14
	flat_store_short v[10:11], v15 offset:32
	flat_store_short v[12:13], v16
	flat_store_short v[12:13], v17 offset:32
	s_andn2_b32 vcc_lo, exec_lo, s4
	s_cbranch_vccnz .LBB71_7
.LBB71_6:
	v_mul_lo_u32 v11, v9, s14
	v_mul_lo_u32 v12, v3, s15
	v_mad_u64_u32 v[9:10], null, v3, s14, 0
	s_lshl_b64 s[4:5], s[16:17], 1
	s_add_u32 s4, s12, s4
	s_addc_u32 s5, s13, s5
	v_add3_u32 v10, v10, v12, v11
	v_mad_u64_u32 v[11:12], null, v3, s8, 0
	v_lshlrev_b64 v[9:10], 1, v[9:10]
	v_add3_u32 v12, v12, v8, v5
	v_add_co_u32 v13, vcc_lo, s4, v9
	v_add_co_ci_u32_e64 v14, null, s5, v10, vcc_lo
	v_lshlrev_b64 v[11:12], 1, v[11:12]
	v_add_co_u32 v9, vcc_lo, v13, v0
	v_add_co_ci_u32_e64 v10, null, v14, v1, vcc_lo
	v_add_co_u32 v5, vcc_lo, s2, v11
	flat_load_ushort v15, v[9:10]
	v_add_co_ci_u32_e64 v8, null, s3, v12, vcc_lo
	v_add_co_u32 v11, vcc_lo, v5, v0
	s_lshl_b64 s[2:3], s[14:15], 5
	v_add_co_ci_u32_e64 v12, null, v8, v1, vcc_lo
	s_waitcnt vmcnt(0) lgkmcnt(0)
	v_mul_f16_e32 v3, s1, v15
	v_fmac_f16_e32 v3, s0, v4
	flat_store_short v[11:12], v3
	flat_load_ushort v3, v[9:10] offset:32
	s_waitcnt vmcnt(0) lgkmcnt(0)
	v_mul_f16_e32 v9, s1, v3
	v_add_co_u32 v3, vcc_lo, v13, s2
	v_add_co_ci_u32_e64 v4, null, s3, v14, vcc_lo
	v_fmac_f16_e32 v9, s0, v7
	v_add_co_u32 v3, vcc_lo, v3, v0
	v_add_co_ci_u32_e64 v4, null, v4, v1, vcc_lo
	flat_store_short v[11:12], v9 offset:32
	s_lshl_b64 s[2:3], s[8:9], 5
	flat_load_ushort v7, v[3:4]
	v_add_co_u32 v5, vcc_lo, v5, s2
	v_add_co_ci_u32_e64 v8, null, s3, v8, vcc_lo
	v_add_co_u32 v0, vcc_lo, v5, v0
	v_add_co_ci_u32_e64 v1, null, v8, v1, vcc_lo
	s_waitcnt vmcnt(0) lgkmcnt(0)
	v_mul_f16_e32 v7, s1, v7
	v_fmac_f16_e32 v7, s0, v2
	flat_store_short v[0:1], v7
	flat_load_ushort v2, v[3:4] offset:32
	s_waitcnt vmcnt(0) lgkmcnt(0)
	v_mul_f16_e32 v2, s1, v2
	v_fmac_f16_e32 v2, s0, v6
	flat_store_short v[0:1], v2 offset:32
.LBB71_7:
	s_endpgm
.LBB71_8:
	s_branch .LBB71_6
	.section	.rodata,"a",@progbits
	.p2align	6, 0x0
	.amdhsa_kernel _ZN12_GLOBAL__N_127rocblas_gemm_batched_kernelIDF16_Li16ELi16ELi32ELi32ELi8ELi32ELi8ELi8ELi32ELc67ELc78EKPKDF16_S3_KPDF16_EEvlllT_PT11_llS8_llS6_PT12_llPT13_lli
		.amdhsa_group_segment_fixed_size 1024
		.amdhsa_private_segment_fixed_size 0
		.amdhsa_kernarg_size 140
		.amdhsa_user_sgpr_count 6
		.amdhsa_user_sgpr_private_segment_buffer 1
		.amdhsa_user_sgpr_dispatch_ptr 0
		.amdhsa_user_sgpr_queue_ptr 0
		.amdhsa_user_sgpr_kernarg_segment_ptr 1
		.amdhsa_user_sgpr_dispatch_id 0
		.amdhsa_user_sgpr_flat_scratch_init 0
		.amdhsa_user_sgpr_private_segment_size 0
		.amdhsa_wavefront_size32 1
		.amdhsa_uses_dynamic_stack 0
		.amdhsa_system_sgpr_private_segment_wavefront_offset 0
		.amdhsa_system_sgpr_workgroup_id_x 1
		.amdhsa_system_sgpr_workgroup_id_y 1
		.amdhsa_system_sgpr_workgroup_id_z 1
		.amdhsa_system_sgpr_workgroup_info 0
		.amdhsa_system_vgpr_workitem_id 1
		.amdhsa_next_free_vgpr 28
		.amdhsa_next_free_sgpr 36
		.amdhsa_reserve_vcc 1
		.amdhsa_reserve_flat_scratch 0
		.amdhsa_float_round_mode_32 0
		.amdhsa_float_round_mode_16_64 0
		.amdhsa_float_denorm_mode_32 3
		.amdhsa_float_denorm_mode_16_64 3
		.amdhsa_dx10_clamp 1
		.amdhsa_ieee_mode 1
		.amdhsa_fp16_overflow 0
		.amdhsa_workgroup_processor_mode 1
		.amdhsa_memory_ordered 1
		.amdhsa_forward_progress 1
		.amdhsa_shared_vgpr_count 0
		.amdhsa_exception_fp_ieee_invalid_op 0
		.amdhsa_exception_fp_denorm_src 0
		.amdhsa_exception_fp_ieee_div_zero 0
		.amdhsa_exception_fp_ieee_overflow 0
		.amdhsa_exception_fp_ieee_underflow 0
		.amdhsa_exception_fp_ieee_inexact 0
		.amdhsa_exception_int_div_zero 0
	.end_amdhsa_kernel
	.section	.text._ZN12_GLOBAL__N_127rocblas_gemm_batched_kernelIDF16_Li16ELi16ELi32ELi32ELi8ELi32ELi8ELi8ELi32ELc67ELc78EKPKDF16_S3_KPDF16_EEvlllT_PT11_llS8_llS6_PT12_llPT13_lli,"axG",@progbits,_ZN12_GLOBAL__N_127rocblas_gemm_batched_kernelIDF16_Li16ELi16ELi32ELi32ELi8ELi32ELi8ELi8ELi32ELc67ELc78EKPKDF16_S3_KPDF16_EEvlllT_PT11_llS8_llS6_PT12_llPT13_lli,comdat
.Lfunc_end71:
	.size	_ZN12_GLOBAL__N_127rocblas_gemm_batched_kernelIDF16_Li16ELi16ELi32ELi32ELi8ELi32ELi8ELi8ELi32ELc67ELc78EKPKDF16_S3_KPDF16_EEvlllT_PT11_llS8_llS6_PT12_llPT13_lli, .Lfunc_end71-_ZN12_GLOBAL__N_127rocblas_gemm_batched_kernelIDF16_Li16ELi16ELi32ELi32ELi8ELi32ELi8ELi8ELi32ELc67ELc78EKPKDF16_S3_KPDF16_EEvlllT_PT11_llS8_llS6_PT12_llPT13_lli
                                        ; -- End function
	.set _ZN12_GLOBAL__N_127rocblas_gemm_batched_kernelIDF16_Li16ELi16ELi32ELi32ELi8ELi32ELi8ELi8ELi32ELc67ELc78EKPKDF16_S3_KPDF16_EEvlllT_PT11_llS8_llS6_PT12_llPT13_lli.num_vgpr, 28
	.set _ZN12_GLOBAL__N_127rocblas_gemm_batched_kernelIDF16_Li16ELi16ELi32ELi32ELi8ELi32ELi8ELi8ELi32ELc67ELc78EKPKDF16_S3_KPDF16_EEvlllT_PT11_llS8_llS6_PT12_llPT13_lli.num_agpr, 0
	.set _ZN12_GLOBAL__N_127rocblas_gemm_batched_kernelIDF16_Li16ELi16ELi32ELi32ELi8ELi32ELi8ELi8ELi32ELc67ELc78EKPKDF16_S3_KPDF16_EEvlllT_PT11_llS8_llS6_PT12_llPT13_lli.numbered_sgpr, 36
	.set _ZN12_GLOBAL__N_127rocblas_gemm_batched_kernelIDF16_Li16ELi16ELi32ELi32ELi8ELi32ELi8ELi8ELi32ELc67ELc78EKPKDF16_S3_KPDF16_EEvlllT_PT11_llS8_llS6_PT12_llPT13_lli.num_named_barrier, 0
	.set _ZN12_GLOBAL__N_127rocblas_gemm_batched_kernelIDF16_Li16ELi16ELi32ELi32ELi8ELi32ELi8ELi8ELi32ELc67ELc78EKPKDF16_S3_KPDF16_EEvlllT_PT11_llS8_llS6_PT12_llPT13_lli.private_seg_size, 0
	.set _ZN12_GLOBAL__N_127rocblas_gemm_batched_kernelIDF16_Li16ELi16ELi32ELi32ELi8ELi32ELi8ELi8ELi32ELc67ELc78EKPKDF16_S3_KPDF16_EEvlllT_PT11_llS8_llS6_PT12_llPT13_lli.uses_vcc, 1
	.set _ZN12_GLOBAL__N_127rocblas_gemm_batched_kernelIDF16_Li16ELi16ELi32ELi32ELi8ELi32ELi8ELi8ELi32ELc67ELc78EKPKDF16_S3_KPDF16_EEvlllT_PT11_llS8_llS6_PT12_llPT13_lli.uses_flat_scratch, 0
	.set _ZN12_GLOBAL__N_127rocblas_gemm_batched_kernelIDF16_Li16ELi16ELi32ELi32ELi8ELi32ELi8ELi8ELi32ELc67ELc78EKPKDF16_S3_KPDF16_EEvlllT_PT11_llS8_llS6_PT12_llPT13_lli.has_dyn_sized_stack, 0
	.set _ZN12_GLOBAL__N_127rocblas_gemm_batched_kernelIDF16_Li16ELi16ELi32ELi32ELi8ELi32ELi8ELi8ELi32ELc67ELc78EKPKDF16_S3_KPDF16_EEvlllT_PT11_llS8_llS6_PT12_llPT13_lli.has_recursion, 0
	.set _ZN12_GLOBAL__N_127rocblas_gemm_batched_kernelIDF16_Li16ELi16ELi32ELi32ELi8ELi32ELi8ELi8ELi32ELc67ELc78EKPKDF16_S3_KPDF16_EEvlllT_PT11_llS8_llS6_PT12_llPT13_lli.has_indirect_call, 0
	.section	.AMDGPU.csdata,"",@progbits
; Kernel info:
; codeLenInByte = 1520
; TotalNumSgprs: 38
; NumVgprs: 28
; ScratchSize: 0
; MemoryBound: 0
; FloatMode: 240
; IeeeMode: 1
; LDSByteSize: 1024 bytes/workgroup (compile time only)
; SGPRBlocks: 0
; VGPRBlocks: 3
; NumSGPRsForWavesPerEU: 38
; NumVGPRsForWavesPerEU: 28
; Occupancy: 16
; WaveLimiterHint : 1
; COMPUTE_PGM_RSRC2:SCRATCH_EN: 0
; COMPUTE_PGM_RSRC2:USER_SGPR: 6
; COMPUTE_PGM_RSRC2:TRAP_HANDLER: 0
; COMPUTE_PGM_RSRC2:TGID_X_EN: 1
; COMPUTE_PGM_RSRC2:TGID_Y_EN: 1
; COMPUTE_PGM_RSRC2:TGID_Z_EN: 1
; COMPUTE_PGM_RSRC2:TIDIG_COMP_CNT: 1
	.section	.text._ZN12_GLOBAL__N_127rocblas_gemm_batched_kernelIDF16_Li16ELi16ELi32ELi32ELi8ELi32ELi8ELi8ELi32ELc67ELc84EKPKDF16_S3_KPDF16_EEvlllT_PT11_llS8_llS6_PT12_llPT13_lli,"axG",@progbits,_ZN12_GLOBAL__N_127rocblas_gemm_batched_kernelIDF16_Li16ELi16ELi32ELi32ELi8ELi32ELi8ELi8ELi32ELc67ELc84EKPKDF16_S3_KPDF16_EEvlllT_PT11_llS8_llS6_PT12_llPT13_lli,comdat
	.globl	_ZN12_GLOBAL__N_127rocblas_gemm_batched_kernelIDF16_Li16ELi16ELi32ELi32ELi8ELi32ELi8ELi8ELi32ELc67ELc84EKPKDF16_S3_KPDF16_EEvlllT_PT11_llS8_llS6_PT12_llPT13_lli ; -- Begin function _ZN12_GLOBAL__N_127rocblas_gemm_batched_kernelIDF16_Li16ELi16ELi32ELi32ELi8ELi32ELi8ELi8ELi32ELc67ELc84EKPKDF16_S3_KPDF16_EEvlllT_PT11_llS8_llS6_PT12_llPT13_lli
	.p2align	8
	.type	_ZN12_GLOBAL__N_127rocblas_gemm_batched_kernelIDF16_Li16ELi16ELi32ELi32ELi8ELi32ELi8ELi8ELi32ELc67ELc84EKPKDF16_S3_KPDF16_EEvlllT_PT11_llS8_llS6_PT12_llPT13_lli,@function
_ZN12_GLOBAL__N_127rocblas_gemm_batched_kernelIDF16_Li16ELi16ELi32ELi32ELi8ELi32ELi8ELi8ELi32ELc67ELc84EKPKDF16_S3_KPDF16_EEvlllT_PT11_llS8_llS6_PT12_llPT13_lli: ; @_ZN12_GLOBAL__N_127rocblas_gemm_batched_kernelIDF16_Li16ELi16ELi32ELi32ELi8ELi32ELi8ELi8ELi32ELc67ELc84EKPKDF16_S3_KPDF16_EEvlllT_PT11_llS8_llS6_PT12_llPT13_lli
; %bb.0:
	s_clause 0x1
	s_load_dwordx8 s[12:19], s[4:5], 0x58
	s_load_dwordx2 s[28:29], s[4:5], 0x10
	s_mov_b32 s9, 0
	s_mov_b32 s0, s7
	s_lshl_b64 s[34:35], s[8:9], 3
	s_load_dwordx4 s[8:11], s[4:5], 0x78
	v_mov_b32_e32 v3, 0
	s_waitcnt lgkmcnt(0)
	s_add_u32 s2, s12, s34
	s_addc_u32 s3, s13, s35
	s_add_u32 s18, s18, s34
	s_addc_u32 s19, s19, s35
	s_load_dwordx2 s[12:13], s[2:3], 0x0
	s_load_dwordx2 s[18:19], s[18:19], 0x0
	v_cmp_lt_i64_e64 s2, s[28:29], 1
	s_ashr_i32 s7, s6, 31
	s_ashr_i32 s1, s0, 31
	s_lshl_b64 s[6:7], s[6:7], 5
	s_lshl_b64 s[30:31], s[0:1], 5
	s_and_b32 vcc_lo, exec_lo, s2
	s_cbranch_vccnz .LBB72_3
; %bb.1:
	s_clause 0x1
	s_load_dwordx8 s[20:27], s[4:5], 0x20
	s_load_dwordx4 s[0:3], s[4:5], 0x40
	v_lshlrev_b32_e32 v9, 4, v1
	v_and_b32_e32 v11, 7, v0
	v_lshlrev_b32_e32 v8, 1, v0
	v_add_nc_u32_e32 v10, v9, v0
	v_lshlrev_b32_e32 v13, 1, v11
	v_add_nc_u32_e32 v9, 0x200, v9
	v_and_b32_e32 v12, 31, v10
	v_lshrrev_b32_e32 v2, 3, v10
	v_lshrrev_b32_e32 v10, 5, v10
	v_add_co_u32 v6, s33, s6, v12
	v_add_co_ci_u32_e64 v7, null, s7, 0, s33
	s_waitcnt lgkmcnt(0)
	s_add_u32 s20, s20, s34
	s_addc_u32 s21, s21, s35
	s_add_u32 s26, s26, s34
	s_addc_u32 s27, s27, s35
	v_mad_u64_u32 v[4:5], null, s0, v11, v[2:3]
	s_load_dwordx2 s[26:27], s[26:27], 0x0
	v_mul_lo_u32 v14, s23, v6
	v_mul_lo_u32 v15, s22, v7
	v_mad_u64_u32 v[6:7], null, s22, v6, 0
	v_lshlrev_b32_e32 v12, 1, v12
	v_lshl_or_b32 v16, v2, 4, v13
	v_mov_b32_e32 v2, v5
	v_lshlrev_b32_e32 v17, 1, v10
	s_load_dwordx2 s[20:21], s[20:21], 0x0
	v_lshl_or_b32 v10, v10, 6, v12
	v_add3_u32 v7, v7, v15, v14
	v_mad_u64_u32 v[12:13], null, s1, v11, v[2:3]
	s_lshl_b64 s[2:3], s[2:3], 1
	v_add_co_u32 v13, vcc_lo, v4, s30
	v_lshlrev_b64 v[5:6], 1, v[6:7]
	v_add_nc_u32_e32 v11, 0x200, v16
	v_add_co_ci_u32_e64 v14, null, s31, v12, vcc_lo
	s_waitcnt lgkmcnt(0)
	s_add_u32 s22, s26, s2
	s_addc_u32 s23, s27, s3
	s_lshl_b64 s[2:3], s[24:25], 1
	v_add_co_u32 v2, vcc_lo, v5, s2
	v_add_co_ci_u32_e64 v6, null, s3, v6, vcc_lo
	v_lshlrev_b64 v[4:5], 1, v[13:14]
	v_add_co_u32 v2, vcc_lo, v2, v17
	v_add_co_ci_u32_e64 v7, null, 0, v6, vcc_lo
	s_lshl_b64 s[2:3], s[0:1], 4
	v_add_co_u32 v4, vcc_lo, s22, v4
	v_add_co_ci_u32_e64 v5, null, s23, v5, vcc_lo
	v_add_co_u32 v6, vcc_lo, s20, v2
	v_add_co_ci_u32_e64 v7, null, s21, v7, vcc_lo
	v_mov_b32_e32 v2, 0
	s_mov_b64 s[20:21], 0
.LBB72_2:                               ; =>This Inner Loop Header: Depth=1
	flat_load_ushort v12, v[6:7]
	s_add_u32 s20, s20, 8
	s_addc_u32 s21, s21, 0
	v_add_co_u32 v6, vcc_lo, v6, 16
	v_cmp_lt_i64_e64 s0, s[20:21], s[28:29]
	v_add_co_ci_u32_e64 v7, null, 0, v7, vcc_lo
	s_and_b32 vcc_lo, exec_lo, s0
	s_waitcnt vmcnt(0) lgkmcnt(0)
	ds_write_b16 v10, v12
	flat_load_ushort v12, v[4:5]
	v_add_co_u32 v4, s0, v4, s2
	v_add_co_ci_u32_e64 v5, null, s3, v5, s0
	s_waitcnt vmcnt(0) lgkmcnt(0)
	ds_write_b16 v11, v12
	s_waitcnt lgkmcnt(0)
	s_barrier
	buffer_gl0_inv
	ds_read_u16 v20, v8 offset:32
	ds_read_u16 v21, v8 offset:96
	;; [unrolled: 1-line block ×3, first 2 shown]
	ds_read_b128 v[12:15], v9
	ds_read_b128 v[16:19], v9 offset:256
	ds_read_u16 v23, v8 offset:224
	ds_read_u16 v24, v8 offset:288
	;; [unrolled: 1-line block ×5, first 2 shown]
	s_waitcnt lgkmcnt(9)
	ds_read_u16_d16_hi v20, v8
	s_waitcnt lgkmcnt(9)
	ds_read_u16_d16_hi v21, v8 offset:64
	s_waitcnt lgkmcnt(9)
	ds_read_u16_d16_hi v22, v8 offset:128
	;; [unrolled: 2-line block ×7, first 2 shown]
	s_waitcnt lgkmcnt(0)
	s_barrier
	buffer_gl0_inv
	v_pk_fma_f16 v3, v20, v12, v3 op_sel_hi:[1,0,1]
	v_pk_fma_f16 v2, v20, v16, v2 op_sel_hi:[1,0,1]
	v_pk_fma_f16 v3, v21, v12, v3 op_sel:[0,1,0]
	v_pk_fma_f16 v2, v21, v16, v2 op_sel:[0,1,0]
	v_pk_fma_f16 v3, v22, v13, v3 op_sel_hi:[1,0,1]
	v_pk_fma_f16 v2, v22, v17, v2 op_sel_hi:[1,0,1]
	v_pk_fma_f16 v3, v23, v13, v3 op_sel:[0,1,0]
	v_pk_fma_f16 v2, v23, v17, v2 op_sel:[0,1,0]
	;; [unrolled: 4-line block ×4, first 2 shown]
	s_cbranch_vccnz .LBB72_2
	s_branch .LBB72_4
.LBB72_3:
	v_mov_b32_e32 v2, 0
.LBB72_4:
	s_clause 0x1
	s_load_dword s1, s[4:5], 0x50
	s_load_dword s0, s[4:5], 0x18
	v_add_co_u32 v5, s4, s30, v1
	v_add_co_ci_u32_e64 v9, null, s31, 0, s4
	v_add_co_u32 v0, s4, s6, v0
	v_add_co_ci_u32_e64 v1, null, s7, 0, s4
	v_mul_lo_u32 v7, v9, s8
	v_mul_lo_u32 v8, v5, s9
	s_lshl_b64 s[2:3], s[10:11], 1
	v_lshlrev_b64 v[0:1], 1, v[0:1]
	v_lshrrev_b32_e32 v6, 16, v3
	v_lshrrev_b32_e32 v4, 16, v2
	s_waitcnt lgkmcnt(0)
	s_add_u32 s2, s18, s2
	s_addc_u32 s3, s19, s3
	v_cmp_neq_f16_e64 s4, s1, 0
	s_and_b32 vcc_lo, exec_lo, s4
	s_mov_b32 s4, 0
	s_cbranch_vccnz .LBB72_8
; %bb.5:
	v_mad_u64_u32 v[10:11], null, v5, s8, 0
	s_lshl_b64 s[6:7], s[8:9], 5
	v_mul_f16_sdwa v14, s0, v3 dst_sel:DWORD dst_unused:UNUSED_PAD src0_sel:DWORD src1_sel:WORD_1
	v_mul_f16_e32 v15, s0, v3
	v_mul_f16_sdwa v16, s0, v2 dst_sel:DWORD dst_unused:UNUSED_PAD src0_sel:DWORD src1_sel:WORD_1
	v_mul_f16_e32 v17, s0, v2
	v_add3_u32 v11, v11, v8, v7
	v_lshlrev_b64 v[10:11], 1, v[10:11]
	v_add_co_u32 v10, vcc_lo, s2, v10
	v_add_co_ci_u32_e64 v11, null, s3, v11, vcc_lo
	v_add_co_u32 v12, vcc_lo, v10, s6
	v_add_co_ci_u32_e64 v13, null, s7, v11, vcc_lo
	v_add_co_u32 v10, vcc_lo, v10, v0
	v_add_co_ci_u32_e64 v11, null, v11, v1, vcc_lo
	v_add_co_u32 v12, vcc_lo, v12, v0
	v_add_co_ci_u32_e64 v13, null, v13, v1, vcc_lo
	flat_store_short v[10:11], v14
	flat_store_short v[10:11], v15 offset:32
	flat_store_short v[12:13], v16
	flat_store_short v[12:13], v17 offset:32
	s_andn2_b32 vcc_lo, exec_lo, s4
	s_cbranch_vccnz .LBB72_7
.LBB72_6:
	v_mul_lo_u32 v11, v9, s14
	v_mul_lo_u32 v12, v5, s15
	v_mad_u64_u32 v[9:10], null, v5, s14, 0
	s_lshl_b64 s[4:5], s[16:17], 1
	s_add_u32 s4, s12, s4
	s_addc_u32 s5, s13, s5
	v_add3_u32 v10, v10, v12, v11
	v_mad_u64_u32 v[11:12], null, v5, s8, 0
	v_lshlrev_b64 v[9:10], 1, v[9:10]
	v_add3_u32 v12, v12, v8, v7
	v_add_co_u32 v13, vcc_lo, s4, v9
	v_add_co_ci_u32_e64 v14, null, s5, v10, vcc_lo
	v_lshlrev_b64 v[7:8], 1, v[11:12]
	v_add_co_u32 v9, vcc_lo, v13, v0
	v_add_co_ci_u32_e64 v10, null, v14, v1, vcc_lo
	v_add_co_u32 v11, vcc_lo, s2, v7
	flat_load_ushort v15, v[9:10]
	v_add_co_ci_u32_e64 v12, null, s3, v8, vcc_lo
	v_add_co_u32 v7, vcc_lo, v11, v0
	s_lshl_b64 s[2:3], s[14:15], 5
	v_add_co_ci_u32_e64 v8, null, v12, v1, vcc_lo
	s_waitcnt vmcnt(0) lgkmcnt(0)
	v_mul_f16_e32 v5, s1, v15
	v_fmac_f16_e32 v5, s0, v6
	flat_store_short v[7:8], v5
	flat_load_ushort v5, v[9:10] offset:32
	s_waitcnt vmcnt(0) lgkmcnt(0)
	v_mul_f16_e32 v9, s1, v5
	v_add_co_u32 v5, vcc_lo, v13, s2
	v_add_co_ci_u32_e64 v6, null, s3, v14, vcc_lo
	v_fmac_f16_e32 v9, s0, v3
	v_add_co_u32 v5, vcc_lo, v5, v0
	v_add_co_ci_u32_e64 v6, null, v6, v1, vcc_lo
	flat_store_short v[7:8], v9 offset:32
	s_lshl_b64 s[2:3], s[8:9], 5
	flat_load_ushort v3, v[5:6]
	v_add_co_u32 v7, vcc_lo, v11, s2
	v_add_co_ci_u32_e64 v8, null, s3, v12, vcc_lo
	v_add_co_u32 v0, vcc_lo, v7, v0
	v_add_co_ci_u32_e64 v1, null, v8, v1, vcc_lo
	s_waitcnt vmcnt(0) lgkmcnt(0)
	v_mul_f16_e32 v3, s1, v3
	v_fmac_f16_e32 v3, s0, v4
	flat_store_short v[0:1], v3
	flat_load_ushort v3, v[5:6] offset:32
	s_waitcnt vmcnt(0) lgkmcnt(0)
	v_mul_f16_e32 v3, s1, v3
	v_fmac_f16_e32 v3, s0, v2
	flat_store_short v[0:1], v3 offset:32
.LBB72_7:
	s_endpgm
.LBB72_8:
	s_branch .LBB72_6
	.section	.rodata,"a",@progbits
	.p2align	6, 0x0
	.amdhsa_kernel _ZN12_GLOBAL__N_127rocblas_gemm_batched_kernelIDF16_Li16ELi16ELi32ELi32ELi8ELi32ELi8ELi8ELi32ELc67ELc84EKPKDF16_S3_KPDF16_EEvlllT_PT11_llS8_llS6_PT12_llPT13_lli
		.amdhsa_group_segment_fixed_size 1024
		.amdhsa_private_segment_fixed_size 0
		.amdhsa_kernarg_size 140
		.amdhsa_user_sgpr_count 6
		.amdhsa_user_sgpr_private_segment_buffer 1
		.amdhsa_user_sgpr_dispatch_ptr 0
		.amdhsa_user_sgpr_queue_ptr 0
		.amdhsa_user_sgpr_kernarg_segment_ptr 1
		.amdhsa_user_sgpr_dispatch_id 0
		.amdhsa_user_sgpr_flat_scratch_init 0
		.amdhsa_user_sgpr_private_segment_size 0
		.amdhsa_wavefront_size32 1
		.amdhsa_uses_dynamic_stack 0
		.amdhsa_system_sgpr_private_segment_wavefront_offset 0
		.amdhsa_system_sgpr_workgroup_id_x 1
		.amdhsa_system_sgpr_workgroup_id_y 1
		.amdhsa_system_sgpr_workgroup_id_z 1
		.amdhsa_system_sgpr_workgroup_info 0
		.amdhsa_system_vgpr_workitem_id 1
		.amdhsa_next_free_vgpr 28
		.amdhsa_next_free_sgpr 36
		.amdhsa_reserve_vcc 1
		.amdhsa_reserve_flat_scratch 0
		.amdhsa_float_round_mode_32 0
		.amdhsa_float_round_mode_16_64 0
		.amdhsa_float_denorm_mode_32 3
		.amdhsa_float_denorm_mode_16_64 3
		.amdhsa_dx10_clamp 1
		.amdhsa_ieee_mode 1
		.amdhsa_fp16_overflow 0
		.amdhsa_workgroup_processor_mode 1
		.amdhsa_memory_ordered 1
		.amdhsa_forward_progress 1
		.amdhsa_shared_vgpr_count 0
		.amdhsa_exception_fp_ieee_invalid_op 0
		.amdhsa_exception_fp_denorm_src 0
		.amdhsa_exception_fp_ieee_div_zero 0
		.amdhsa_exception_fp_ieee_overflow 0
		.amdhsa_exception_fp_ieee_underflow 0
		.amdhsa_exception_fp_ieee_inexact 0
		.amdhsa_exception_int_div_zero 0
	.end_amdhsa_kernel
	.section	.text._ZN12_GLOBAL__N_127rocblas_gemm_batched_kernelIDF16_Li16ELi16ELi32ELi32ELi8ELi32ELi8ELi8ELi32ELc67ELc84EKPKDF16_S3_KPDF16_EEvlllT_PT11_llS8_llS6_PT12_llPT13_lli,"axG",@progbits,_ZN12_GLOBAL__N_127rocblas_gemm_batched_kernelIDF16_Li16ELi16ELi32ELi32ELi8ELi32ELi8ELi8ELi32ELc67ELc84EKPKDF16_S3_KPDF16_EEvlllT_PT11_llS8_llS6_PT12_llPT13_lli,comdat
.Lfunc_end72:
	.size	_ZN12_GLOBAL__N_127rocblas_gemm_batched_kernelIDF16_Li16ELi16ELi32ELi32ELi8ELi32ELi8ELi8ELi32ELc67ELc84EKPKDF16_S3_KPDF16_EEvlllT_PT11_llS8_llS6_PT12_llPT13_lli, .Lfunc_end72-_ZN12_GLOBAL__N_127rocblas_gemm_batched_kernelIDF16_Li16ELi16ELi32ELi32ELi8ELi32ELi8ELi8ELi32ELc67ELc84EKPKDF16_S3_KPDF16_EEvlllT_PT11_llS8_llS6_PT12_llPT13_lli
                                        ; -- End function
	.set _ZN12_GLOBAL__N_127rocblas_gemm_batched_kernelIDF16_Li16ELi16ELi32ELi32ELi8ELi32ELi8ELi8ELi32ELc67ELc84EKPKDF16_S3_KPDF16_EEvlllT_PT11_llS8_llS6_PT12_llPT13_lli.num_vgpr, 28
	.set _ZN12_GLOBAL__N_127rocblas_gemm_batched_kernelIDF16_Li16ELi16ELi32ELi32ELi8ELi32ELi8ELi8ELi32ELc67ELc84EKPKDF16_S3_KPDF16_EEvlllT_PT11_llS8_llS6_PT12_llPT13_lli.num_agpr, 0
	.set _ZN12_GLOBAL__N_127rocblas_gemm_batched_kernelIDF16_Li16ELi16ELi32ELi32ELi8ELi32ELi8ELi8ELi32ELc67ELc84EKPKDF16_S3_KPDF16_EEvlllT_PT11_llS8_llS6_PT12_llPT13_lli.numbered_sgpr, 36
	.set _ZN12_GLOBAL__N_127rocblas_gemm_batched_kernelIDF16_Li16ELi16ELi32ELi32ELi8ELi32ELi8ELi8ELi32ELc67ELc84EKPKDF16_S3_KPDF16_EEvlllT_PT11_llS8_llS6_PT12_llPT13_lli.num_named_barrier, 0
	.set _ZN12_GLOBAL__N_127rocblas_gemm_batched_kernelIDF16_Li16ELi16ELi32ELi32ELi8ELi32ELi8ELi8ELi32ELc67ELc84EKPKDF16_S3_KPDF16_EEvlllT_PT11_llS8_llS6_PT12_llPT13_lli.private_seg_size, 0
	.set _ZN12_GLOBAL__N_127rocblas_gemm_batched_kernelIDF16_Li16ELi16ELi32ELi32ELi8ELi32ELi8ELi8ELi32ELc67ELc84EKPKDF16_S3_KPDF16_EEvlllT_PT11_llS8_llS6_PT12_llPT13_lli.uses_vcc, 1
	.set _ZN12_GLOBAL__N_127rocblas_gemm_batched_kernelIDF16_Li16ELi16ELi32ELi32ELi8ELi32ELi8ELi8ELi32ELc67ELc84EKPKDF16_S3_KPDF16_EEvlllT_PT11_llS8_llS6_PT12_llPT13_lli.uses_flat_scratch, 0
	.set _ZN12_GLOBAL__N_127rocblas_gemm_batched_kernelIDF16_Li16ELi16ELi32ELi32ELi8ELi32ELi8ELi8ELi32ELc67ELc84EKPKDF16_S3_KPDF16_EEvlllT_PT11_llS8_llS6_PT12_llPT13_lli.has_dyn_sized_stack, 0
	.set _ZN12_GLOBAL__N_127rocblas_gemm_batched_kernelIDF16_Li16ELi16ELi32ELi32ELi8ELi32ELi8ELi8ELi32ELc67ELc84EKPKDF16_S3_KPDF16_EEvlllT_PT11_llS8_llS6_PT12_llPT13_lli.has_recursion, 0
	.set _ZN12_GLOBAL__N_127rocblas_gemm_batched_kernelIDF16_Li16ELi16ELi32ELi32ELi8ELi32ELi8ELi8ELi32ELc67ELc84EKPKDF16_S3_KPDF16_EEvlllT_PT11_llS8_llS6_PT12_llPT13_lli.has_indirect_call, 0
	.section	.AMDGPU.csdata,"",@progbits
; Kernel info:
; codeLenInByte = 1484
; TotalNumSgprs: 38
; NumVgprs: 28
; ScratchSize: 0
; MemoryBound: 0
; FloatMode: 240
; IeeeMode: 1
; LDSByteSize: 1024 bytes/workgroup (compile time only)
; SGPRBlocks: 0
; VGPRBlocks: 3
; NumSGPRsForWavesPerEU: 38
; NumVGPRsForWavesPerEU: 28
; Occupancy: 16
; WaveLimiterHint : 1
; COMPUTE_PGM_RSRC2:SCRATCH_EN: 0
; COMPUTE_PGM_RSRC2:USER_SGPR: 6
; COMPUTE_PGM_RSRC2:TRAP_HANDLER: 0
; COMPUTE_PGM_RSRC2:TGID_X_EN: 1
; COMPUTE_PGM_RSRC2:TGID_Y_EN: 1
; COMPUTE_PGM_RSRC2:TGID_Z_EN: 1
; COMPUTE_PGM_RSRC2:TIDIG_COMP_CNT: 1
	.section	.text._ZN12_GLOBAL__N_127rocblas_gemm_batched_kernelIDF16_Li16ELi16ELi32ELi32ELi8ELi32ELi8ELi8ELi32ELc78ELc67EKPKDF16_S3_KPDF16_EEvlllT_PT11_llS8_llS6_PT12_llPT13_lli,"axG",@progbits,_ZN12_GLOBAL__N_127rocblas_gemm_batched_kernelIDF16_Li16ELi16ELi32ELi32ELi8ELi32ELi8ELi8ELi32ELc78ELc67EKPKDF16_S3_KPDF16_EEvlllT_PT11_llS8_llS6_PT12_llPT13_lli,comdat
	.globl	_ZN12_GLOBAL__N_127rocblas_gemm_batched_kernelIDF16_Li16ELi16ELi32ELi32ELi8ELi32ELi8ELi8ELi32ELc78ELc67EKPKDF16_S3_KPDF16_EEvlllT_PT11_llS8_llS6_PT12_llPT13_lli ; -- Begin function _ZN12_GLOBAL__N_127rocblas_gemm_batched_kernelIDF16_Li16ELi16ELi32ELi32ELi8ELi32ELi8ELi8ELi32ELc78ELc67EKPKDF16_S3_KPDF16_EEvlllT_PT11_llS8_llS6_PT12_llPT13_lli
	.p2align	8
	.type	_ZN12_GLOBAL__N_127rocblas_gemm_batched_kernelIDF16_Li16ELi16ELi32ELi32ELi8ELi32ELi8ELi8ELi32ELc78ELc67EKPKDF16_S3_KPDF16_EEvlllT_PT11_llS8_llS6_PT12_llPT13_lli,@function
_ZN12_GLOBAL__N_127rocblas_gemm_batched_kernelIDF16_Li16ELi16ELi32ELi32ELi8ELi32ELi8ELi8ELi32ELc78ELc67EKPKDF16_S3_KPDF16_EEvlllT_PT11_llS8_llS6_PT12_llPT13_lli: ; @_ZN12_GLOBAL__N_127rocblas_gemm_batched_kernelIDF16_Li16ELi16ELi32ELi32ELi8ELi32ELi8ELi8ELi32ELc78ELc67EKPKDF16_S3_KPDF16_EEvlllT_PT11_llS8_llS6_PT12_llPT13_lli
; %bb.0:
	s_clause 0x1
	s_load_dwordx8 s[12:19], s[4:5], 0x58
	s_load_dwordx2 s[28:29], s[4:5], 0x10
	s_mov_b32 s9, 0
	s_mov_b32 s0, s7
	s_lshl_b64 s[34:35], s[8:9], 3
	s_load_dwordx4 s[8:11], s[4:5], 0x78
	v_mov_b32_e32 v3, 0
	s_waitcnt lgkmcnt(0)
	s_add_u32 s2, s12, s34
	s_addc_u32 s3, s13, s35
	s_add_u32 s18, s18, s34
	s_addc_u32 s19, s19, s35
	s_load_dwordx2 s[12:13], s[2:3], 0x0
	s_load_dwordx2 s[18:19], s[18:19], 0x0
	v_cmp_lt_i64_e64 s2, s[28:29], 1
	s_ashr_i32 s7, s6, 31
	s_ashr_i32 s1, s0, 31
	s_lshl_b64 s[6:7], s[6:7], 5
	s_lshl_b64 s[30:31], s[0:1], 5
	s_and_b32 vcc_lo, exec_lo, s2
	s_cbranch_vccnz .LBB73_3
; %bb.1:
	s_clause 0x1
	s_load_dwordx8 s[20:27], s[4:5], 0x20
	s_load_dwordx4 s[0:3], s[4:5], 0x40
	v_lshlrev_b32_e32 v9, 4, v1
	v_and_b32_e32 v11, 7, v0
	v_lshlrev_b32_e32 v8, 1, v0
	v_add_nc_u32_e32 v4, v9, v0
	v_lshlrev_b32_e32 v10, 1, v11
	v_add_nc_u32_e32 v9, 0x200, v9
	v_lshrrev_b32_e32 v2, 3, v4
	v_lshrrev_b32_e32 v14, 5, v4
	v_and_b32_e32 v15, 31, v4
	v_lshl_or_b32 v16, v2, 4, v10
	v_lshlrev_b32_e32 v12, 1, v15
	s_waitcnt lgkmcnt(0)
	v_mad_u64_u32 v[6:7], null, s22, v14, s[6:7]
	v_mad_u64_u32 v[4:5], null, s0, v11, v[2:3]
	s_add_u32 s20, s20, s34
	s_addc_u32 s21, s21, s35
	s_add_u32 s26, s26, s34
	s_addc_u32 s27, s27, s35
	s_load_dwordx2 s[20:21], s[20:21], 0x0
	s_load_dwordx2 s[26:27], s[26:27], 0x0
	v_mov_b32_e32 v2, v5
	v_mov_b32_e32 v5, v7
	v_lshl_or_b32 v10, v14, 6, v12
	v_add_co_u32 v4, vcc_lo, v4, s30
	v_mad_u64_u32 v[12:13], null, s1, v11, v[2:3]
	v_mad_u64_u32 v[13:14], null, s23, v14, v[5:6]
	s_lshl_b64 s[2:3], s[2:3], 1
	v_add_nc_u32_e32 v11, 0x200, v16
	v_mov_b32_e32 v2, 0
	v_add_co_ci_u32_e64 v5, null, s31, v12, vcc_lo
	v_add_co_u32 v6, vcc_lo, v6, v15
	v_add_co_ci_u32_e64 v7, null, 0, v13, vcc_lo
	v_lshlrev_b64 v[4:5], 1, v[4:5]
	s_waitcnt lgkmcnt(0)
	s_add_u32 s26, s26, s2
	s_addc_u32 s27, s27, s3
	v_lshlrev_b64 v[6:7], 1, v[6:7]
	s_lshl_b64 s[2:3], s[0:1], 4
	s_lshl_b64 s[0:1], s[24:25], 1
	v_add_co_u32 v4, vcc_lo, s26, v4
	s_add_u32 s0, s20, s0
	s_addc_u32 s1, s21, s1
	v_add_co_ci_u32_e64 v5, null, s27, v5, vcc_lo
	v_add_co_u32 v6, vcc_lo, s0, v6
	v_add_co_ci_u32_e64 v7, null, s1, v7, vcc_lo
	s_lshl_b64 s[20:21], s[22:23], 4
	s_mov_b64 s[22:23], 0
.LBB73_2:                               ; =>This Inner Loop Header: Depth=1
	flat_load_ushort v12, v[6:7]
	s_add_u32 s22, s22, 8
	s_addc_u32 s23, s23, 0
	v_add_co_u32 v6, vcc_lo, v6, s20
	v_cmp_lt_i64_e64 s0, s[22:23], s[28:29]
	v_add_co_ci_u32_e64 v7, null, s21, v7, vcc_lo
	s_and_b32 vcc_lo, exec_lo, s0
	s_waitcnt vmcnt(0) lgkmcnt(0)
	ds_write_b16 v10, v12
	flat_load_ushort v12, v[4:5]
	v_add_co_u32 v4, s0, v4, s2
	v_add_co_ci_u32_e64 v5, null, s3, v5, s0
	s_waitcnt vmcnt(0) lgkmcnt(0)
	ds_write_b16 v11, v12
	s_waitcnt lgkmcnt(0)
	s_barrier
	buffer_gl0_inv
	ds_read_u16 v20, v8 offset:32
	ds_read_u16 v21, v8 offset:96
	;; [unrolled: 1-line block ×3, first 2 shown]
	ds_read_b128 v[12:15], v9
	ds_read_b128 v[16:19], v9 offset:256
	ds_read_u16 v23, v8 offset:224
	ds_read_u16 v24, v8 offset:288
	;; [unrolled: 1-line block ×5, first 2 shown]
	s_waitcnt lgkmcnt(9)
	ds_read_u16_d16_hi v20, v8
	s_waitcnt lgkmcnt(9)
	ds_read_u16_d16_hi v21, v8 offset:64
	s_waitcnt lgkmcnt(9)
	ds_read_u16_d16_hi v22, v8 offset:128
	;; [unrolled: 2-line block ×7, first 2 shown]
	s_waitcnt lgkmcnt(0)
	s_barrier
	buffer_gl0_inv
	v_pk_fma_f16 v3, v20, v12, v3 op_sel_hi:[1,0,1]
	v_pk_fma_f16 v2, v20, v16, v2 op_sel_hi:[1,0,1]
	v_pk_fma_f16 v3, v21, v12, v3 op_sel:[0,1,0]
	v_pk_fma_f16 v2, v21, v16, v2 op_sel:[0,1,0]
	v_pk_fma_f16 v3, v22, v13, v3 op_sel_hi:[1,0,1]
	v_pk_fma_f16 v2, v22, v17, v2 op_sel_hi:[1,0,1]
	v_pk_fma_f16 v3, v23, v13, v3 op_sel:[0,1,0]
	v_pk_fma_f16 v2, v23, v17, v2 op_sel:[0,1,0]
	;; [unrolled: 4-line block ×4, first 2 shown]
	s_cbranch_vccnz .LBB73_2
	s_branch .LBB73_4
.LBB73_3:
	v_mov_b32_e32 v2, 0
.LBB73_4:
	s_clause 0x1
	s_load_dword s1, s[4:5], 0x50
	s_load_dword s0, s[4:5], 0x18
	v_add_co_u32 v5, s4, s30, v1
	v_add_co_ci_u32_e64 v9, null, s31, 0, s4
	v_add_co_u32 v0, s4, s6, v0
	v_add_co_ci_u32_e64 v1, null, s7, 0, s4
	v_mul_lo_u32 v7, v9, s8
	v_mul_lo_u32 v8, v5, s9
	s_lshl_b64 s[2:3], s[10:11], 1
	v_lshlrev_b64 v[0:1], 1, v[0:1]
	v_lshrrev_b32_e32 v6, 16, v3
	v_lshrrev_b32_e32 v4, 16, v2
	s_waitcnt lgkmcnt(0)
	s_add_u32 s2, s18, s2
	s_addc_u32 s3, s19, s3
	v_cmp_neq_f16_e64 s4, s1, 0
	s_and_b32 vcc_lo, exec_lo, s4
	s_mov_b32 s4, 0
	s_cbranch_vccnz .LBB73_8
; %bb.5:
	v_mad_u64_u32 v[10:11], null, v5, s8, 0
	s_lshl_b64 s[6:7], s[8:9], 5
	v_mul_f16_sdwa v14, s0, v3 dst_sel:DWORD dst_unused:UNUSED_PAD src0_sel:DWORD src1_sel:WORD_1
	v_mul_f16_e32 v15, s0, v3
	v_mul_f16_sdwa v16, s0, v2 dst_sel:DWORD dst_unused:UNUSED_PAD src0_sel:DWORD src1_sel:WORD_1
	v_mul_f16_e32 v17, s0, v2
	v_add3_u32 v11, v11, v8, v7
	v_lshlrev_b64 v[10:11], 1, v[10:11]
	v_add_co_u32 v10, vcc_lo, s2, v10
	v_add_co_ci_u32_e64 v11, null, s3, v11, vcc_lo
	v_add_co_u32 v12, vcc_lo, v10, s6
	v_add_co_ci_u32_e64 v13, null, s7, v11, vcc_lo
	;; [unrolled: 2-line block ×4, first 2 shown]
	flat_store_short v[10:11], v14
	flat_store_short v[10:11], v15 offset:32
	flat_store_short v[12:13], v16
	flat_store_short v[12:13], v17 offset:32
	s_andn2_b32 vcc_lo, exec_lo, s4
	s_cbranch_vccnz .LBB73_7
.LBB73_6:
	v_mul_lo_u32 v11, v9, s14
	v_mul_lo_u32 v12, v5, s15
	v_mad_u64_u32 v[9:10], null, v5, s14, 0
	s_lshl_b64 s[4:5], s[16:17], 1
	s_add_u32 s4, s12, s4
	s_addc_u32 s5, s13, s5
	v_add3_u32 v10, v10, v12, v11
	v_mad_u64_u32 v[11:12], null, v5, s8, 0
	v_lshlrev_b64 v[9:10], 1, v[9:10]
	v_add3_u32 v12, v12, v8, v7
	v_add_co_u32 v13, vcc_lo, s4, v9
	v_add_co_ci_u32_e64 v14, null, s5, v10, vcc_lo
	v_lshlrev_b64 v[7:8], 1, v[11:12]
	v_add_co_u32 v9, vcc_lo, v13, v0
	v_add_co_ci_u32_e64 v10, null, v14, v1, vcc_lo
	v_add_co_u32 v11, vcc_lo, s2, v7
	flat_load_ushort v15, v[9:10]
	v_add_co_ci_u32_e64 v12, null, s3, v8, vcc_lo
	v_add_co_u32 v7, vcc_lo, v11, v0
	s_lshl_b64 s[2:3], s[14:15], 5
	v_add_co_ci_u32_e64 v8, null, v12, v1, vcc_lo
	s_waitcnt vmcnt(0) lgkmcnt(0)
	v_mul_f16_e32 v5, s1, v15
	v_fmac_f16_e32 v5, s0, v6
	flat_store_short v[7:8], v5
	flat_load_ushort v5, v[9:10] offset:32
	s_waitcnt vmcnt(0) lgkmcnt(0)
	v_mul_f16_e32 v9, s1, v5
	v_add_co_u32 v5, vcc_lo, v13, s2
	v_add_co_ci_u32_e64 v6, null, s3, v14, vcc_lo
	v_fmac_f16_e32 v9, s0, v3
	v_add_co_u32 v5, vcc_lo, v5, v0
	v_add_co_ci_u32_e64 v6, null, v6, v1, vcc_lo
	flat_store_short v[7:8], v9 offset:32
	s_lshl_b64 s[2:3], s[8:9], 5
	flat_load_ushort v3, v[5:6]
	v_add_co_u32 v7, vcc_lo, v11, s2
	v_add_co_ci_u32_e64 v8, null, s3, v12, vcc_lo
	v_add_co_u32 v0, vcc_lo, v7, v0
	v_add_co_ci_u32_e64 v1, null, v8, v1, vcc_lo
	s_waitcnt vmcnt(0) lgkmcnt(0)
	v_mul_f16_e32 v3, s1, v3
	v_fmac_f16_e32 v3, s0, v4
	flat_store_short v[0:1], v3
	flat_load_ushort v3, v[5:6] offset:32
	s_waitcnt vmcnt(0) lgkmcnt(0)
	v_mul_f16_e32 v3, s1, v3
	v_fmac_f16_e32 v3, s0, v2
	flat_store_short v[0:1], v3 offset:32
.LBB73_7:
	s_endpgm
.LBB73_8:
	s_branch .LBB73_6
	.section	.rodata,"a",@progbits
	.p2align	6, 0x0
	.amdhsa_kernel _ZN12_GLOBAL__N_127rocblas_gemm_batched_kernelIDF16_Li16ELi16ELi32ELi32ELi8ELi32ELi8ELi8ELi32ELc78ELc67EKPKDF16_S3_KPDF16_EEvlllT_PT11_llS8_llS6_PT12_llPT13_lli
		.amdhsa_group_segment_fixed_size 1024
		.amdhsa_private_segment_fixed_size 0
		.amdhsa_kernarg_size 140
		.amdhsa_user_sgpr_count 6
		.amdhsa_user_sgpr_private_segment_buffer 1
		.amdhsa_user_sgpr_dispatch_ptr 0
		.amdhsa_user_sgpr_queue_ptr 0
		.amdhsa_user_sgpr_kernarg_segment_ptr 1
		.amdhsa_user_sgpr_dispatch_id 0
		.amdhsa_user_sgpr_flat_scratch_init 0
		.amdhsa_user_sgpr_private_segment_size 0
		.amdhsa_wavefront_size32 1
		.amdhsa_uses_dynamic_stack 0
		.amdhsa_system_sgpr_private_segment_wavefront_offset 0
		.amdhsa_system_sgpr_workgroup_id_x 1
		.amdhsa_system_sgpr_workgroup_id_y 1
		.amdhsa_system_sgpr_workgroup_id_z 1
		.amdhsa_system_sgpr_workgroup_info 0
		.amdhsa_system_vgpr_workitem_id 1
		.amdhsa_next_free_vgpr 28
		.amdhsa_next_free_sgpr 36
		.amdhsa_reserve_vcc 1
		.amdhsa_reserve_flat_scratch 0
		.amdhsa_float_round_mode_32 0
		.amdhsa_float_round_mode_16_64 0
		.amdhsa_float_denorm_mode_32 3
		.amdhsa_float_denorm_mode_16_64 3
		.amdhsa_dx10_clamp 1
		.amdhsa_ieee_mode 1
		.amdhsa_fp16_overflow 0
		.amdhsa_workgroup_processor_mode 1
		.amdhsa_memory_ordered 1
		.amdhsa_forward_progress 1
		.amdhsa_shared_vgpr_count 0
		.amdhsa_exception_fp_ieee_invalid_op 0
		.amdhsa_exception_fp_denorm_src 0
		.amdhsa_exception_fp_ieee_div_zero 0
		.amdhsa_exception_fp_ieee_overflow 0
		.amdhsa_exception_fp_ieee_underflow 0
		.amdhsa_exception_fp_ieee_inexact 0
		.amdhsa_exception_int_div_zero 0
	.end_amdhsa_kernel
	.section	.text._ZN12_GLOBAL__N_127rocblas_gemm_batched_kernelIDF16_Li16ELi16ELi32ELi32ELi8ELi32ELi8ELi8ELi32ELc78ELc67EKPKDF16_S3_KPDF16_EEvlllT_PT11_llS8_llS6_PT12_llPT13_lli,"axG",@progbits,_ZN12_GLOBAL__N_127rocblas_gemm_batched_kernelIDF16_Li16ELi16ELi32ELi32ELi8ELi32ELi8ELi8ELi32ELc78ELc67EKPKDF16_S3_KPDF16_EEvlllT_PT11_llS8_llS6_PT12_llPT13_lli,comdat
.Lfunc_end73:
	.size	_ZN12_GLOBAL__N_127rocblas_gemm_batched_kernelIDF16_Li16ELi16ELi32ELi32ELi8ELi32ELi8ELi8ELi32ELc78ELc67EKPKDF16_S3_KPDF16_EEvlllT_PT11_llS8_llS6_PT12_llPT13_lli, .Lfunc_end73-_ZN12_GLOBAL__N_127rocblas_gemm_batched_kernelIDF16_Li16ELi16ELi32ELi32ELi8ELi32ELi8ELi8ELi32ELc78ELc67EKPKDF16_S3_KPDF16_EEvlllT_PT11_llS8_llS6_PT12_llPT13_lli
                                        ; -- End function
	.set _ZN12_GLOBAL__N_127rocblas_gemm_batched_kernelIDF16_Li16ELi16ELi32ELi32ELi8ELi32ELi8ELi8ELi32ELc78ELc67EKPKDF16_S3_KPDF16_EEvlllT_PT11_llS8_llS6_PT12_llPT13_lli.num_vgpr, 28
	.set _ZN12_GLOBAL__N_127rocblas_gemm_batched_kernelIDF16_Li16ELi16ELi32ELi32ELi8ELi32ELi8ELi8ELi32ELc78ELc67EKPKDF16_S3_KPDF16_EEvlllT_PT11_llS8_llS6_PT12_llPT13_lli.num_agpr, 0
	.set _ZN12_GLOBAL__N_127rocblas_gemm_batched_kernelIDF16_Li16ELi16ELi32ELi32ELi8ELi32ELi8ELi8ELi32ELc78ELc67EKPKDF16_S3_KPDF16_EEvlllT_PT11_llS8_llS6_PT12_llPT13_lli.numbered_sgpr, 36
	.set _ZN12_GLOBAL__N_127rocblas_gemm_batched_kernelIDF16_Li16ELi16ELi32ELi32ELi8ELi32ELi8ELi8ELi32ELc78ELc67EKPKDF16_S3_KPDF16_EEvlllT_PT11_llS8_llS6_PT12_llPT13_lli.num_named_barrier, 0
	.set _ZN12_GLOBAL__N_127rocblas_gemm_batched_kernelIDF16_Li16ELi16ELi32ELi32ELi8ELi32ELi8ELi8ELi32ELc78ELc67EKPKDF16_S3_KPDF16_EEvlllT_PT11_llS8_llS6_PT12_llPT13_lli.private_seg_size, 0
	.set _ZN12_GLOBAL__N_127rocblas_gemm_batched_kernelIDF16_Li16ELi16ELi32ELi32ELi8ELi32ELi8ELi8ELi32ELc78ELc67EKPKDF16_S3_KPDF16_EEvlllT_PT11_llS8_llS6_PT12_llPT13_lli.uses_vcc, 1
	.set _ZN12_GLOBAL__N_127rocblas_gemm_batched_kernelIDF16_Li16ELi16ELi32ELi32ELi8ELi32ELi8ELi8ELi32ELc78ELc67EKPKDF16_S3_KPDF16_EEvlllT_PT11_llS8_llS6_PT12_llPT13_lli.uses_flat_scratch, 0
	.set _ZN12_GLOBAL__N_127rocblas_gemm_batched_kernelIDF16_Li16ELi16ELi32ELi32ELi8ELi32ELi8ELi8ELi32ELc78ELc67EKPKDF16_S3_KPDF16_EEvlllT_PT11_llS8_llS6_PT12_llPT13_lli.has_dyn_sized_stack, 0
	.set _ZN12_GLOBAL__N_127rocblas_gemm_batched_kernelIDF16_Li16ELi16ELi32ELi32ELi8ELi32ELi8ELi8ELi32ELc78ELc67EKPKDF16_S3_KPDF16_EEvlllT_PT11_llS8_llS6_PT12_llPT13_lli.has_recursion, 0
	.set _ZN12_GLOBAL__N_127rocblas_gemm_batched_kernelIDF16_Li16ELi16ELi32ELi32ELi8ELi32ELi8ELi8ELi32ELc78ELc67EKPKDF16_S3_KPDF16_EEvlllT_PT11_llS8_llS6_PT12_llPT13_lli.has_indirect_call, 0
	.section	.AMDGPU.csdata,"",@progbits
; Kernel info:
; codeLenInByte = 1448
; TotalNumSgprs: 38
; NumVgprs: 28
; ScratchSize: 0
; MemoryBound: 0
; FloatMode: 240
; IeeeMode: 1
; LDSByteSize: 1024 bytes/workgroup (compile time only)
; SGPRBlocks: 0
; VGPRBlocks: 3
; NumSGPRsForWavesPerEU: 38
; NumVGPRsForWavesPerEU: 28
; Occupancy: 16
; WaveLimiterHint : 1
; COMPUTE_PGM_RSRC2:SCRATCH_EN: 0
; COMPUTE_PGM_RSRC2:USER_SGPR: 6
; COMPUTE_PGM_RSRC2:TRAP_HANDLER: 0
; COMPUTE_PGM_RSRC2:TGID_X_EN: 1
; COMPUTE_PGM_RSRC2:TGID_Y_EN: 1
; COMPUTE_PGM_RSRC2:TGID_Z_EN: 1
; COMPUTE_PGM_RSRC2:TIDIG_COMP_CNT: 1
	.section	.text._ZN12_GLOBAL__N_127rocblas_gemm_batched_kernelIDF16_Li16ELi16ELi32ELi32ELi8ELi32ELi8ELi8ELi32ELc84ELc67EKPKDF16_S3_KPDF16_EEvlllT_PT11_llS8_llS6_PT12_llPT13_lli,"axG",@progbits,_ZN12_GLOBAL__N_127rocblas_gemm_batched_kernelIDF16_Li16ELi16ELi32ELi32ELi8ELi32ELi8ELi8ELi32ELc84ELc67EKPKDF16_S3_KPDF16_EEvlllT_PT11_llS8_llS6_PT12_llPT13_lli,comdat
	.globl	_ZN12_GLOBAL__N_127rocblas_gemm_batched_kernelIDF16_Li16ELi16ELi32ELi32ELi8ELi32ELi8ELi8ELi32ELc84ELc67EKPKDF16_S3_KPDF16_EEvlllT_PT11_llS8_llS6_PT12_llPT13_lli ; -- Begin function _ZN12_GLOBAL__N_127rocblas_gemm_batched_kernelIDF16_Li16ELi16ELi32ELi32ELi8ELi32ELi8ELi8ELi32ELc84ELc67EKPKDF16_S3_KPDF16_EEvlllT_PT11_llS8_llS6_PT12_llPT13_lli
	.p2align	8
	.type	_ZN12_GLOBAL__N_127rocblas_gemm_batched_kernelIDF16_Li16ELi16ELi32ELi32ELi8ELi32ELi8ELi8ELi32ELc84ELc67EKPKDF16_S3_KPDF16_EEvlllT_PT11_llS8_llS6_PT12_llPT13_lli,@function
_ZN12_GLOBAL__N_127rocblas_gemm_batched_kernelIDF16_Li16ELi16ELi32ELi32ELi8ELi32ELi8ELi8ELi32ELc84ELc67EKPKDF16_S3_KPDF16_EEvlllT_PT11_llS8_llS6_PT12_llPT13_lli: ; @_ZN12_GLOBAL__N_127rocblas_gemm_batched_kernelIDF16_Li16ELi16ELi32ELi32ELi8ELi32ELi8ELi8ELi32ELc84ELc67EKPKDF16_S3_KPDF16_EEvlllT_PT11_llS8_llS6_PT12_llPT13_lli
; %bb.0:
	s_clause 0x1
	s_load_dwordx8 s[12:19], s[4:5], 0x58
	s_load_dwordx2 s[28:29], s[4:5], 0x10
	s_mov_b32 s9, 0
	s_mov_b32 s0, s7
	s_lshl_b64 s[34:35], s[8:9], 3
	s_load_dwordx4 s[8:11], s[4:5], 0x78
	v_mov_b32_e32 v3, 0
	s_waitcnt lgkmcnt(0)
	s_add_u32 s2, s12, s34
	s_addc_u32 s3, s13, s35
	s_add_u32 s18, s18, s34
	s_addc_u32 s19, s19, s35
	s_load_dwordx2 s[12:13], s[2:3], 0x0
	s_load_dwordx2 s[18:19], s[18:19], 0x0
	v_cmp_lt_i64_e64 s2, s[28:29], 1
	s_ashr_i32 s7, s6, 31
	s_ashr_i32 s1, s0, 31
	s_lshl_b64 s[6:7], s[6:7], 5
	s_lshl_b64 s[30:31], s[0:1], 5
	s_and_b32 vcc_lo, exec_lo, s2
	s_cbranch_vccnz .LBB74_3
; %bb.1:
	s_clause 0x1
	s_load_dwordx8 s[20:27], s[4:5], 0x20
	s_load_dwordx4 s[0:3], s[4:5], 0x40
	v_lshlrev_b32_e32 v9, 4, v1
	v_and_b32_e32 v11, 7, v0
	v_lshlrev_b32_e32 v8, 1, v0
	v_add_nc_u32_e32 v10, v9, v0
	v_lshlrev_b32_e32 v13, 1, v11
	v_add_nc_u32_e32 v9, 0x200, v9
	v_and_b32_e32 v12, 31, v10
	v_lshrrev_b32_e32 v2, 3, v10
	v_lshrrev_b32_e32 v10, 5, v10
	v_add_co_u32 v6, s33, s6, v12
	v_add_co_ci_u32_e64 v7, null, s7, 0, s33
	s_waitcnt lgkmcnt(0)
	s_add_u32 s20, s20, s34
	s_addc_u32 s21, s21, s35
	s_add_u32 s26, s26, s34
	s_addc_u32 s27, s27, s35
	v_mad_u64_u32 v[4:5], null, s0, v11, v[2:3]
	s_load_dwordx2 s[26:27], s[26:27], 0x0
	v_mul_lo_u32 v14, s23, v6
	v_mul_lo_u32 v15, s22, v7
	v_mad_u64_u32 v[6:7], null, s22, v6, 0
	v_lshlrev_b32_e32 v12, 1, v12
	v_lshl_or_b32 v16, v2, 4, v13
	v_mov_b32_e32 v2, v5
	v_lshlrev_b32_e32 v17, 1, v10
	s_load_dwordx2 s[20:21], s[20:21], 0x0
	v_lshl_or_b32 v10, v10, 6, v12
	v_add3_u32 v7, v7, v15, v14
	v_mad_u64_u32 v[12:13], null, s1, v11, v[2:3]
	s_lshl_b64 s[2:3], s[2:3], 1
	v_add_co_u32 v13, vcc_lo, v4, s30
	v_lshlrev_b64 v[5:6], 1, v[6:7]
	v_add_nc_u32_e32 v11, 0x200, v16
	v_add_co_ci_u32_e64 v14, null, s31, v12, vcc_lo
	s_waitcnt lgkmcnt(0)
	s_add_u32 s22, s26, s2
	s_addc_u32 s23, s27, s3
	s_lshl_b64 s[2:3], s[24:25], 1
	v_add_co_u32 v2, vcc_lo, v5, s2
	v_add_co_ci_u32_e64 v6, null, s3, v6, vcc_lo
	v_lshlrev_b64 v[4:5], 1, v[13:14]
	v_add_co_u32 v2, vcc_lo, v2, v17
	v_add_co_ci_u32_e64 v7, null, 0, v6, vcc_lo
	s_lshl_b64 s[2:3], s[0:1], 4
	v_add_co_u32 v4, vcc_lo, s22, v4
	v_add_co_ci_u32_e64 v5, null, s23, v5, vcc_lo
	v_add_co_u32 v6, vcc_lo, s20, v2
	v_add_co_ci_u32_e64 v7, null, s21, v7, vcc_lo
	v_mov_b32_e32 v2, 0
	s_mov_b64 s[20:21], 0
.LBB74_2:                               ; =>This Inner Loop Header: Depth=1
	flat_load_ushort v12, v[6:7]
	s_add_u32 s20, s20, 8
	s_addc_u32 s21, s21, 0
	v_add_co_u32 v6, vcc_lo, v6, 16
	v_cmp_lt_i64_e64 s0, s[20:21], s[28:29]
	v_add_co_ci_u32_e64 v7, null, 0, v7, vcc_lo
	s_and_b32 vcc_lo, exec_lo, s0
	s_waitcnt vmcnt(0) lgkmcnt(0)
	ds_write_b16 v10, v12
	flat_load_ushort v12, v[4:5]
	v_add_co_u32 v4, s0, v4, s2
	v_add_co_ci_u32_e64 v5, null, s3, v5, s0
	s_waitcnt vmcnt(0) lgkmcnt(0)
	ds_write_b16 v11, v12
	s_waitcnt lgkmcnt(0)
	s_barrier
	buffer_gl0_inv
	ds_read_u16 v20, v8 offset:32
	ds_read_u16 v21, v8 offset:96
	;; [unrolled: 1-line block ×3, first 2 shown]
	ds_read_b128 v[12:15], v9
	ds_read_b128 v[16:19], v9 offset:256
	ds_read_u16 v23, v8 offset:224
	ds_read_u16 v24, v8 offset:288
	;; [unrolled: 1-line block ×5, first 2 shown]
	s_waitcnt lgkmcnt(9)
	ds_read_u16_d16_hi v20, v8
	s_waitcnt lgkmcnt(9)
	ds_read_u16_d16_hi v21, v8 offset:64
	s_waitcnt lgkmcnt(9)
	ds_read_u16_d16_hi v22, v8 offset:128
	;; [unrolled: 2-line block ×7, first 2 shown]
	s_waitcnt lgkmcnt(0)
	s_barrier
	buffer_gl0_inv
	v_pk_fma_f16 v3, v20, v12, v3 op_sel_hi:[1,0,1]
	v_pk_fma_f16 v2, v20, v16, v2 op_sel_hi:[1,0,1]
	v_pk_fma_f16 v3, v21, v12, v3 op_sel:[0,1,0]
	v_pk_fma_f16 v2, v21, v16, v2 op_sel:[0,1,0]
	v_pk_fma_f16 v3, v22, v13, v3 op_sel_hi:[1,0,1]
	v_pk_fma_f16 v2, v22, v17, v2 op_sel_hi:[1,0,1]
	v_pk_fma_f16 v3, v23, v13, v3 op_sel:[0,1,0]
	v_pk_fma_f16 v2, v23, v17, v2 op_sel:[0,1,0]
	v_pk_fma_f16 v3, v24, v14, v3 op_sel_hi:[1,0,1]
	v_pk_fma_f16 v2, v24, v18, v2 op_sel_hi:[1,0,1]
	v_pk_fma_f16 v3, v25, v14, v3 op_sel:[0,1,0]
	v_pk_fma_f16 v2, v25, v18, v2 op_sel:[0,1,0]
	v_pk_fma_f16 v3, v26, v15, v3 op_sel_hi:[1,0,1]
	v_pk_fma_f16 v2, v26, v19, v2 op_sel_hi:[1,0,1]
	v_pk_fma_f16 v3, v27, v15, v3 op_sel:[0,1,0]
	v_pk_fma_f16 v2, v27, v19, v2 op_sel:[0,1,0]
	s_cbranch_vccnz .LBB74_2
	s_branch .LBB74_4
.LBB74_3:
	v_mov_b32_e32 v2, 0
.LBB74_4:
	s_clause 0x1
	s_load_dword s1, s[4:5], 0x50
	s_load_dword s0, s[4:5], 0x18
	v_add_co_u32 v5, s4, s30, v1
	v_add_co_ci_u32_e64 v9, null, s31, 0, s4
	v_add_co_u32 v0, s4, s6, v0
	v_add_co_ci_u32_e64 v1, null, s7, 0, s4
	v_mul_lo_u32 v7, v9, s8
	v_mul_lo_u32 v8, v5, s9
	s_lshl_b64 s[2:3], s[10:11], 1
	v_lshlrev_b64 v[0:1], 1, v[0:1]
	v_lshrrev_b32_e32 v6, 16, v3
	v_lshrrev_b32_e32 v4, 16, v2
	s_waitcnt lgkmcnt(0)
	s_add_u32 s2, s18, s2
	s_addc_u32 s3, s19, s3
	v_cmp_neq_f16_e64 s4, s1, 0
	s_and_b32 vcc_lo, exec_lo, s4
	s_mov_b32 s4, 0
	s_cbranch_vccnz .LBB74_8
; %bb.5:
	v_mad_u64_u32 v[10:11], null, v5, s8, 0
	s_lshl_b64 s[6:7], s[8:9], 5
	v_mul_f16_sdwa v14, s0, v3 dst_sel:DWORD dst_unused:UNUSED_PAD src0_sel:DWORD src1_sel:WORD_1
	v_mul_f16_e32 v15, s0, v3
	v_mul_f16_sdwa v16, s0, v2 dst_sel:DWORD dst_unused:UNUSED_PAD src0_sel:DWORD src1_sel:WORD_1
	v_mul_f16_e32 v17, s0, v2
	v_add3_u32 v11, v11, v8, v7
	v_lshlrev_b64 v[10:11], 1, v[10:11]
	v_add_co_u32 v10, vcc_lo, s2, v10
	v_add_co_ci_u32_e64 v11, null, s3, v11, vcc_lo
	v_add_co_u32 v12, vcc_lo, v10, s6
	v_add_co_ci_u32_e64 v13, null, s7, v11, vcc_lo
	;; [unrolled: 2-line block ×4, first 2 shown]
	flat_store_short v[10:11], v14
	flat_store_short v[10:11], v15 offset:32
	flat_store_short v[12:13], v16
	flat_store_short v[12:13], v17 offset:32
	s_andn2_b32 vcc_lo, exec_lo, s4
	s_cbranch_vccnz .LBB74_7
.LBB74_6:
	v_mul_lo_u32 v11, v9, s14
	v_mul_lo_u32 v12, v5, s15
	v_mad_u64_u32 v[9:10], null, v5, s14, 0
	s_lshl_b64 s[4:5], s[16:17], 1
	s_add_u32 s4, s12, s4
	s_addc_u32 s5, s13, s5
	v_add3_u32 v10, v10, v12, v11
	v_mad_u64_u32 v[11:12], null, v5, s8, 0
	v_lshlrev_b64 v[9:10], 1, v[9:10]
	v_add3_u32 v12, v12, v8, v7
	v_add_co_u32 v13, vcc_lo, s4, v9
	v_add_co_ci_u32_e64 v14, null, s5, v10, vcc_lo
	v_lshlrev_b64 v[7:8], 1, v[11:12]
	v_add_co_u32 v9, vcc_lo, v13, v0
	v_add_co_ci_u32_e64 v10, null, v14, v1, vcc_lo
	v_add_co_u32 v11, vcc_lo, s2, v7
	flat_load_ushort v15, v[9:10]
	v_add_co_ci_u32_e64 v12, null, s3, v8, vcc_lo
	v_add_co_u32 v7, vcc_lo, v11, v0
	s_lshl_b64 s[2:3], s[14:15], 5
	v_add_co_ci_u32_e64 v8, null, v12, v1, vcc_lo
	s_waitcnt vmcnt(0) lgkmcnt(0)
	v_mul_f16_e32 v5, s1, v15
	v_fmac_f16_e32 v5, s0, v6
	flat_store_short v[7:8], v5
	flat_load_ushort v5, v[9:10] offset:32
	s_waitcnt vmcnt(0) lgkmcnt(0)
	v_mul_f16_e32 v9, s1, v5
	v_add_co_u32 v5, vcc_lo, v13, s2
	v_add_co_ci_u32_e64 v6, null, s3, v14, vcc_lo
	v_fmac_f16_e32 v9, s0, v3
	v_add_co_u32 v5, vcc_lo, v5, v0
	v_add_co_ci_u32_e64 v6, null, v6, v1, vcc_lo
	flat_store_short v[7:8], v9 offset:32
	s_lshl_b64 s[2:3], s[8:9], 5
	flat_load_ushort v3, v[5:6]
	v_add_co_u32 v7, vcc_lo, v11, s2
	v_add_co_ci_u32_e64 v8, null, s3, v12, vcc_lo
	v_add_co_u32 v0, vcc_lo, v7, v0
	v_add_co_ci_u32_e64 v1, null, v8, v1, vcc_lo
	s_waitcnt vmcnt(0) lgkmcnt(0)
	v_mul_f16_e32 v3, s1, v3
	v_fmac_f16_e32 v3, s0, v4
	flat_store_short v[0:1], v3
	flat_load_ushort v3, v[5:6] offset:32
	s_waitcnt vmcnt(0) lgkmcnt(0)
	v_mul_f16_e32 v3, s1, v3
	v_fmac_f16_e32 v3, s0, v2
	flat_store_short v[0:1], v3 offset:32
.LBB74_7:
	s_endpgm
.LBB74_8:
	s_branch .LBB74_6
	.section	.rodata,"a",@progbits
	.p2align	6, 0x0
	.amdhsa_kernel _ZN12_GLOBAL__N_127rocblas_gemm_batched_kernelIDF16_Li16ELi16ELi32ELi32ELi8ELi32ELi8ELi8ELi32ELc84ELc67EKPKDF16_S3_KPDF16_EEvlllT_PT11_llS8_llS6_PT12_llPT13_lli
		.amdhsa_group_segment_fixed_size 1024
		.amdhsa_private_segment_fixed_size 0
		.amdhsa_kernarg_size 140
		.amdhsa_user_sgpr_count 6
		.amdhsa_user_sgpr_private_segment_buffer 1
		.amdhsa_user_sgpr_dispatch_ptr 0
		.amdhsa_user_sgpr_queue_ptr 0
		.amdhsa_user_sgpr_kernarg_segment_ptr 1
		.amdhsa_user_sgpr_dispatch_id 0
		.amdhsa_user_sgpr_flat_scratch_init 0
		.amdhsa_user_sgpr_private_segment_size 0
		.amdhsa_wavefront_size32 1
		.amdhsa_uses_dynamic_stack 0
		.amdhsa_system_sgpr_private_segment_wavefront_offset 0
		.amdhsa_system_sgpr_workgroup_id_x 1
		.amdhsa_system_sgpr_workgroup_id_y 1
		.amdhsa_system_sgpr_workgroup_id_z 1
		.amdhsa_system_sgpr_workgroup_info 0
		.amdhsa_system_vgpr_workitem_id 1
		.amdhsa_next_free_vgpr 28
		.amdhsa_next_free_sgpr 36
		.amdhsa_reserve_vcc 1
		.amdhsa_reserve_flat_scratch 0
		.amdhsa_float_round_mode_32 0
		.amdhsa_float_round_mode_16_64 0
		.amdhsa_float_denorm_mode_32 3
		.amdhsa_float_denorm_mode_16_64 3
		.amdhsa_dx10_clamp 1
		.amdhsa_ieee_mode 1
		.amdhsa_fp16_overflow 0
		.amdhsa_workgroup_processor_mode 1
		.amdhsa_memory_ordered 1
		.amdhsa_forward_progress 1
		.amdhsa_shared_vgpr_count 0
		.amdhsa_exception_fp_ieee_invalid_op 0
		.amdhsa_exception_fp_denorm_src 0
		.amdhsa_exception_fp_ieee_div_zero 0
		.amdhsa_exception_fp_ieee_overflow 0
		.amdhsa_exception_fp_ieee_underflow 0
		.amdhsa_exception_fp_ieee_inexact 0
		.amdhsa_exception_int_div_zero 0
	.end_amdhsa_kernel
	.section	.text._ZN12_GLOBAL__N_127rocblas_gemm_batched_kernelIDF16_Li16ELi16ELi32ELi32ELi8ELi32ELi8ELi8ELi32ELc84ELc67EKPKDF16_S3_KPDF16_EEvlllT_PT11_llS8_llS6_PT12_llPT13_lli,"axG",@progbits,_ZN12_GLOBAL__N_127rocblas_gemm_batched_kernelIDF16_Li16ELi16ELi32ELi32ELi8ELi32ELi8ELi8ELi32ELc84ELc67EKPKDF16_S3_KPDF16_EEvlllT_PT11_llS8_llS6_PT12_llPT13_lli,comdat
.Lfunc_end74:
	.size	_ZN12_GLOBAL__N_127rocblas_gemm_batched_kernelIDF16_Li16ELi16ELi32ELi32ELi8ELi32ELi8ELi8ELi32ELc84ELc67EKPKDF16_S3_KPDF16_EEvlllT_PT11_llS8_llS6_PT12_llPT13_lli, .Lfunc_end74-_ZN12_GLOBAL__N_127rocblas_gemm_batched_kernelIDF16_Li16ELi16ELi32ELi32ELi8ELi32ELi8ELi8ELi32ELc84ELc67EKPKDF16_S3_KPDF16_EEvlllT_PT11_llS8_llS6_PT12_llPT13_lli
                                        ; -- End function
	.set _ZN12_GLOBAL__N_127rocblas_gemm_batched_kernelIDF16_Li16ELi16ELi32ELi32ELi8ELi32ELi8ELi8ELi32ELc84ELc67EKPKDF16_S3_KPDF16_EEvlllT_PT11_llS8_llS6_PT12_llPT13_lli.num_vgpr, 28
	.set _ZN12_GLOBAL__N_127rocblas_gemm_batched_kernelIDF16_Li16ELi16ELi32ELi32ELi8ELi32ELi8ELi8ELi32ELc84ELc67EKPKDF16_S3_KPDF16_EEvlllT_PT11_llS8_llS6_PT12_llPT13_lli.num_agpr, 0
	.set _ZN12_GLOBAL__N_127rocblas_gemm_batched_kernelIDF16_Li16ELi16ELi32ELi32ELi8ELi32ELi8ELi8ELi32ELc84ELc67EKPKDF16_S3_KPDF16_EEvlllT_PT11_llS8_llS6_PT12_llPT13_lli.numbered_sgpr, 36
	.set _ZN12_GLOBAL__N_127rocblas_gemm_batched_kernelIDF16_Li16ELi16ELi32ELi32ELi8ELi32ELi8ELi8ELi32ELc84ELc67EKPKDF16_S3_KPDF16_EEvlllT_PT11_llS8_llS6_PT12_llPT13_lli.num_named_barrier, 0
	.set _ZN12_GLOBAL__N_127rocblas_gemm_batched_kernelIDF16_Li16ELi16ELi32ELi32ELi8ELi32ELi8ELi8ELi32ELc84ELc67EKPKDF16_S3_KPDF16_EEvlllT_PT11_llS8_llS6_PT12_llPT13_lli.private_seg_size, 0
	.set _ZN12_GLOBAL__N_127rocblas_gemm_batched_kernelIDF16_Li16ELi16ELi32ELi32ELi8ELi32ELi8ELi8ELi32ELc84ELc67EKPKDF16_S3_KPDF16_EEvlllT_PT11_llS8_llS6_PT12_llPT13_lli.uses_vcc, 1
	.set _ZN12_GLOBAL__N_127rocblas_gemm_batched_kernelIDF16_Li16ELi16ELi32ELi32ELi8ELi32ELi8ELi8ELi32ELc84ELc67EKPKDF16_S3_KPDF16_EEvlllT_PT11_llS8_llS6_PT12_llPT13_lli.uses_flat_scratch, 0
	.set _ZN12_GLOBAL__N_127rocblas_gemm_batched_kernelIDF16_Li16ELi16ELi32ELi32ELi8ELi32ELi8ELi8ELi32ELc84ELc67EKPKDF16_S3_KPDF16_EEvlllT_PT11_llS8_llS6_PT12_llPT13_lli.has_dyn_sized_stack, 0
	.set _ZN12_GLOBAL__N_127rocblas_gemm_batched_kernelIDF16_Li16ELi16ELi32ELi32ELi8ELi32ELi8ELi8ELi32ELc84ELc67EKPKDF16_S3_KPDF16_EEvlllT_PT11_llS8_llS6_PT12_llPT13_lli.has_recursion, 0
	.set _ZN12_GLOBAL__N_127rocblas_gemm_batched_kernelIDF16_Li16ELi16ELi32ELi32ELi8ELi32ELi8ELi8ELi32ELc84ELc67EKPKDF16_S3_KPDF16_EEvlllT_PT11_llS8_llS6_PT12_llPT13_lli.has_indirect_call, 0
	.section	.AMDGPU.csdata,"",@progbits
; Kernel info:
; codeLenInByte = 1484
; TotalNumSgprs: 38
; NumVgprs: 28
; ScratchSize: 0
; MemoryBound: 0
; FloatMode: 240
; IeeeMode: 1
; LDSByteSize: 1024 bytes/workgroup (compile time only)
; SGPRBlocks: 0
; VGPRBlocks: 3
; NumSGPRsForWavesPerEU: 38
; NumVGPRsForWavesPerEU: 28
; Occupancy: 16
; WaveLimiterHint : 1
; COMPUTE_PGM_RSRC2:SCRATCH_EN: 0
; COMPUTE_PGM_RSRC2:USER_SGPR: 6
; COMPUTE_PGM_RSRC2:TRAP_HANDLER: 0
; COMPUTE_PGM_RSRC2:TGID_X_EN: 1
; COMPUTE_PGM_RSRC2:TGID_Y_EN: 1
; COMPUTE_PGM_RSRC2:TGID_Z_EN: 1
; COMPUTE_PGM_RSRC2:TIDIG_COMP_CNT: 1
	.section	.text._ZN12_GLOBAL__N_135rocblas_gemm_batched_general_kernelIDF16_Li16ELi16ELi32ELi32ELi8ELi32ELi8ELi8ELi32ELc78ELc78EKPKDF16_S3_KPDF16_EEvlllT_PT11_llS8_llS6_PT12_llPT13_lli,"axG",@progbits,_ZN12_GLOBAL__N_135rocblas_gemm_batched_general_kernelIDF16_Li16ELi16ELi32ELi32ELi8ELi32ELi8ELi8ELi32ELc78ELc78EKPKDF16_S3_KPDF16_EEvlllT_PT11_llS8_llS6_PT12_llPT13_lli,comdat
	.globl	_ZN12_GLOBAL__N_135rocblas_gemm_batched_general_kernelIDF16_Li16ELi16ELi32ELi32ELi8ELi32ELi8ELi8ELi32ELc78ELc78EKPKDF16_S3_KPDF16_EEvlllT_PT11_llS8_llS6_PT12_llPT13_lli ; -- Begin function _ZN12_GLOBAL__N_135rocblas_gemm_batched_general_kernelIDF16_Li16ELi16ELi32ELi32ELi8ELi32ELi8ELi8ELi32ELc78ELc78EKPKDF16_S3_KPDF16_EEvlllT_PT11_llS8_llS6_PT12_llPT13_lli
	.p2align	8
	.type	_ZN12_GLOBAL__N_135rocblas_gemm_batched_general_kernelIDF16_Li16ELi16ELi32ELi32ELi8ELi32ELi8ELi8ELi32ELc78ELc78EKPKDF16_S3_KPDF16_EEvlllT_PT11_llS8_llS6_PT12_llPT13_lli,@function
_ZN12_GLOBAL__N_135rocblas_gemm_batched_general_kernelIDF16_Li16ELi16ELi32ELi32ELi8ELi32ELi8ELi8ELi32ELc78ELc78EKPKDF16_S3_KPDF16_EEvlllT_PT11_llS8_llS6_PT12_llPT13_lli: ; @_ZN12_GLOBAL__N_135rocblas_gemm_batched_general_kernelIDF16_Li16ELi16ELi32ELi32ELi8ELi32ELi8ELi8ELi32ELc78ELc78EKPKDF16_S3_KPDF16_EEvlllT_PT11_llS8_llS6_PT12_llPT13_lli
; %bb.0:
	s_clause 0x1
	s_load_dwordx8 s[12:19], s[4:5], 0x58
	s_load_dwordx2 s[34:35], s[4:5], 0x10
	s_mov_b32 s9, 0
	s_load_dwordx4 s[28:31], s[4:5], 0x0
	s_lshl_b64 s[42:43], s[8:9], 3
	s_load_dwordx4 s[8:11], s[4:5], 0x78
	s_mov_b32 s0, s7
	v_mov_b32_e32 v7, 0
	s_waitcnt lgkmcnt(0)
	s_add_u32 s2, s12, s42
	s_addc_u32 s3, s13, s43
	s_add_u32 s18, s18, s42
	s_addc_u32 s19, s19, s43
	s_load_dwordx2 s[12:13], s[2:3], 0x0
	s_load_dwordx2 s[2:3], s[18:19], 0x0
	v_cmp_lt_i64_e64 s20, s[34:35], 1
	s_ashr_i32 s7, s6, 31
	s_ashr_i32 s1, s0, 31
	s_lshl_b64 s[18:19], s[6:7], 5
	s_lshl_b64 s[40:41], s[0:1], 5
	s_and_b32 vcc_lo, exec_lo, s20
	s_cbranch_vccnz .LBB75_7
; %bb.1:
	s_load_dwordx8 s[20:27], s[4:5], 0x20
	v_lshlrev_b32_e32 v2, 4, v1
	s_load_dwordx4 s[36:39], s[4:5], 0x40
	v_mov_b32_e32 v3, s19
	v_and_b32_e32 v6, 7, v0
	v_lshlrev_b32_e32 v9, 1, v0
	v_add_nc_u32_e32 v4, v2, v0
	v_add_nc_u32_e32 v10, 0x200, v2
	v_lshlrev_b32_e32 v8, 1, v6
	v_lshrrev_b32_e32 v12, 3, v4
	v_lshrrev_b32_e32 v11, 5, v4
	v_and_b32_e32 v13, 31, v4
	v_add_co_u32 v4, s0, v12, s40
	v_add_co_ci_u32_e64 v5, null, 0, s41, s0
	v_or_b32_e32 v2, s18, v13
	s_waitcnt lgkmcnt(0)
	v_mad_u64_u32 v[14:15], null, s22, v11, 0
	v_cmp_gt_i64_e64 s1, s[30:31], v[4:5]
	v_mul_lo_u32 v18, s37, v4
	v_cmp_gt_i64_e64 s0, s[28:29], v[2:3]
	v_mad_u64_u32 v[3:4], null, s36, v4, 0
	v_mul_lo_u32 v5, s36, v5
	v_mov_b32_e32 v2, v15
	s_add_u32 s26, s26, s42
	s_addc_u32 s27, s27, s43
	s_add_u32 s20, s20, s42
	s_load_dwordx2 s[26:27], s[26:27], 0x0
	v_mad_u64_u32 v[15:16], null, s23, v11, v[2:3]
	v_add3_u32 v4, v4, v5, v18
	s_addc_u32 s21, s21, s43
	s_lshl_b64 s[36:37], s[38:39], 1
	s_load_dwordx2 s[20:21], s[20:21], 0x0
	s_lshl_b64 s[6:7], s[6:7], 6
	v_lshlrev_b64 v[2:3], 1, v[3:4]
	v_lshlrev_b64 v[4:5], 1, v[14:15]
	s_lshl_b64 s[24:25], s[24:25], 1
	v_lshlrev_b32_e32 v17, 1, v13
	s_add_u32 s6, s24, s6
	s_addc_u32 s7, s25, s7
	v_add_co_u32 v2, vcc_lo, v2, s36
	v_add_co_ci_u32_e64 v3, null, s37, v3, vcc_lo
	v_add_co_u32 v4, vcc_lo, s6, v4
	v_add_co_ci_u32_e64 v5, null, s7, v5, vcc_lo
	;; [unrolled: 2-line block ×3, first 2 shown]
	v_add_co_u32 v4, vcc_lo, v4, v17
	v_lshl_or_b32 v13, v12, 4, v8
	v_add_co_ci_u32_e64 v5, null, 0, v5, vcc_lo
	s_waitcnt lgkmcnt(0)
	v_add_co_u32 v2, vcc_lo, s26, v2
	v_add_co_ci_u32_e64 v3, null, s27, v3, vcc_lo
	v_add_co_u32 v4, vcc_lo, s20, v4
	v_lshl_or_b32 v12, v11, 6, v17
	v_add_nc_u32_e32 v13, 0x200, v13
	v_add_co_ci_u32_e64 v5, null, s21, v5, vcc_lo
	v_mov_b32_e32 v8, 0
	s_lshl_b64 s[6:7], s[22:23], 4
	s_mov_b64 s[20:21], 0
	s_branch .LBB75_3
.LBB75_2:                               ;   in Loop: Header=BB75_3 Depth=1
	s_or_b32 exec_lo, exec_lo, s22
	s_waitcnt vmcnt(0) lgkmcnt(0)
	ds_write_b16 v13, v14
	s_waitcnt lgkmcnt(0)
	s_barrier
	buffer_gl0_inv
	ds_read_u16 v22, v9
	ds_read_u16 v23, v9 offset:64
	ds_read_u16 v24, v9 offset:128
	;; [unrolled: 1-line block ×7, first 2 shown]
	s_add_u32 s20, s20, 8
	s_addc_u32 s21, s21, 0
	v_add_co_u32 v2, vcc_lo, v2, 16
	v_cmp_lt_i64_e64 s22, s[20:21], s[34:35]
	v_add_co_ci_u32_e64 v3, null, 0, v3, vcc_lo
	v_add_co_u32 v4, vcc_lo, v4, s6
	v_add_co_ci_u32_e64 v5, null, s7, v5, vcc_lo
	s_and_b32 vcc_lo, exec_lo, s22
	s_waitcnt lgkmcnt(7)
	ds_read_u16_d16_hi v22, v9 offset:32
	ds_read_b128 v[14:17], v10
	ds_read_b128 v[18:21], v10 offset:256
	s_waitcnt lgkmcnt(9)
	ds_read_u16_d16_hi v23, v9 offset:96
	s_waitcnt lgkmcnt(9)
	ds_read_u16_d16_hi v24, v9 offset:160
	s_waitcnt lgkmcnt(9)
	ds_read_u16_d16_hi v25, v9 offset:224
	s_waitcnt lgkmcnt(9)
	ds_read_u16_d16_hi v26, v9 offset:288
	s_waitcnt lgkmcnt(9)
	ds_read_u16_d16_hi v27, v9 offset:352
	s_waitcnt lgkmcnt(9)
	ds_read_u16_d16_hi v28, v9 offset:416
	s_waitcnt lgkmcnt(9)
	ds_read_u16_d16_hi v29, v9 offset:480
	s_waitcnt lgkmcnt(0)
	s_barrier
	buffer_gl0_inv
	v_pk_fma_f16 v7, v22, v14, v7 op_sel_hi:[1,0,1]
	v_pk_fma_f16 v8, v22, v18, v8 op_sel_hi:[1,0,1]
	v_pk_fma_f16 v7, v23, v14, v7 op_sel:[0,1,0]
	v_pk_fma_f16 v8, v23, v18, v8 op_sel:[0,1,0]
	v_pk_fma_f16 v7, v24, v15, v7 op_sel_hi:[1,0,1]
	v_pk_fma_f16 v8, v24, v19, v8 op_sel_hi:[1,0,1]
	v_pk_fma_f16 v7, v25, v15, v7 op_sel:[0,1,0]
	v_pk_fma_f16 v8, v25, v19, v8 op_sel:[0,1,0]
	;; [unrolled: 4-line block ×4, first 2 shown]
	s_cbranch_vccz .LBB75_8
.LBB75_3:                               ; =>This Inner Loop Header: Depth=1
	v_add_co_u32 v14, s22, v11, s20
	v_add_co_ci_u32_e64 v15, null, 0, s21, s22
	v_cmp_gt_i64_e32 vcc_lo, s[34:35], v[14:15]
	v_mov_b32_e32 v14, 0
	v_mov_b32_e32 v15, 0
	s_and_b32 s23, s0, vcc_lo
	s_and_saveexec_b32 s22, s23
	s_cbranch_execz .LBB75_5
; %bb.4:                                ;   in Loop: Header=BB75_3 Depth=1
	flat_load_ushort v15, v[4:5]
.LBB75_5:                               ;   in Loop: Header=BB75_3 Depth=1
	s_or_b32 exec_lo, exec_lo, s22
	v_add_co_u32 v16, s22, v6, s20
	v_add_co_ci_u32_e64 v17, null, 0, s21, s22
	s_waitcnt vmcnt(0) lgkmcnt(0)
	ds_write_b16 v12, v15
	v_cmp_gt_i64_e32 vcc_lo, s[34:35], v[16:17]
	s_and_b32 s23, vcc_lo, s1
	s_and_saveexec_b32 s22, s23
	s_cbranch_execz .LBB75_2
; %bb.6:                                ;   in Loop: Header=BB75_3 Depth=1
	flat_load_ushort v14, v[2:3]
	s_branch .LBB75_2
.LBB75_7:
	v_mov_b32_e32 v8, 0
.LBB75_8:
	s_clause 0x1
	s_load_dword s6, s[4:5], 0x50
	s_load_dword s4, s[4:5], 0x18
	v_add_co_u32 v1, s5, s40, v1
	v_add_co_ci_u32_e64 v2, null, s41, 0, s5
	s_lshl_b64 s[0:1], s[10:11], 1
	s_waitcnt lgkmcnt(0)
	s_add_u32 s5, s2, s0
	v_cmp_gt_i64_e64 s0, s[30:31], v[1:2]
	s_addc_u32 s3, s3, s1
	v_cmp_neq_f16_e64 s7, s6, 0
	s_and_b32 vcc_lo, exec_lo, s7
	s_cbranch_vccnz .LBB75_21
; %bb.9:
	s_and_saveexec_b32 s7, s0
	s_cbranch_execz .LBB75_19
; %bb.10:
	v_mul_lo_u32 v5, v2, s8
	v_mul_lo_u32 v6, v1, s9
	v_mad_u64_u32 v[3:4], null, v1, s8, 0
	v_add3_u32 v4, v4, v6, v5
	v_add_co_u32 v5, s1, s18, v0
	v_add_co_ci_u32_e64 v6, null, s19, 0, s1
	v_lshlrev_b64 v[9:10], 1, v[3:4]
	v_cmp_gt_i64_e32 vcc_lo, s[28:29], v[5:6]
	v_lshlrev_b64 v[3:4], 1, v[5:6]
	v_add_co_u32 v9, s1, s5, v9
	v_add_co_ci_u32_e64 v10, null, s3, v10, s1
	s_and_saveexec_b32 s2, vcc_lo
	s_cbranch_execz .LBB75_12
; %bb.11:
	v_add_co_u32 v11, s1, v9, v3
	v_add_co_ci_u32_e64 v12, null, v10, v4, s1
	v_mul_f16_e32 v13, s4, v7
	flat_store_short v[11:12], v13
.LBB75_12:
	s_or_b32 exec_lo, exec_lo, s2
	v_add_co_u32 v5, s1, v5, 16
	v_add_co_ci_u32_e64 v6, null, 0, v6, s1
	v_cmp_gt_i64_e64 s1, s[28:29], v[5:6]
	s_and_saveexec_b32 s10, s1
	s_cbranch_execz .LBB75_14
; %bb.13:
	v_add_co_u32 v5, s2, v9, v3
	v_add_co_ci_u32_e64 v6, null, v10, v4, s2
	v_mul_f16_sdwa v11, s4, v7 dst_sel:DWORD dst_unused:UNUSED_PAD src0_sel:DWORD src1_sel:WORD_1
	flat_store_short v[5:6], v11 offset:32
.LBB75_14:
	s_or_b32 exec_lo, exec_lo, s10
	v_add_co_u32 v5, s2, v1, 16
	v_add_co_ci_u32_e64 v6, null, 0, v2, s2
	v_cmp_gt_i64_e64 s2, s[30:31], v[5:6]
	s_and_b32 exec_lo, exec_lo, s2
	s_cbranch_execz .LBB75_19
; %bb.15:
	s_lshl_b64 s[10:11], s[8:9], 5
	v_add_co_u32 v5, s2, v9, s10
	v_add_co_ci_u32_e64 v6, null, s11, v10, s2
	v_add_co_u32 v3, s2, v5, v3
	v_add_co_ci_u32_e64 v4, null, v6, v4, s2
	s_and_saveexec_b32 s2, vcc_lo
	s_cbranch_execz .LBB75_17
; %bb.16:
	v_mul_f16_e32 v5, s4, v8
	flat_store_short v[3:4], v5
.LBB75_17:
	s_or_b32 exec_lo, exec_lo, s2
	s_and_b32 exec_lo, exec_lo, s1
	s_cbranch_execz .LBB75_19
; %bb.18:
	v_mul_f16_sdwa v5, s4, v8 dst_sel:DWORD dst_unused:UNUSED_PAD src0_sel:DWORD src1_sel:WORD_1
	flat_store_short v[3:4], v5 offset:32
.LBB75_19:
	s_or_b32 exec_lo, exec_lo, s7
	s_cbranch_execz .LBB75_22
.LBB75_20:
	s_endpgm
.LBB75_21:
.LBB75_22:
	s_and_saveexec_b32 s1, s0
	s_cbranch_execz .LBB75_20
; %bb.23:
	v_mul_lo_u32 v5, v2, s14
	v_mul_lo_u32 v6, v1, s15
	v_mad_u64_u32 v[3:4], null, v1, s14, 0
	v_mul_lo_u32 v11, v2, s8
	v_mul_lo_u32 v12, v1, s9
	v_mad_u64_u32 v[9:10], null, v1, s8, 0
	s_lshl_b64 s[0:1], s[16:17], 1
	v_add3_u32 v4, v4, v6, v5
	v_add_co_u32 v5, s2, s18, v0
	v_add_co_ci_u32_e64 v6, null, s19, 0, s2
	v_add3_u32 v10, v10, v12, v11
	v_lshlrev_b64 v[3:4], 1, v[3:4]
	s_add_u32 s0, s12, s0
	s_addc_u32 s1, s13, s1
	v_cmp_gt_i64_e32 vcc_lo, s[28:29], v[5:6]
	v_lshlrev_b64 v[10:11], 1, v[9:10]
	v_add_co_u32 v0, s0, s0, v3
	v_add_co_ci_u32_e64 v9, null, s1, v4, s0
	v_add_co_u32 v10, s0, s5, v10
	v_lshlrev_b64 v[3:4], 1, v[5:6]
	v_add_co_ci_u32_e64 v11, null, s3, v11, s0
	s_and_saveexec_b32 s1, vcc_lo
	s_cbranch_execz .LBB75_25
; %bb.24:
	v_add_co_u32 v12, s0, v0, v3
	v_add_co_ci_u32_e64 v13, null, v9, v4, s0
	flat_load_ushort v12, v[12:13]
	s_waitcnt vmcnt(0) lgkmcnt(0)
	v_mul_f16_e32 v14, s6, v12
	v_add_co_u32 v12, s0, v10, v3
	v_add_co_ci_u32_e64 v13, null, v11, v4, s0
	v_fmac_f16_e32 v14, s4, v7
	flat_store_short v[12:13], v14
.LBB75_25:
	s_or_b32 exec_lo, exec_lo, s1
	v_add_co_u32 v5, s0, v5, 16
	v_add_co_ci_u32_e64 v6, null, 0, v6, s0
	v_cmp_gt_i64_e64 s0, s[28:29], v[5:6]
	s_and_saveexec_b32 s2, s0
	s_cbranch_execz .LBB75_27
; %bb.26:
	v_add_co_u32 v5, s1, v0, v3
	v_add_co_ci_u32_e64 v6, null, v9, v4, s1
	flat_load_ushort v5, v[5:6] offset:32
	v_lshrrev_b32_e32 v6, 16, v7
	s_waitcnt vmcnt(0) lgkmcnt(0)
	v_mul_f16_e32 v7, s6, v5
	v_add_co_u32 v5, s1, v10, v3
	v_fmac_f16_e32 v7, s4, v6
	v_add_co_ci_u32_e64 v6, null, v11, v4, s1
	flat_store_short v[5:6], v7 offset:32
.LBB75_27:
	s_or_b32 exec_lo, exec_lo, s2
	v_add_co_u32 v1, s1, v1, 16
	v_add_co_ci_u32_e64 v2, null, 0, v2, s1
	v_cmp_gt_i64_e64 s1, s[30:31], v[1:2]
	s_and_b32 exec_lo, exec_lo, s1
	s_cbranch_execz .LBB75_20
; %bb.28:
	s_lshl_b64 s[2:3], s[14:15], 5
	v_add_co_u32 v0, s1, v0, s2
	v_add_co_ci_u32_e64 v1, null, s3, v9, s1
	s_lshl_b64 s[2:3], s[8:9], 5
	v_add_co_u32 v2, s1, v10, s2
	v_add_co_ci_u32_e64 v7, null, s3, v11, s1
	v_add_co_u32 v5, s1, v0, v3
	v_add_co_ci_u32_e64 v6, null, v1, v4, s1
	v_add_co_u32 v0, s1, v2, v3
	v_add_co_ci_u32_e64 v1, null, v7, v4, s1
	s_and_saveexec_b32 s1, vcc_lo
	s_cbranch_execz .LBB75_30
; %bb.29:
	flat_load_ushort v2, v[5:6]
	s_waitcnt vmcnt(0) lgkmcnt(0)
	v_mul_f16_e32 v2, s6, v2
	v_fmac_f16_e32 v2, s4, v8
	flat_store_short v[0:1], v2
.LBB75_30:
	s_or_b32 exec_lo, exec_lo, s1
	s_and_b32 exec_lo, exec_lo, s0
	s_cbranch_execz .LBB75_20
; %bb.31:
	flat_load_ushort v2, v[5:6] offset:32
	v_lshrrev_b32_e32 v3, 16, v8
	s_waitcnt vmcnt(0) lgkmcnt(0)
	v_mul_f16_e32 v2, s6, v2
	v_fmac_f16_e32 v2, s4, v3
	flat_store_short v[0:1], v2 offset:32
	s_endpgm
	.section	.rodata,"a",@progbits
	.p2align	6, 0x0
	.amdhsa_kernel _ZN12_GLOBAL__N_135rocblas_gemm_batched_general_kernelIDF16_Li16ELi16ELi32ELi32ELi8ELi32ELi8ELi8ELi32ELc78ELc78EKPKDF16_S3_KPDF16_EEvlllT_PT11_llS8_llS6_PT12_llPT13_lli
		.amdhsa_group_segment_fixed_size 1024
		.amdhsa_private_segment_fixed_size 0
		.amdhsa_kernarg_size 140
		.amdhsa_user_sgpr_count 6
		.amdhsa_user_sgpr_private_segment_buffer 1
		.amdhsa_user_sgpr_dispatch_ptr 0
		.amdhsa_user_sgpr_queue_ptr 0
		.amdhsa_user_sgpr_kernarg_segment_ptr 1
		.amdhsa_user_sgpr_dispatch_id 0
		.amdhsa_user_sgpr_flat_scratch_init 0
		.amdhsa_user_sgpr_private_segment_size 0
		.amdhsa_wavefront_size32 1
		.amdhsa_uses_dynamic_stack 0
		.amdhsa_system_sgpr_private_segment_wavefront_offset 0
		.amdhsa_system_sgpr_workgroup_id_x 1
		.amdhsa_system_sgpr_workgroup_id_y 1
		.amdhsa_system_sgpr_workgroup_id_z 1
		.amdhsa_system_sgpr_workgroup_info 0
		.amdhsa_system_vgpr_workitem_id 1
		.amdhsa_next_free_vgpr 30
		.amdhsa_next_free_sgpr 44
		.amdhsa_reserve_vcc 1
		.amdhsa_reserve_flat_scratch 0
		.amdhsa_float_round_mode_32 0
		.amdhsa_float_round_mode_16_64 0
		.amdhsa_float_denorm_mode_32 3
		.amdhsa_float_denorm_mode_16_64 3
		.amdhsa_dx10_clamp 1
		.amdhsa_ieee_mode 1
		.amdhsa_fp16_overflow 0
		.amdhsa_workgroup_processor_mode 1
		.amdhsa_memory_ordered 1
		.amdhsa_forward_progress 1
		.amdhsa_shared_vgpr_count 0
		.amdhsa_exception_fp_ieee_invalid_op 0
		.amdhsa_exception_fp_denorm_src 0
		.amdhsa_exception_fp_ieee_div_zero 0
		.amdhsa_exception_fp_ieee_overflow 0
		.amdhsa_exception_fp_ieee_underflow 0
		.amdhsa_exception_fp_ieee_inexact 0
		.amdhsa_exception_int_div_zero 0
	.end_amdhsa_kernel
	.section	.text._ZN12_GLOBAL__N_135rocblas_gemm_batched_general_kernelIDF16_Li16ELi16ELi32ELi32ELi8ELi32ELi8ELi8ELi32ELc78ELc78EKPKDF16_S3_KPDF16_EEvlllT_PT11_llS8_llS6_PT12_llPT13_lli,"axG",@progbits,_ZN12_GLOBAL__N_135rocblas_gemm_batched_general_kernelIDF16_Li16ELi16ELi32ELi32ELi8ELi32ELi8ELi8ELi32ELc78ELc78EKPKDF16_S3_KPDF16_EEvlllT_PT11_llS8_llS6_PT12_llPT13_lli,comdat
.Lfunc_end75:
	.size	_ZN12_GLOBAL__N_135rocblas_gemm_batched_general_kernelIDF16_Li16ELi16ELi32ELi32ELi8ELi32ELi8ELi8ELi32ELc78ELc78EKPKDF16_S3_KPDF16_EEvlllT_PT11_llS8_llS6_PT12_llPT13_lli, .Lfunc_end75-_ZN12_GLOBAL__N_135rocblas_gemm_batched_general_kernelIDF16_Li16ELi16ELi32ELi32ELi8ELi32ELi8ELi8ELi32ELc78ELc78EKPKDF16_S3_KPDF16_EEvlllT_PT11_llS8_llS6_PT12_llPT13_lli
                                        ; -- End function
	.set _ZN12_GLOBAL__N_135rocblas_gemm_batched_general_kernelIDF16_Li16ELi16ELi32ELi32ELi8ELi32ELi8ELi8ELi32ELc78ELc78EKPKDF16_S3_KPDF16_EEvlllT_PT11_llS8_llS6_PT12_llPT13_lli.num_vgpr, 30
	.set _ZN12_GLOBAL__N_135rocblas_gemm_batched_general_kernelIDF16_Li16ELi16ELi32ELi32ELi8ELi32ELi8ELi8ELi32ELc78ELc78EKPKDF16_S3_KPDF16_EEvlllT_PT11_llS8_llS6_PT12_llPT13_lli.num_agpr, 0
	.set _ZN12_GLOBAL__N_135rocblas_gemm_batched_general_kernelIDF16_Li16ELi16ELi32ELi32ELi8ELi32ELi8ELi8ELi32ELc78ELc78EKPKDF16_S3_KPDF16_EEvlllT_PT11_llS8_llS6_PT12_llPT13_lli.numbered_sgpr, 44
	.set _ZN12_GLOBAL__N_135rocblas_gemm_batched_general_kernelIDF16_Li16ELi16ELi32ELi32ELi8ELi32ELi8ELi8ELi32ELc78ELc78EKPKDF16_S3_KPDF16_EEvlllT_PT11_llS8_llS6_PT12_llPT13_lli.num_named_barrier, 0
	.set _ZN12_GLOBAL__N_135rocblas_gemm_batched_general_kernelIDF16_Li16ELi16ELi32ELi32ELi8ELi32ELi8ELi8ELi32ELc78ELc78EKPKDF16_S3_KPDF16_EEvlllT_PT11_llS8_llS6_PT12_llPT13_lli.private_seg_size, 0
	.set _ZN12_GLOBAL__N_135rocblas_gemm_batched_general_kernelIDF16_Li16ELi16ELi32ELi32ELi8ELi32ELi8ELi8ELi32ELc78ELc78EKPKDF16_S3_KPDF16_EEvlllT_PT11_llS8_llS6_PT12_llPT13_lli.uses_vcc, 1
	.set _ZN12_GLOBAL__N_135rocblas_gemm_batched_general_kernelIDF16_Li16ELi16ELi32ELi32ELi8ELi32ELi8ELi8ELi32ELc78ELc78EKPKDF16_S3_KPDF16_EEvlllT_PT11_llS8_llS6_PT12_llPT13_lli.uses_flat_scratch, 0
	.set _ZN12_GLOBAL__N_135rocblas_gemm_batched_general_kernelIDF16_Li16ELi16ELi32ELi32ELi8ELi32ELi8ELi8ELi32ELc78ELc78EKPKDF16_S3_KPDF16_EEvlllT_PT11_llS8_llS6_PT12_llPT13_lli.has_dyn_sized_stack, 0
	.set _ZN12_GLOBAL__N_135rocblas_gemm_batched_general_kernelIDF16_Li16ELi16ELi32ELi32ELi8ELi32ELi8ELi8ELi32ELc78ELc78EKPKDF16_S3_KPDF16_EEvlllT_PT11_llS8_llS6_PT12_llPT13_lli.has_recursion, 0
	.set _ZN12_GLOBAL__N_135rocblas_gemm_batched_general_kernelIDF16_Li16ELi16ELi32ELi32ELi8ELi32ELi8ELi8ELi32ELc78ELc78EKPKDF16_S3_KPDF16_EEvlllT_PT11_llS8_llS6_PT12_llPT13_lli.has_indirect_call, 0
	.section	.AMDGPU.csdata,"",@progbits
; Kernel info:
; codeLenInByte = 1928
; TotalNumSgprs: 46
; NumVgprs: 30
; ScratchSize: 0
; MemoryBound: 0
; FloatMode: 240
; IeeeMode: 1
; LDSByteSize: 1024 bytes/workgroup (compile time only)
; SGPRBlocks: 0
; VGPRBlocks: 3
; NumSGPRsForWavesPerEU: 46
; NumVGPRsForWavesPerEU: 30
; Occupancy: 16
; WaveLimiterHint : 1
; COMPUTE_PGM_RSRC2:SCRATCH_EN: 0
; COMPUTE_PGM_RSRC2:USER_SGPR: 6
; COMPUTE_PGM_RSRC2:TRAP_HANDLER: 0
; COMPUTE_PGM_RSRC2:TGID_X_EN: 1
; COMPUTE_PGM_RSRC2:TGID_Y_EN: 1
; COMPUTE_PGM_RSRC2:TGID_Z_EN: 1
; COMPUTE_PGM_RSRC2:TIDIG_COMP_CNT: 1
	.section	.text._ZN12_GLOBAL__N_135rocblas_gemm_batched_general_kernelIDF16_Li16ELi16ELi32ELi32ELi8ELi32ELi8ELi8ELi32ELc84ELc78EKPKDF16_S3_KPDF16_EEvlllT_PT11_llS8_llS6_PT12_llPT13_lli,"axG",@progbits,_ZN12_GLOBAL__N_135rocblas_gemm_batched_general_kernelIDF16_Li16ELi16ELi32ELi32ELi8ELi32ELi8ELi8ELi32ELc84ELc78EKPKDF16_S3_KPDF16_EEvlllT_PT11_llS8_llS6_PT12_llPT13_lli,comdat
	.globl	_ZN12_GLOBAL__N_135rocblas_gemm_batched_general_kernelIDF16_Li16ELi16ELi32ELi32ELi8ELi32ELi8ELi8ELi32ELc84ELc78EKPKDF16_S3_KPDF16_EEvlllT_PT11_llS8_llS6_PT12_llPT13_lli ; -- Begin function _ZN12_GLOBAL__N_135rocblas_gemm_batched_general_kernelIDF16_Li16ELi16ELi32ELi32ELi8ELi32ELi8ELi8ELi32ELc84ELc78EKPKDF16_S3_KPDF16_EEvlllT_PT11_llS8_llS6_PT12_llPT13_lli
	.p2align	8
	.type	_ZN12_GLOBAL__N_135rocblas_gemm_batched_general_kernelIDF16_Li16ELi16ELi32ELi32ELi8ELi32ELi8ELi8ELi32ELc84ELc78EKPKDF16_S3_KPDF16_EEvlllT_PT11_llS8_llS6_PT12_llPT13_lli,@function
_ZN12_GLOBAL__N_135rocblas_gemm_batched_general_kernelIDF16_Li16ELi16ELi32ELi32ELi8ELi32ELi8ELi8ELi32ELc84ELc78EKPKDF16_S3_KPDF16_EEvlllT_PT11_llS8_llS6_PT12_llPT13_lli: ; @_ZN12_GLOBAL__N_135rocblas_gemm_batched_general_kernelIDF16_Li16ELi16ELi32ELi32ELi8ELi32ELi8ELi8ELi32ELc84ELc78EKPKDF16_S3_KPDF16_EEvlllT_PT11_llS8_llS6_PT12_llPT13_lli
; %bb.0:
	s_clause 0x1
	s_load_dwordx8 s[12:19], s[4:5], 0x58
	s_load_dwordx2 s[34:35], s[4:5], 0x10
	s_mov_b32 s9, 0
	s_load_dwordx4 s[28:31], s[4:5], 0x0
	s_lshl_b64 s[38:39], s[8:9], 3
	s_load_dwordx4 s[8:11], s[4:5], 0x78
	s_mov_b32 s0, s7
	v_mov_b32_e32 v7, 0
	s_waitcnt lgkmcnt(0)
	s_add_u32 s2, s12, s38
	s_addc_u32 s3, s13, s39
	s_add_u32 s18, s18, s38
	s_addc_u32 s19, s19, s39
	s_load_dwordx2 s[12:13], s[2:3], 0x0
	s_load_dwordx2 s[18:19], s[18:19], 0x0
	v_cmp_lt_i64_e64 s2, s[34:35], 1
	s_ashr_i32 s7, s6, 31
	s_ashr_i32 s1, s0, 31
	s_lshl_b64 s[6:7], s[6:7], 5
	s_lshl_b64 s[36:37], s[0:1], 5
	s_and_b32 vcc_lo, exec_lo, s2
	s_cbranch_vccnz .LBB76_7
; %bb.1:
	v_lshlrev_b32_e32 v8, 4, v1
	s_clause 0x1
	s_load_dwordx4 s[0:3], s[4:5], 0x40
	s_load_dwordx8 s[20:27], s[4:5], 0x20
	v_mov_b32_e32 v3, s7
	v_and_b32_e32 v6, 7, v0
	v_add_nc_u32_e32 v2, v8, v0
	v_lshlrev_b32_e32 v16, 1, v6
	v_lshrrev_b32_e32 v10, 3, v2
	v_and_b32_e32 v11, 31, v2
	v_lshrrev_b32_e32 v9, 5, v2
	v_add_co_u32 v4, s33, v10, s36
	v_add_co_ci_u32_e64 v5, null, 0, s37, s33
	v_or_b32_e32 v2, s6, v11
	v_lshlrev_b32_e32 v17, 1, v11
	s_waitcnt lgkmcnt(0)
	v_mul_lo_u32 v18, s1, v4
	v_add_co_u32 v11, s1, s6, v11
	v_add_co_ci_u32_e64 v14, null, s7, 0, s1
	v_mul_lo_u32 v19, s0, v5
	v_mad_u64_u32 v[12:13], null, s0, v4, 0
	v_mul_lo_u32 v20, s23, v11
	v_mul_lo_u32 v21, s22, v14
	v_mad_u64_u32 v[14:15], null, s22, v11, 0
	s_add_u32 s26, s26, s38
	s_addc_u32 s27, s27, s39
	v_add3_u32 v13, v13, v19, v18
	s_add_u32 s20, s20, s38
	s_load_dwordx2 s[26:27], s[26:27], 0x0
	s_addc_u32 s21, s21, s39
	v_add3_u32 v15, v15, v21, v20
	s_load_dwordx2 s[20:21], s[20:21], 0x0
	v_cmp_gt_i64_e64 s0, s[28:29], v[2:3]
	v_lshlrev_b64 v[2:3], 1, v[12:13]
	v_cmp_gt_i64_e64 s1, s[30:31], v[4:5]
	s_lshl_b64 s[2:3], s[2:3], 1
	v_lshlrev_b64 v[4:5], 1, v[14:15]
	v_add_nc_u32_e32 v13, 0x200, v8
	v_lshlrev_b32_e32 v8, 1, v9
	v_add_co_u32 v2, vcc_lo, v2, s2
	v_add_co_ci_u32_e64 v3, null, s3, v3, vcc_lo
	s_lshl_b64 s[2:3], s[24:25], 1
	v_lshl_or_b32 v11, v10, 4, v16
	v_add_co_u32 v4, vcc_lo, v4, s2
	v_add_co_ci_u32_e64 v5, null, s3, v5, vcc_lo
	v_add_co_u32 v2, vcc_lo, v2, v16
	v_add_co_ci_u32_e64 v3, null, 0, v3, vcc_lo
	;; [unrolled: 2-line block ×3, first 2 shown]
	s_waitcnt lgkmcnt(0)
	v_add_co_u32 v2, vcc_lo, s26, v2
	v_add_co_ci_u32_e64 v3, null, s27, v3, vcc_lo
	v_add_co_u32 v4, vcc_lo, s20, v4
	v_lshl_or_b32 v10, v9, 6, v17
	v_add_nc_u32_e32 v11, 0x200, v11
	v_lshlrev_b32_e32 v12, 1, v0
	v_add_co_ci_u32_e64 v5, null, s21, v5, vcc_lo
	v_mov_b32_e32 v8, 0
	s_mov_b64 s[2:3], 0
	s_branch .LBB76_3
.LBB76_2:                               ;   in Loop: Header=BB76_3 Depth=1
	s_or_b32 exec_lo, exec_lo, s20
	s_waitcnt vmcnt(0) lgkmcnt(0)
	ds_write_b16 v11, v14
	s_waitcnt lgkmcnt(0)
	s_barrier
	buffer_gl0_inv
	ds_read_u16 v22, v12
	ds_read_u16 v23, v12 offset:64
	ds_read_u16 v24, v12 offset:128
	;; [unrolled: 1-line block ×7, first 2 shown]
	s_add_u32 s2, s2, 8
	s_addc_u32 s3, s3, 0
	v_add_co_u32 v2, vcc_lo, v2, 16
	v_cmp_lt_i64_e64 s20, s[2:3], s[34:35]
	v_add_co_ci_u32_e64 v3, null, 0, v3, vcc_lo
	v_add_co_u32 v4, vcc_lo, v4, 16
	v_add_co_ci_u32_e64 v5, null, 0, v5, vcc_lo
	s_and_b32 vcc_lo, exec_lo, s20
	s_waitcnt lgkmcnt(7)
	ds_read_u16_d16_hi v22, v12 offset:32
	ds_read_b128 v[14:17], v13
	ds_read_b128 v[18:21], v13 offset:256
	s_waitcnt lgkmcnt(9)
	ds_read_u16_d16_hi v23, v12 offset:96
	s_waitcnt lgkmcnt(9)
	ds_read_u16_d16_hi v24, v12 offset:160
	;; [unrolled: 2-line block ×7, first 2 shown]
	s_waitcnt lgkmcnt(0)
	s_barrier
	buffer_gl0_inv
	v_pk_fma_f16 v7, v22, v14, v7 op_sel_hi:[1,0,1]
	v_pk_fma_f16 v8, v22, v18, v8 op_sel_hi:[1,0,1]
	v_pk_fma_f16 v7, v23, v14, v7 op_sel:[0,1,0]
	v_pk_fma_f16 v8, v23, v18, v8 op_sel:[0,1,0]
	v_pk_fma_f16 v7, v24, v15, v7 op_sel_hi:[1,0,1]
	v_pk_fma_f16 v8, v24, v19, v8 op_sel_hi:[1,0,1]
	v_pk_fma_f16 v7, v25, v15, v7 op_sel:[0,1,0]
	v_pk_fma_f16 v8, v25, v19, v8 op_sel:[0,1,0]
	;; [unrolled: 4-line block ×4, first 2 shown]
	s_cbranch_vccz .LBB76_8
.LBB76_3:                               ; =>This Inner Loop Header: Depth=1
	v_add_co_u32 v14, s20, v9, s2
	v_add_co_ci_u32_e64 v15, null, 0, s3, s20
	v_cmp_gt_i64_e32 vcc_lo, s[34:35], v[14:15]
	v_mov_b32_e32 v14, 0
	v_mov_b32_e32 v15, 0
	s_and_b32 s21, s0, vcc_lo
	s_and_saveexec_b32 s20, s21
	s_cbranch_execz .LBB76_5
; %bb.4:                                ;   in Loop: Header=BB76_3 Depth=1
	flat_load_ushort v15, v[4:5]
.LBB76_5:                               ;   in Loop: Header=BB76_3 Depth=1
	s_or_b32 exec_lo, exec_lo, s20
	v_add_co_u32 v16, s20, v6, s2
	v_add_co_ci_u32_e64 v17, null, 0, s3, s20
	s_waitcnt vmcnt(0) lgkmcnt(0)
	ds_write_b16 v10, v15
	v_cmp_gt_i64_e32 vcc_lo, s[34:35], v[16:17]
	s_and_b32 s21, vcc_lo, s1
	s_and_saveexec_b32 s20, s21
	s_cbranch_execz .LBB76_2
; %bb.6:                                ;   in Loop: Header=BB76_3 Depth=1
	flat_load_ushort v14, v[2:3]
	s_branch .LBB76_2
.LBB76_7:
	v_mov_b32_e32 v8, 0
.LBB76_8:
	s_clause 0x1
	s_load_dword s20, s[4:5], 0x50
	s_load_dword s3, s[4:5], 0x18
	v_add_co_u32 v1, s2, s36, v1
	v_add_co_ci_u32_e64 v2, null, s37, 0, s2
	s_lshl_b64 s[0:1], s[10:11], 1
	s_waitcnt lgkmcnt(0)
	s_add_u32 s4, s18, s0
	v_cmp_gt_i64_e64 s0, s[30:31], v[1:2]
	s_addc_u32 s5, s19, s1
	v_cmp_neq_f16_e64 s2, s20, 0
	s_and_b32 vcc_lo, exec_lo, s2
	s_cbranch_vccnz .LBB76_21
; %bb.9:
	s_and_saveexec_b32 s10, s0
	s_cbranch_execz .LBB76_19
; %bb.10:
	v_mul_lo_u32 v5, v2, s8
	v_mul_lo_u32 v6, v1, s9
	v_mad_u64_u32 v[3:4], null, v1, s8, 0
	v_add3_u32 v4, v4, v6, v5
	v_add_co_u32 v5, s1, s6, v0
	v_add_co_ci_u32_e64 v6, null, s7, 0, s1
	v_lshlrev_b64 v[9:10], 1, v[3:4]
	v_cmp_gt_i64_e32 vcc_lo, s[28:29], v[5:6]
	v_lshlrev_b64 v[3:4], 1, v[5:6]
	v_add_co_u32 v9, s1, s4, v9
	v_add_co_ci_u32_e64 v10, null, s5, v10, s1
	s_and_saveexec_b32 s2, vcc_lo
	s_cbranch_execz .LBB76_12
; %bb.11:
	v_add_co_u32 v11, s1, v9, v3
	v_add_co_ci_u32_e64 v12, null, v10, v4, s1
	v_mul_f16_e32 v13, s3, v7
	flat_store_short v[11:12], v13
.LBB76_12:
	s_or_b32 exec_lo, exec_lo, s2
	v_add_co_u32 v5, s1, v5, 16
	v_add_co_ci_u32_e64 v6, null, 0, v6, s1
	v_cmp_gt_i64_e64 s1, s[28:29], v[5:6]
	s_and_saveexec_b32 s11, s1
	s_cbranch_execz .LBB76_14
; %bb.13:
	v_add_co_u32 v5, s2, v9, v3
	v_add_co_ci_u32_e64 v6, null, v10, v4, s2
	v_mul_f16_sdwa v11, s3, v7 dst_sel:DWORD dst_unused:UNUSED_PAD src0_sel:DWORD src1_sel:WORD_1
	flat_store_short v[5:6], v11 offset:32
.LBB76_14:
	s_or_b32 exec_lo, exec_lo, s11
	v_add_co_u32 v5, s2, v1, 16
	v_add_co_ci_u32_e64 v6, null, 0, v2, s2
	v_cmp_gt_i64_e64 s2, s[30:31], v[5:6]
	s_and_b32 exec_lo, exec_lo, s2
	s_cbranch_execz .LBB76_19
; %bb.15:
	s_lshl_b64 s[18:19], s[8:9], 5
	v_add_co_u32 v5, s2, v9, s18
	v_add_co_ci_u32_e64 v6, null, s19, v10, s2
	v_add_co_u32 v3, s2, v5, v3
	v_add_co_ci_u32_e64 v4, null, v6, v4, s2
	s_and_saveexec_b32 s2, vcc_lo
	s_cbranch_execz .LBB76_17
; %bb.16:
	v_mul_f16_e32 v5, s3, v8
	flat_store_short v[3:4], v5
.LBB76_17:
	s_or_b32 exec_lo, exec_lo, s2
	s_and_b32 exec_lo, exec_lo, s1
	s_cbranch_execz .LBB76_19
; %bb.18:
	v_mul_f16_sdwa v5, s3, v8 dst_sel:DWORD dst_unused:UNUSED_PAD src0_sel:DWORD src1_sel:WORD_1
	flat_store_short v[3:4], v5 offset:32
.LBB76_19:
	s_or_b32 exec_lo, exec_lo, s10
	s_cbranch_execz .LBB76_22
.LBB76_20:
	s_endpgm
.LBB76_21:
.LBB76_22:
	s_and_saveexec_b32 s1, s0
	s_cbranch_execz .LBB76_20
; %bb.23:
	v_mul_lo_u32 v5, v2, s14
	v_mul_lo_u32 v6, v1, s15
	v_mad_u64_u32 v[3:4], null, v1, s14, 0
	v_mul_lo_u32 v11, v2, s8
	v_mul_lo_u32 v12, v1, s9
	v_mad_u64_u32 v[9:10], null, v1, s8, 0
	s_lshl_b64 s[0:1], s[16:17], 1
	v_add3_u32 v4, v4, v6, v5
	v_add_co_u32 v5, s2, s6, v0
	v_add_co_ci_u32_e64 v6, null, s7, 0, s2
	v_add3_u32 v10, v10, v12, v11
	v_lshlrev_b64 v[3:4], 1, v[3:4]
	s_add_u32 s0, s12, s0
	s_addc_u32 s1, s13, s1
	v_cmp_gt_i64_e32 vcc_lo, s[28:29], v[5:6]
	v_lshlrev_b64 v[10:11], 1, v[9:10]
	v_add_co_u32 v0, s0, s0, v3
	v_add_co_ci_u32_e64 v9, null, s1, v4, s0
	v_add_co_u32 v10, s0, s4, v10
	v_lshlrev_b64 v[3:4], 1, v[5:6]
	v_add_co_ci_u32_e64 v11, null, s5, v11, s0
	s_and_saveexec_b32 s1, vcc_lo
	s_cbranch_execz .LBB76_25
; %bb.24:
	v_add_co_u32 v12, s0, v0, v3
	v_add_co_ci_u32_e64 v13, null, v9, v4, s0
	flat_load_ushort v12, v[12:13]
	s_waitcnt vmcnt(0) lgkmcnt(0)
	v_mul_f16_e32 v14, s20, v12
	v_add_co_u32 v12, s0, v10, v3
	v_add_co_ci_u32_e64 v13, null, v11, v4, s0
	v_fmac_f16_e32 v14, s3, v7
	flat_store_short v[12:13], v14
.LBB76_25:
	s_or_b32 exec_lo, exec_lo, s1
	v_add_co_u32 v5, s0, v5, 16
	v_add_co_ci_u32_e64 v6, null, 0, v6, s0
	v_cmp_gt_i64_e64 s0, s[28:29], v[5:6]
	s_and_saveexec_b32 s2, s0
	s_cbranch_execz .LBB76_27
; %bb.26:
	v_add_co_u32 v5, s1, v0, v3
	v_add_co_ci_u32_e64 v6, null, v9, v4, s1
	flat_load_ushort v5, v[5:6] offset:32
	v_lshrrev_b32_e32 v6, 16, v7
	s_waitcnt vmcnt(0) lgkmcnt(0)
	v_mul_f16_e32 v7, s20, v5
	v_add_co_u32 v5, s1, v10, v3
	v_fmac_f16_e32 v7, s3, v6
	v_add_co_ci_u32_e64 v6, null, v11, v4, s1
	flat_store_short v[5:6], v7 offset:32
.LBB76_27:
	s_or_b32 exec_lo, exec_lo, s2
	v_add_co_u32 v1, s1, v1, 16
	v_add_co_ci_u32_e64 v2, null, 0, v2, s1
	v_cmp_gt_i64_e64 s1, s[30:31], v[1:2]
	s_and_b32 exec_lo, exec_lo, s1
	s_cbranch_execz .LBB76_20
; %bb.28:
	s_lshl_b64 s[4:5], s[14:15], 5
	v_add_co_u32 v0, s1, v0, s4
	v_add_co_ci_u32_e64 v1, null, s5, v9, s1
	s_lshl_b64 s[4:5], s[8:9], 5
	v_add_co_u32 v2, s1, v10, s4
	v_add_co_ci_u32_e64 v7, null, s5, v11, s1
	v_add_co_u32 v5, s1, v0, v3
	v_add_co_ci_u32_e64 v6, null, v1, v4, s1
	;; [unrolled: 2-line block ×3, first 2 shown]
	s_and_saveexec_b32 s1, vcc_lo
	s_cbranch_execz .LBB76_30
; %bb.29:
	flat_load_ushort v2, v[5:6]
	s_waitcnt vmcnt(0) lgkmcnt(0)
	v_mul_f16_e32 v2, s20, v2
	v_fmac_f16_e32 v2, s3, v8
	flat_store_short v[0:1], v2
.LBB76_30:
	s_or_b32 exec_lo, exec_lo, s1
	s_and_b32 exec_lo, exec_lo, s0
	s_cbranch_execz .LBB76_20
; %bb.31:
	flat_load_ushort v2, v[5:6] offset:32
	v_lshrrev_b32_e32 v3, 16, v8
	s_waitcnt vmcnt(0) lgkmcnt(0)
	v_mul_f16_e32 v2, s20, v2
	v_fmac_f16_e32 v2, s3, v3
	flat_store_short v[0:1], v2 offset:32
	s_endpgm
	.section	.rodata,"a",@progbits
	.p2align	6, 0x0
	.amdhsa_kernel _ZN12_GLOBAL__N_135rocblas_gemm_batched_general_kernelIDF16_Li16ELi16ELi32ELi32ELi8ELi32ELi8ELi8ELi32ELc84ELc78EKPKDF16_S3_KPDF16_EEvlllT_PT11_llS8_llS6_PT12_llPT13_lli
		.amdhsa_group_segment_fixed_size 1024
		.amdhsa_private_segment_fixed_size 0
		.amdhsa_kernarg_size 140
		.amdhsa_user_sgpr_count 6
		.amdhsa_user_sgpr_private_segment_buffer 1
		.amdhsa_user_sgpr_dispatch_ptr 0
		.amdhsa_user_sgpr_queue_ptr 0
		.amdhsa_user_sgpr_kernarg_segment_ptr 1
		.amdhsa_user_sgpr_dispatch_id 0
		.amdhsa_user_sgpr_flat_scratch_init 0
		.amdhsa_user_sgpr_private_segment_size 0
		.amdhsa_wavefront_size32 1
		.amdhsa_uses_dynamic_stack 0
		.amdhsa_system_sgpr_private_segment_wavefront_offset 0
		.amdhsa_system_sgpr_workgroup_id_x 1
		.amdhsa_system_sgpr_workgroup_id_y 1
		.amdhsa_system_sgpr_workgroup_id_z 1
		.amdhsa_system_sgpr_workgroup_info 0
		.amdhsa_system_vgpr_workitem_id 1
		.amdhsa_next_free_vgpr 30
		.amdhsa_next_free_sgpr 40
		.amdhsa_reserve_vcc 1
		.amdhsa_reserve_flat_scratch 0
		.amdhsa_float_round_mode_32 0
		.amdhsa_float_round_mode_16_64 0
		.amdhsa_float_denorm_mode_32 3
		.amdhsa_float_denorm_mode_16_64 3
		.amdhsa_dx10_clamp 1
		.amdhsa_ieee_mode 1
		.amdhsa_fp16_overflow 0
		.amdhsa_workgroup_processor_mode 1
		.amdhsa_memory_ordered 1
		.amdhsa_forward_progress 1
		.amdhsa_shared_vgpr_count 0
		.amdhsa_exception_fp_ieee_invalid_op 0
		.amdhsa_exception_fp_denorm_src 0
		.amdhsa_exception_fp_ieee_div_zero 0
		.amdhsa_exception_fp_ieee_overflow 0
		.amdhsa_exception_fp_ieee_underflow 0
		.amdhsa_exception_fp_ieee_inexact 0
		.amdhsa_exception_int_div_zero 0
	.end_amdhsa_kernel
	.section	.text._ZN12_GLOBAL__N_135rocblas_gemm_batched_general_kernelIDF16_Li16ELi16ELi32ELi32ELi8ELi32ELi8ELi8ELi32ELc84ELc78EKPKDF16_S3_KPDF16_EEvlllT_PT11_llS8_llS6_PT12_llPT13_lli,"axG",@progbits,_ZN12_GLOBAL__N_135rocblas_gemm_batched_general_kernelIDF16_Li16ELi16ELi32ELi32ELi8ELi32ELi8ELi8ELi32ELc84ELc78EKPKDF16_S3_KPDF16_EEvlllT_PT11_llS8_llS6_PT12_llPT13_lli,comdat
.Lfunc_end76:
	.size	_ZN12_GLOBAL__N_135rocblas_gemm_batched_general_kernelIDF16_Li16ELi16ELi32ELi32ELi8ELi32ELi8ELi8ELi32ELc84ELc78EKPKDF16_S3_KPDF16_EEvlllT_PT11_llS8_llS6_PT12_llPT13_lli, .Lfunc_end76-_ZN12_GLOBAL__N_135rocblas_gemm_batched_general_kernelIDF16_Li16ELi16ELi32ELi32ELi8ELi32ELi8ELi8ELi32ELc84ELc78EKPKDF16_S3_KPDF16_EEvlllT_PT11_llS8_llS6_PT12_llPT13_lli
                                        ; -- End function
	.set _ZN12_GLOBAL__N_135rocblas_gemm_batched_general_kernelIDF16_Li16ELi16ELi32ELi32ELi8ELi32ELi8ELi8ELi32ELc84ELc78EKPKDF16_S3_KPDF16_EEvlllT_PT11_llS8_llS6_PT12_llPT13_lli.num_vgpr, 30
	.set _ZN12_GLOBAL__N_135rocblas_gemm_batched_general_kernelIDF16_Li16ELi16ELi32ELi32ELi8ELi32ELi8ELi8ELi32ELc84ELc78EKPKDF16_S3_KPDF16_EEvlllT_PT11_llS8_llS6_PT12_llPT13_lli.num_agpr, 0
	.set _ZN12_GLOBAL__N_135rocblas_gemm_batched_general_kernelIDF16_Li16ELi16ELi32ELi32ELi8ELi32ELi8ELi8ELi32ELc84ELc78EKPKDF16_S3_KPDF16_EEvlllT_PT11_llS8_llS6_PT12_llPT13_lli.numbered_sgpr, 40
	.set _ZN12_GLOBAL__N_135rocblas_gemm_batched_general_kernelIDF16_Li16ELi16ELi32ELi32ELi8ELi32ELi8ELi8ELi32ELc84ELc78EKPKDF16_S3_KPDF16_EEvlllT_PT11_llS8_llS6_PT12_llPT13_lli.num_named_barrier, 0
	.set _ZN12_GLOBAL__N_135rocblas_gemm_batched_general_kernelIDF16_Li16ELi16ELi32ELi32ELi8ELi32ELi8ELi8ELi32ELc84ELc78EKPKDF16_S3_KPDF16_EEvlllT_PT11_llS8_llS6_PT12_llPT13_lli.private_seg_size, 0
	.set _ZN12_GLOBAL__N_135rocblas_gemm_batched_general_kernelIDF16_Li16ELi16ELi32ELi32ELi8ELi32ELi8ELi8ELi32ELc84ELc78EKPKDF16_S3_KPDF16_EEvlllT_PT11_llS8_llS6_PT12_llPT13_lli.uses_vcc, 1
	.set _ZN12_GLOBAL__N_135rocblas_gemm_batched_general_kernelIDF16_Li16ELi16ELi32ELi32ELi8ELi32ELi8ELi8ELi32ELc84ELc78EKPKDF16_S3_KPDF16_EEvlllT_PT11_llS8_llS6_PT12_llPT13_lli.uses_flat_scratch, 0
	.set _ZN12_GLOBAL__N_135rocblas_gemm_batched_general_kernelIDF16_Li16ELi16ELi32ELi32ELi8ELi32ELi8ELi8ELi32ELc84ELc78EKPKDF16_S3_KPDF16_EEvlllT_PT11_llS8_llS6_PT12_llPT13_lli.has_dyn_sized_stack, 0
	.set _ZN12_GLOBAL__N_135rocblas_gemm_batched_general_kernelIDF16_Li16ELi16ELi32ELi32ELi8ELi32ELi8ELi8ELi32ELc84ELc78EKPKDF16_S3_KPDF16_EEvlllT_PT11_llS8_llS6_PT12_llPT13_lli.has_recursion, 0
	.set _ZN12_GLOBAL__N_135rocblas_gemm_batched_general_kernelIDF16_Li16ELi16ELi32ELi32ELi8ELi32ELi8ELi8ELi32ELc84ELc78EKPKDF16_S3_KPDF16_EEvlllT_PT11_llS8_llS6_PT12_llPT13_lli.has_indirect_call, 0
	.section	.AMDGPU.csdata,"",@progbits
; Kernel info:
; codeLenInByte = 1948
; TotalNumSgprs: 42
; NumVgprs: 30
; ScratchSize: 0
; MemoryBound: 0
; FloatMode: 240
; IeeeMode: 1
; LDSByteSize: 1024 bytes/workgroup (compile time only)
; SGPRBlocks: 0
; VGPRBlocks: 3
; NumSGPRsForWavesPerEU: 42
; NumVGPRsForWavesPerEU: 30
; Occupancy: 16
; WaveLimiterHint : 1
; COMPUTE_PGM_RSRC2:SCRATCH_EN: 0
; COMPUTE_PGM_RSRC2:USER_SGPR: 6
; COMPUTE_PGM_RSRC2:TRAP_HANDLER: 0
; COMPUTE_PGM_RSRC2:TGID_X_EN: 1
; COMPUTE_PGM_RSRC2:TGID_Y_EN: 1
; COMPUTE_PGM_RSRC2:TGID_Z_EN: 1
; COMPUTE_PGM_RSRC2:TIDIG_COMP_CNT: 1
	.section	.text._ZN12_GLOBAL__N_135rocblas_gemm_batched_general_kernelIDF16_Li16ELi16ELi32ELi32ELi8ELi32ELi8ELi8ELi32ELc78ELc84EKPKDF16_S3_KPDF16_EEvlllT_PT11_llS8_llS6_PT12_llPT13_lli,"axG",@progbits,_ZN12_GLOBAL__N_135rocblas_gemm_batched_general_kernelIDF16_Li16ELi16ELi32ELi32ELi8ELi32ELi8ELi8ELi32ELc78ELc84EKPKDF16_S3_KPDF16_EEvlllT_PT11_llS8_llS6_PT12_llPT13_lli,comdat
	.globl	_ZN12_GLOBAL__N_135rocblas_gemm_batched_general_kernelIDF16_Li16ELi16ELi32ELi32ELi8ELi32ELi8ELi8ELi32ELc78ELc84EKPKDF16_S3_KPDF16_EEvlllT_PT11_llS8_llS6_PT12_llPT13_lli ; -- Begin function _ZN12_GLOBAL__N_135rocblas_gemm_batched_general_kernelIDF16_Li16ELi16ELi32ELi32ELi8ELi32ELi8ELi8ELi32ELc78ELc84EKPKDF16_S3_KPDF16_EEvlllT_PT11_llS8_llS6_PT12_llPT13_lli
	.p2align	8
	.type	_ZN12_GLOBAL__N_135rocblas_gemm_batched_general_kernelIDF16_Li16ELi16ELi32ELi32ELi8ELi32ELi8ELi8ELi32ELc78ELc84EKPKDF16_S3_KPDF16_EEvlllT_PT11_llS8_llS6_PT12_llPT13_lli,@function
_ZN12_GLOBAL__N_135rocblas_gemm_batched_general_kernelIDF16_Li16ELi16ELi32ELi32ELi8ELi32ELi8ELi8ELi32ELc78ELc84EKPKDF16_S3_KPDF16_EEvlllT_PT11_llS8_llS6_PT12_llPT13_lli: ; @_ZN12_GLOBAL__N_135rocblas_gemm_batched_general_kernelIDF16_Li16ELi16ELi32ELi32ELi8ELi32ELi8ELi8ELi32ELc78ELc84EKPKDF16_S3_KPDF16_EEvlllT_PT11_llS8_llS6_PT12_llPT13_lli
; %bb.0:
	s_clause 0x1
	s_load_dwordx8 s[12:19], s[4:5], 0x58
	s_load_dwordx2 s[34:35], s[4:5], 0x10
	s_mov_b32 s9, 0
	s_load_dwordx4 s[28:31], s[4:5], 0x0
	s_lshl_b64 s[44:45], s[8:9], 3
	s_load_dwordx4 s[8:11], s[4:5], 0x78
	s_mov_b32 s42, s7
	v_mov_b32_e32 v7, 0
	s_waitcnt lgkmcnt(0)
	s_add_u32 s0, s12, s44
	s_addc_u32 s1, s13, s45
	s_add_u32 s2, s18, s44
	s_addc_u32 s3, s19, s45
	s_load_dwordx2 s[12:13], s[0:1], 0x0
	s_load_dwordx2 s[2:3], s[2:3], 0x0
	v_cmp_lt_i64_e64 s0, s[34:35], 1
	s_ashr_i32 s7, s6, 31
	s_ashr_i32 s43, s42, 31
	s_lshl_b64 s[18:19], s[6:7], 5
	s_lshl_b64 s[40:41], s[42:43], 5
	s_and_b32 vcc_lo, exec_lo, s0
	s_cbranch_vccnz .LBB77_7
; %bb.1:
	s_clause 0x1
	s_load_dwordx4 s[36:39], s[4:5], 0x40
	s_load_dwordx8 s[20:27], s[4:5], 0x20
	v_lshlrev_b32_e32 v2, 4, v1
	v_and_b32_e32 v6, 7, v0
	v_mov_b32_e32 v3, s19
	v_lshlrev_b32_e32 v9, 1, v0
	v_add_nc_u32_e32 v4, v2, v0
	v_add_nc_u32_e32 v10, 0x200, v2
	v_lshlrev_b32_e32 v8, 1, v6
	v_lshrrev_b32_e32 v11, 5, v4
	v_and_b32_e32 v13, 31, v4
	v_lshrrev_b32_e32 v12, 3, v4
	v_or_b32_e32 v2, s18, v13
	v_add_co_u32 v4, s0, v12, s40
	s_waitcnt lgkmcnt(0)
	v_mad_u64_u32 v[14:15], null, s36, v6, 0
	v_mad_u64_u32 v[16:17], null, s22, v11, 0
	v_add_co_ci_u32_e64 v5, null, 0, s41, s0
	v_cmp_gt_i64_e64 s0, s[28:29], v[2:3]
	s_add_u32 s26, s26, s44
	v_mov_b32_e32 v2, v15
	v_cmp_gt_i64_e64 s1, s[30:31], v[4:5]
	v_mov_b32_e32 v3, v17
	s_addc_u32 s27, s27, s45
	s_add_u32 s20, s20, s44
	s_load_dwordx2 s[26:27], s[26:27], 0x0
	s_addc_u32 s21, s21, s45
	v_mad_u64_u32 v[4:5], null, s37, v6, v[2:3]
	s_load_dwordx2 s[20:21], s[20:21], 0x0
	s_lshl_b64 s[42:43], s[42:43], 6
	s_lshl_b64 s[38:39], s[38:39], 1
	v_lshlrev_b32_e32 v19, 1, v12
	s_add_u32 s33, s38, s42
	s_addc_u32 s42, s39, s43
	v_mad_u64_u32 v[2:3], null, s23, v11, v[3:4]
	v_mov_b32_e32 v15, v4
	s_lshl_b64 s[38:39], s[6:7], 6
	s_lshl_b64 s[24:25], s[24:25], 1
	;; [unrolled: 1-line block ×3, first 2 shown]
	s_add_u32 s24, s24, s38
	v_lshlrev_b32_e32 v18, 1, v13
	v_mov_b32_e32 v17, v2
	v_lshlrev_b64 v[2:3], 1, v[14:15]
	s_addc_u32 s25, s25, s39
	v_lshl_or_b32 v8, v12, 4, v8
	v_lshl_or_b32 v12, v11, 6, v18
	v_lshlrev_b64 v[4:5], 1, v[16:17]
	v_add_co_u32 v2, vcc_lo, s33, v2
	v_add_co_ci_u32_e64 v3, null, s42, v3, vcc_lo
	v_add_co_u32 v4, vcc_lo, s24, v4
	v_add_co_ci_u32_e64 v5, null, s25, v5, vcc_lo
	;; [unrolled: 2-line block ×4, first 2 shown]
	s_waitcnt lgkmcnt(0)
	v_add_co_u32 v2, vcc_lo, s26, v2
	v_add_co_ci_u32_e64 v3, null, s27, v3, vcc_lo
	v_add_co_u32 v4, vcc_lo, s20, v4
	v_add_nc_u32_e32 v13, 0x200, v8
	v_add_co_ci_u32_e64 v5, null, s21, v5, vcc_lo
	v_mov_b32_e32 v8, 0
	s_lshl_b64 s[20:21], s[22:23], 4
	s_mov_b64 s[22:23], 0
	s_branch .LBB77_3
.LBB77_2:                               ;   in Loop: Header=BB77_3 Depth=1
	s_or_b32 exec_lo, exec_lo, s24
	s_waitcnt vmcnt(0) lgkmcnt(0)
	ds_write_b16 v13, v14
	s_waitcnt lgkmcnt(0)
	s_barrier
	buffer_gl0_inv
	ds_read_u16 v22, v9
	ds_read_u16 v23, v9 offset:64
	ds_read_u16 v24, v9 offset:128
	;; [unrolled: 1-line block ×7, first 2 shown]
	s_add_u32 s22, s22, 8
	s_addc_u32 s23, s23, 0
	v_add_co_u32 v2, vcc_lo, v2, s6
	v_cmp_lt_i64_e64 s24, s[22:23], s[34:35]
	v_add_co_ci_u32_e64 v3, null, s7, v3, vcc_lo
	v_add_co_u32 v4, vcc_lo, v4, s20
	v_add_co_ci_u32_e64 v5, null, s21, v5, vcc_lo
	s_and_b32 vcc_lo, exec_lo, s24
	s_waitcnt lgkmcnt(7)
	ds_read_u16_d16_hi v22, v9 offset:32
	ds_read_b128 v[14:17], v10
	ds_read_b128 v[18:21], v10 offset:256
	s_waitcnt lgkmcnt(9)
	ds_read_u16_d16_hi v23, v9 offset:96
	s_waitcnt lgkmcnt(9)
	ds_read_u16_d16_hi v24, v9 offset:160
	;; [unrolled: 2-line block ×7, first 2 shown]
	s_waitcnt lgkmcnt(0)
	s_barrier
	buffer_gl0_inv
	v_pk_fma_f16 v7, v22, v14, v7 op_sel_hi:[1,0,1]
	v_pk_fma_f16 v8, v22, v18, v8 op_sel_hi:[1,0,1]
	v_pk_fma_f16 v7, v23, v14, v7 op_sel:[0,1,0]
	v_pk_fma_f16 v8, v23, v18, v8 op_sel:[0,1,0]
	v_pk_fma_f16 v7, v24, v15, v7 op_sel_hi:[1,0,1]
	v_pk_fma_f16 v8, v24, v19, v8 op_sel_hi:[1,0,1]
	v_pk_fma_f16 v7, v25, v15, v7 op_sel:[0,1,0]
	v_pk_fma_f16 v8, v25, v19, v8 op_sel:[0,1,0]
	;; [unrolled: 4-line block ×4, first 2 shown]
	s_cbranch_vccz .LBB77_8
.LBB77_3:                               ; =>This Inner Loop Header: Depth=1
	v_add_co_u32 v14, s24, v11, s22
	v_add_co_ci_u32_e64 v15, null, 0, s23, s24
	v_cmp_gt_i64_e32 vcc_lo, s[34:35], v[14:15]
	v_mov_b32_e32 v14, 0
	v_mov_b32_e32 v15, 0
	s_and_b32 s25, s0, vcc_lo
	s_and_saveexec_b32 s24, s25
	s_cbranch_execz .LBB77_5
; %bb.4:                                ;   in Loop: Header=BB77_3 Depth=1
	flat_load_ushort v15, v[4:5]
.LBB77_5:                               ;   in Loop: Header=BB77_3 Depth=1
	s_or_b32 exec_lo, exec_lo, s24
	v_add_co_u32 v16, s24, v6, s22
	v_add_co_ci_u32_e64 v17, null, 0, s23, s24
	s_waitcnt vmcnt(0) lgkmcnt(0)
	ds_write_b16 v12, v15
	v_cmp_gt_i64_e32 vcc_lo, s[34:35], v[16:17]
	s_and_b32 s25, vcc_lo, s1
	s_and_saveexec_b32 s24, s25
	s_cbranch_execz .LBB77_2
; %bb.6:                                ;   in Loop: Header=BB77_3 Depth=1
	flat_load_ushort v14, v[2:3]
	s_branch .LBB77_2
.LBB77_7:
	v_mov_b32_e32 v8, 0
.LBB77_8:
	s_clause 0x1
	s_load_dword s6, s[4:5], 0x50
	s_load_dword s4, s[4:5], 0x18
	v_add_co_u32 v1, s5, s40, v1
	v_add_co_ci_u32_e64 v2, null, s41, 0, s5
	s_lshl_b64 s[0:1], s[10:11], 1
	s_waitcnt lgkmcnt(0)
	s_add_u32 s5, s2, s0
	v_cmp_gt_i64_e64 s0, s[30:31], v[1:2]
	s_addc_u32 s3, s3, s1
	v_cmp_neq_f16_e64 s7, s6, 0
	s_and_b32 vcc_lo, exec_lo, s7
	s_cbranch_vccnz .LBB77_21
; %bb.9:
	s_and_saveexec_b32 s7, s0
	s_cbranch_execz .LBB77_19
; %bb.10:
	v_mul_lo_u32 v5, v2, s8
	v_mul_lo_u32 v6, v1, s9
	v_mad_u64_u32 v[3:4], null, v1, s8, 0
	v_add3_u32 v4, v4, v6, v5
	v_add_co_u32 v5, s1, s18, v0
	v_add_co_ci_u32_e64 v6, null, s19, 0, s1
	v_lshlrev_b64 v[9:10], 1, v[3:4]
	v_cmp_gt_i64_e32 vcc_lo, s[28:29], v[5:6]
	v_lshlrev_b64 v[3:4], 1, v[5:6]
	v_add_co_u32 v9, s1, s5, v9
	v_add_co_ci_u32_e64 v10, null, s3, v10, s1
	s_and_saveexec_b32 s2, vcc_lo
	s_cbranch_execz .LBB77_12
; %bb.11:
	v_add_co_u32 v11, s1, v9, v3
	v_add_co_ci_u32_e64 v12, null, v10, v4, s1
	v_mul_f16_e32 v13, s4, v7
	flat_store_short v[11:12], v13
.LBB77_12:
	s_or_b32 exec_lo, exec_lo, s2
	v_add_co_u32 v5, s1, v5, 16
	v_add_co_ci_u32_e64 v6, null, 0, v6, s1
	v_cmp_gt_i64_e64 s1, s[28:29], v[5:6]
	s_and_saveexec_b32 s10, s1
	s_cbranch_execz .LBB77_14
; %bb.13:
	v_add_co_u32 v5, s2, v9, v3
	v_add_co_ci_u32_e64 v6, null, v10, v4, s2
	v_mul_f16_sdwa v11, s4, v7 dst_sel:DWORD dst_unused:UNUSED_PAD src0_sel:DWORD src1_sel:WORD_1
	flat_store_short v[5:6], v11 offset:32
.LBB77_14:
	s_or_b32 exec_lo, exec_lo, s10
	v_add_co_u32 v5, s2, v1, 16
	v_add_co_ci_u32_e64 v6, null, 0, v2, s2
	v_cmp_gt_i64_e64 s2, s[30:31], v[5:6]
	s_and_b32 exec_lo, exec_lo, s2
	s_cbranch_execz .LBB77_19
; %bb.15:
	s_lshl_b64 s[10:11], s[8:9], 5
	v_add_co_u32 v5, s2, v9, s10
	v_add_co_ci_u32_e64 v6, null, s11, v10, s2
	v_add_co_u32 v3, s2, v5, v3
	v_add_co_ci_u32_e64 v4, null, v6, v4, s2
	s_and_saveexec_b32 s2, vcc_lo
	s_cbranch_execz .LBB77_17
; %bb.16:
	v_mul_f16_e32 v5, s4, v8
	flat_store_short v[3:4], v5
.LBB77_17:
	s_or_b32 exec_lo, exec_lo, s2
	s_and_b32 exec_lo, exec_lo, s1
	s_cbranch_execz .LBB77_19
; %bb.18:
	v_mul_f16_sdwa v5, s4, v8 dst_sel:DWORD dst_unused:UNUSED_PAD src0_sel:DWORD src1_sel:WORD_1
	flat_store_short v[3:4], v5 offset:32
.LBB77_19:
	s_or_b32 exec_lo, exec_lo, s7
	s_cbranch_execz .LBB77_22
.LBB77_20:
	s_endpgm
.LBB77_21:
.LBB77_22:
	s_and_saveexec_b32 s1, s0
	s_cbranch_execz .LBB77_20
; %bb.23:
	v_mul_lo_u32 v5, v2, s14
	v_mul_lo_u32 v6, v1, s15
	v_mad_u64_u32 v[3:4], null, v1, s14, 0
	v_mul_lo_u32 v11, v2, s8
	v_mul_lo_u32 v12, v1, s9
	v_mad_u64_u32 v[9:10], null, v1, s8, 0
	s_lshl_b64 s[0:1], s[16:17], 1
	v_add3_u32 v4, v4, v6, v5
	v_add_co_u32 v5, s2, s18, v0
	v_add_co_ci_u32_e64 v6, null, s19, 0, s2
	v_add3_u32 v10, v10, v12, v11
	v_lshlrev_b64 v[3:4], 1, v[3:4]
	s_add_u32 s0, s12, s0
	s_addc_u32 s1, s13, s1
	v_cmp_gt_i64_e32 vcc_lo, s[28:29], v[5:6]
	v_lshlrev_b64 v[10:11], 1, v[9:10]
	v_add_co_u32 v0, s0, s0, v3
	v_add_co_ci_u32_e64 v9, null, s1, v4, s0
	v_add_co_u32 v10, s0, s5, v10
	v_lshlrev_b64 v[3:4], 1, v[5:6]
	v_add_co_ci_u32_e64 v11, null, s3, v11, s0
	s_and_saveexec_b32 s1, vcc_lo
	s_cbranch_execz .LBB77_25
; %bb.24:
	v_add_co_u32 v12, s0, v0, v3
	v_add_co_ci_u32_e64 v13, null, v9, v4, s0
	flat_load_ushort v12, v[12:13]
	s_waitcnt vmcnt(0) lgkmcnt(0)
	v_mul_f16_e32 v14, s6, v12
	v_add_co_u32 v12, s0, v10, v3
	v_add_co_ci_u32_e64 v13, null, v11, v4, s0
	v_fmac_f16_e32 v14, s4, v7
	flat_store_short v[12:13], v14
.LBB77_25:
	s_or_b32 exec_lo, exec_lo, s1
	v_add_co_u32 v5, s0, v5, 16
	v_add_co_ci_u32_e64 v6, null, 0, v6, s0
	v_cmp_gt_i64_e64 s0, s[28:29], v[5:6]
	s_and_saveexec_b32 s2, s0
	s_cbranch_execz .LBB77_27
; %bb.26:
	v_add_co_u32 v5, s1, v0, v3
	v_add_co_ci_u32_e64 v6, null, v9, v4, s1
	flat_load_ushort v5, v[5:6] offset:32
	v_lshrrev_b32_e32 v6, 16, v7
	s_waitcnt vmcnt(0) lgkmcnt(0)
	v_mul_f16_e32 v7, s6, v5
	v_add_co_u32 v5, s1, v10, v3
	v_fmac_f16_e32 v7, s4, v6
	v_add_co_ci_u32_e64 v6, null, v11, v4, s1
	flat_store_short v[5:6], v7 offset:32
.LBB77_27:
	s_or_b32 exec_lo, exec_lo, s2
	v_add_co_u32 v1, s1, v1, 16
	v_add_co_ci_u32_e64 v2, null, 0, v2, s1
	v_cmp_gt_i64_e64 s1, s[30:31], v[1:2]
	s_and_b32 exec_lo, exec_lo, s1
	s_cbranch_execz .LBB77_20
; %bb.28:
	s_lshl_b64 s[2:3], s[14:15], 5
	v_add_co_u32 v0, s1, v0, s2
	v_add_co_ci_u32_e64 v1, null, s3, v9, s1
	s_lshl_b64 s[2:3], s[8:9], 5
	v_add_co_u32 v2, s1, v10, s2
	v_add_co_ci_u32_e64 v7, null, s3, v11, s1
	v_add_co_u32 v5, s1, v0, v3
	v_add_co_ci_u32_e64 v6, null, v1, v4, s1
	;; [unrolled: 2-line block ×3, first 2 shown]
	s_and_saveexec_b32 s1, vcc_lo
	s_cbranch_execz .LBB77_30
; %bb.29:
	flat_load_ushort v2, v[5:6]
	s_waitcnt vmcnt(0) lgkmcnt(0)
	v_mul_f16_e32 v2, s6, v2
	v_fmac_f16_e32 v2, s4, v8
	flat_store_short v[0:1], v2
.LBB77_30:
	s_or_b32 exec_lo, exec_lo, s1
	s_and_b32 exec_lo, exec_lo, s0
	s_cbranch_execz .LBB77_20
; %bb.31:
	flat_load_ushort v2, v[5:6] offset:32
	v_lshrrev_b32_e32 v3, 16, v8
	s_waitcnt vmcnt(0) lgkmcnt(0)
	v_mul_f16_e32 v2, s6, v2
	v_fmac_f16_e32 v2, s4, v3
	flat_store_short v[0:1], v2 offset:32
	s_endpgm
	.section	.rodata,"a",@progbits
	.p2align	6, 0x0
	.amdhsa_kernel _ZN12_GLOBAL__N_135rocblas_gemm_batched_general_kernelIDF16_Li16ELi16ELi32ELi32ELi8ELi32ELi8ELi8ELi32ELc78ELc84EKPKDF16_S3_KPDF16_EEvlllT_PT11_llS8_llS6_PT12_llPT13_lli
		.amdhsa_group_segment_fixed_size 1024
		.amdhsa_private_segment_fixed_size 0
		.amdhsa_kernarg_size 140
		.amdhsa_user_sgpr_count 6
		.amdhsa_user_sgpr_private_segment_buffer 1
		.amdhsa_user_sgpr_dispatch_ptr 0
		.amdhsa_user_sgpr_queue_ptr 0
		.amdhsa_user_sgpr_kernarg_segment_ptr 1
		.amdhsa_user_sgpr_dispatch_id 0
		.amdhsa_user_sgpr_flat_scratch_init 0
		.amdhsa_user_sgpr_private_segment_size 0
		.amdhsa_wavefront_size32 1
		.amdhsa_uses_dynamic_stack 0
		.amdhsa_system_sgpr_private_segment_wavefront_offset 0
		.amdhsa_system_sgpr_workgroup_id_x 1
		.amdhsa_system_sgpr_workgroup_id_y 1
		.amdhsa_system_sgpr_workgroup_id_z 1
		.amdhsa_system_sgpr_workgroup_info 0
		.amdhsa_system_vgpr_workitem_id 1
		.amdhsa_next_free_vgpr 30
		.amdhsa_next_free_sgpr 46
		.amdhsa_reserve_vcc 1
		.amdhsa_reserve_flat_scratch 0
		.amdhsa_float_round_mode_32 0
		.amdhsa_float_round_mode_16_64 0
		.amdhsa_float_denorm_mode_32 3
		.amdhsa_float_denorm_mode_16_64 3
		.amdhsa_dx10_clamp 1
		.amdhsa_ieee_mode 1
		.amdhsa_fp16_overflow 0
		.amdhsa_workgroup_processor_mode 1
		.amdhsa_memory_ordered 1
		.amdhsa_forward_progress 1
		.amdhsa_shared_vgpr_count 0
		.amdhsa_exception_fp_ieee_invalid_op 0
		.amdhsa_exception_fp_denorm_src 0
		.amdhsa_exception_fp_ieee_div_zero 0
		.amdhsa_exception_fp_ieee_overflow 0
		.amdhsa_exception_fp_ieee_underflow 0
		.amdhsa_exception_fp_ieee_inexact 0
		.amdhsa_exception_int_div_zero 0
	.end_amdhsa_kernel
	.section	.text._ZN12_GLOBAL__N_135rocblas_gemm_batched_general_kernelIDF16_Li16ELi16ELi32ELi32ELi8ELi32ELi8ELi8ELi32ELc78ELc84EKPKDF16_S3_KPDF16_EEvlllT_PT11_llS8_llS6_PT12_llPT13_lli,"axG",@progbits,_ZN12_GLOBAL__N_135rocblas_gemm_batched_general_kernelIDF16_Li16ELi16ELi32ELi32ELi8ELi32ELi8ELi8ELi32ELc78ELc84EKPKDF16_S3_KPDF16_EEvlllT_PT11_llS8_llS6_PT12_llPT13_lli,comdat
.Lfunc_end77:
	.size	_ZN12_GLOBAL__N_135rocblas_gemm_batched_general_kernelIDF16_Li16ELi16ELi32ELi32ELi8ELi32ELi8ELi8ELi32ELc78ELc84EKPKDF16_S3_KPDF16_EEvlllT_PT11_llS8_llS6_PT12_llPT13_lli, .Lfunc_end77-_ZN12_GLOBAL__N_135rocblas_gemm_batched_general_kernelIDF16_Li16ELi16ELi32ELi32ELi8ELi32ELi8ELi8ELi32ELc78ELc84EKPKDF16_S3_KPDF16_EEvlllT_PT11_llS8_llS6_PT12_llPT13_lli
                                        ; -- End function
	.set _ZN12_GLOBAL__N_135rocblas_gemm_batched_general_kernelIDF16_Li16ELi16ELi32ELi32ELi8ELi32ELi8ELi8ELi32ELc78ELc84EKPKDF16_S3_KPDF16_EEvlllT_PT11_llS8_llS6_PT12_llPT13_lli.num_vgpr, 30
	.set _ZN12_GLOBAL__N_135rocblas_gemm_batched_general_kernelIDF16_Li16ELi16ELi32ELi32ELi8ELi32ELi8ELi8ELi32ELc78ELc84EKPKDF16_S3_KPDF16_EEvlllT_PT11_llS8_llS6_PT12_llPT13_lli.num_agpr, 0
	.set _ZN12_GLOBAL__N_135rocblas_gemm_batched_general_kernelIDF16_Li16ELi16ELi32ELi32ELi8ELi32ELi8ELi8ELi32ELc78ELc84EKPKDF16_S3_KPDF16_EEvlllT_PT11_llS8_llS6_PT12_llPT13_lli.numbered_sgpr, 46
	.set _ZN12_GLOBAL__N_135rocblas_gemm_batched_general_kernelIDF16_Li16ELi16ELi32ELi32ELi8ELi32ELi8ELi8ELi32ELc78ELc84EKPKDF16_S3_KPDF16_EEvlllT_PT11_llS8_llS6_PT12_llPT13_lli.num_named_barrier, 0
	.set _ZN12_GLOBAL__N_135rocblas_gemm_batched_general_kernelIDF16_Li16ELi16ELi32ELi32ELi8ELi32ELi8ELi8ELi32ELc78ELc84EKPKDF16_S3_KPDF16_EEvlllT_PT11_llS8_llS6_PT12_llPT13_lli.private_seg_size, 0
	.set _ZN12_GLOBAL__N_135rocblas_gemm_batched_general_kernelIDF16_Li16ELi16ELi32ELi32ELi8ELi32ELi8ELi8ELi32ELc78ELc84EKPKDF16_S3_KPDF16_EEvlllT_PT11_llS8_llS6_PT12_llPT13_lli.uses_vcc, 1
	.set _ZN12_GLOBAL__N_135rocblas_gemm_batched_general_kernelIDF16_Li16ELi16ELi32ELi32ELi8ELi32ELi8ELi8ELi32ELc78ELc84EKPKDF16_S3_KPDF16_EEvlllT_PT11_llS8_llS6_PT12_llPT13_lli.uses_flat_scratch, 0
	.set _ZN12_GLOBAL__N_135rocblas_gemm_batched_general_kernelIDF16_Li16ELi16ELi32ELi32ELi8ELi32ELi8ELi8ELi32ELc78ELc84EKPKDF16_S3_KPDF16_EEvlllT_PT11_llS8_llS6_PT12_llPT13_lli.has_dyn_sized_stack, 0
	.set _ZN12_GLOBAL__N_135rocblas_gemm_batched_general_kernelIDF16_Li16ELi16ELi32ELi32ELi8ELi32ELi8ELi8ELi32ELc78ELc84EKPKDF16_S3_KPDF16_EEvlllT_PT11_llS8_llS6_PT12_llPT13_lli.has_recursion, 0
	.set _ZN12_GLOBAL__N_135rocblas_gemm_batched_general_kernelIDF16_Li16ELi16ELi32ELi32ELi8ELi32ELi8ELi8ELi32ELc78ELc84EKPKDF16_S3_KPDF16_EEvlllT_PT11_llS8_llS6_PT12_llPT13_lli.has_indirect_call, 0
	.section	.AMDGPU.csdata,"",@progbits
; Kernel info:
; codeLenInByte = 1948
; TotalNumSgprs: 48
; NumVgprs: 30
; ScratchSize: 0
; MemoryBound: 0
; FloatMode: 240
; IeeeMode: 1
; LDSByteSize: 1024 bytes/workgroup (compile time only)
; SGPRBlocks: 0
; VGPRBlocks: 3
; NumSGPRsForWavesPerEU: 48
; NumVGPRsForWavesPerEU: 30
; Occupancy: 16
; WaveLimiterHint : 1
; COMPUTE_PGM_RSRC2:SCRATCH_EN: 0
; COMPUTE_PGM_RSRC2:USER_SGPR: 6
; COMPUTE_PGM_RSRC2:TRAP_HANDLER: 0
; COMPUTE_PGM_RSRC2:TGID_X_EN: 1
; COMPUTE_PGM_RSRC2:TGID_Y_EN: 1
; COMPUTE_PGM_RSRC2:TGID_Z_EN: 1
; COMPUTE_PGM_RSRC2:TIDIG_COMP_CNT: 1
	.section	.text._ZN12_GLOBAL__N_135rocblas_gemm_batched_general_kernelIDF16_Li16ELi16ELi32ELi32ELi8ELi32ELi8ELi8ELi32ELc84ELc84EKPKDF16_S3_KPDF16_EEvlllT_PT11_llS8_llS6_PT12_llPT13_lli,"axG",@progbits,_ZN12_GLOBAL__N_135rocblas_gemm_batched_general_kernelIDF16_Li16ELi16ELi32ELi32ELi8ELi32ELi8ELi8ELi32ELc84ELc84EKPKDF16_S3_KPDF16_EEvlllT_PT11_llS8_llS6_PT12_llPT13_lli,comdat
	.globl	_ZN12_GLOBAL__N_135rocblas_gemm_batched_general_kernelIDF16_Li16ELi16ELi32ELi32ELi8ELi32ELi8ELi8ELi32ELc84ELc84EKPKDF16_S3_KPDF16_EEvlllT_PT11_llS8_llS6_PT12_llPT13_lli ; -- Begin function _ZN12_GLOBAL__N_135rocblas_gemm_batched_general_kernelIDF16_Li16ELi16ELi32ELi32ELi8ELi32ELi8ELi8ELi32ELc84ELc84EKPKDF16_S3_KPDF16_EEvlllT_PT11_llS8_llS6_PT12_llPT13_lli
	.p2align	8
	.type	_ZN12_GLOBAL__N_135rocblas_gemm_batched_general_kernelIDF16_Li16ELi16ELi32ELi32ELi8ELi32ELi8ELi8ELi32ELc84ELc84EKPKDF16_S3_KPDF16_EEvlllT_PT11_llS8_llS6_PT12_llPT13_lli,@function
_ZN12_GLOBAL__N_135rocblas_gemm_batched_general_kernelIDF16_Li16ELi16ELi32ELi32ELi8ELi32ELi8ELi8ELi32ELc84ELc84EKPKDF16_S3_KPDF16_EEvlllT_PT11_llS8_llS6_PT12_llPT13_lli: ; @_ZN12_GLOBAL__N_135rocblas_gemm_batched_general_kernelIDF16_Li16ELi16ELi32ELi32ELi8ELi32ELi8ELi8ELi32ELc84ELc84EKPKDF16_S3_KPDF16_EEvlllT_PT11_llS8_llS6_PT12_llPT13_lli
; %bb.0:
	s_clause 0x1
	s_load_dwordx8 s[12:19], s[4:5], 0x58
	s_load_dwordx2 s[34:35], s[4:5], 0x10
	s_mov_b32 s9, 0
	s_load_dwordx4 s[28:31], s[4:5], 0x0
	s_lshl_b64 s[42:43], s[8:9], 3
	s_load_dwordx4 s[8:11], s[4:5], 0x78
	s_mov_b32 s40, s7
	v_mov_b32_e32 v7, 0
	s_waitcnt lgkmcnt(0)
	s_add_u32 s0, s12, s42
	s_addc_u32 s1, s13, s43
	s_add_u32 s2, s18, s42
	s_addc_u32 s3, s19, s43
	s_load_dwordx2 s[12:13], s[0:1], 0x0
	s_load_dwordx2 s[2:3], s[2:3], 0x0
	v_cmp_lt_i64_e64 s0, s[34:35], 1
	s_ashr_i32 s7, s6, 31
	s_ashr_i32 s41, s40, 31
	s_lshl_b64 s[6:7], s[6:7], 5
	s_lshl_b64 s[18:19], s[40:41], 5
	s_and_b32 vcc_lo, exec_lo, s0
	s_cbranch_vccnz .LBB78_7
; %bb.1:
	s_load_dwordx4 s[36:39], s[4:5], 0x40
	v_lshlrev_b32_e32 v2, 4, v1
	v_and_b32_e32 v6, 7, v0
	s_load_dwordx8 s[20:27], s[4:5], 0x20
	v_mov_b32_e32 v3, s7
	v_lshlrev_b32_e32 v9, 1, v0
	v_add_nc_u32_e32 v4, v2, v0
	v_add_nc_u32_e32 v10, 0x200, v2
	v_lshlrev_b32_e32 v8, 1, v6
	v_and_b32_e32 v12, 31, v4
	v_lshrrev_b32_e32 v16, 3, v4
	v_lshrrev_b32_e32 v11, 5, v4
	v_or_b32_e32 v2, s6, v12
	v_add_co_u32 v4, s0, v16, s18
	v_add_co_ci_u32_e64 v5, null, 0, s19, s0
	s_waitcnt lgkmcnt(0)
	v_mad_u64_u32 v[14:15], null, s36, v6, 0
	v_add_co_u32 v17, s0, s6, v12
	v_add_co_ci_u32_e64 v18, null, s7, 0, s0
	v_cmp_gt_i64_e64 s0, s[28:29], v[2:3]
	v_lshlrev_b32_e32 v13, 1, v12
	v_mov_b32_e32 v2, v15
	v_lshl_or_b32 v8, v16, 4, v8
	v_cmp_gt_i64_e64 s1, s[30:31], v[4:5]
	v_mul_lo_u32 v5, s23, v17
	v_lshl_or_b32 v12, v11, 6, v13
	v_mad_u64_u32 v[2:3], null, s37, v6, v[2:3]
	v_add_nc_u32_e32 v13, 0x200, v8
	v_mul_lo_u32 v8, s22, v18
	v_mad_u64_u32 v[3:4], null, s22, v17, 0
	s_add_u32 s26, s26, s42
	s_addc_u32 s27, s27, s43
	s_add_u32 s20, s20, s42
	v_mov_b32_e32 v15, v2
	s_load_dwordx2 s[22:23], s[26:27], 0x0
	s_addc_u32 s21, s21, s43
	v_add3_u32 v4, v4, v8, v5
	s_load_dwordx2 s[20:21], s[20:21], 0x0
	v_lshlrev_b64 v[14:15], 1, v[14:15]
	s_lshl_b64 s[26:27], s[40:41], 6
	s_lshl_b64 s[38:39], s[38:39], 1
	v_lshlrev_b64 v[2:3], 1, v[3:4]
	s_add_u32 s26, s38, s26
	s_addc_u32 s27, s39, s27
	v_add_co_u32 v4, vcc_lo, s26, v14
	v_lshlrev_b32_e32 v8, 1, v16
	s_lshl_b64 s[24:25], s[24:25], 1
	v_add_co_ci_u32_e64 v5, null, s27, v15, vcc_lo
	v_add_co_u32 v2, vcc_lo, v2, s24
	v_lshlrev_b32_e32 v14, 1, v11
	v_add_co_ci_u32_e64 v3, null, s25, v3, vcc_lo
	v_add_co_u32 v4, vcc_lo, v4, v8
	v_add_co_ci_u32_e64 v5, null, 0, v5, vcc_lo
	v_add_co_u32 v8, vcc_lo, v2, v14
	v_add_co_ci_u32_e64 v14, null, 0, v3, vcc_lo
	s_waitcnt lgkmcnt(0)
	v_add_co_u32 v2, vcc_lo, s22, v4
	v_add_co_ci_u32_e64 v3, null, s23, v5, vcc_lo
	v_add_co_u32 v4, vcc_lo, s20, v8
	v_add_co_ci_u32_e64 v5, null, s21, v14, vcc_lo
	v_mov_b32_e32 v8, 0
	s_lshl_b64 s[20:21], s[36:37], 4
	s_mov_b64 s[22:23], 0
	s_branch .LBB78_3
.LBB78_2:                               ;   in Loop: Header=BB78_3 Depth=1
	s_or_b32 exec_lo, exec_lo, s24
	s_waitcnt vmcnt(0) lgkmcnt(0)
	ds_write_b16 v13, v14
	s_waitcnt lgkmcnt(0)
	s_barrier
	buffer_gl0_inv
	ds_read_u16 v22, v9
	ds_read_u16 v23, v9 offset:64
	ds_read_u16 v24, v9 offset:128
	;; [unrolled: 1-line block ×7, first 2 shown]
	s_add_u32 s22, s22, 8
	s_addc_u32 s23, s23, 0
	v_add_co_u32 v2, vcc_lo, v2, s20
	v_cmp_lt_i64_e64 s24, s[22:23], s[34:35]
	v_add_co_ci_u32_e64 v3, null, s21, v3, vcc_lo
	v_add_co_u32 v4, vcc_lo, v4, 16
	v_add_co_ci_u32_e64 v5, null, 0, v5, vcc_lo
	s_and_b32 vcc_lo, exec_lo, s24
	s_waitcnt lgkmcnt(7)
	ds_read_u16_d16_hi v22, v9 offset:32
	ds_read_b128 v[14:17], v10
	ds_read_b128 v[18:21], v10 offset:256
	s_waitcnt lgkmcnt(9)
	ds_read_u16_d16_hi v23, v9 offset:96
	s_waitcnt lgkmcnt(9)
	ds_read_u16_d16_hi v24, v9 offset:160
	;; [unrolled: 2-line block ×7, first 2 shown]
	s_waitcnt lgkmcnt(0)
	s_barrier
	buffer_gl0_inv
	v_pk_fma_f16 v7, v22, v14, v7 op_sel_hi:[1,0,1]
	v_pk_fma_f16 v8, v22, v18, v8 op_sel_hi:[1,0,1]
	v_pk_fma_f16 v7, v23, v14, v7 op_sel:[0,1,0]
	v_pk_fma_f16 v8, v23, v18, v8 op_sel:[0,1,0]
	v_pk_fma_f16 v7, v24, v15, v7 op_sel_hi:[1,0,1]
	v_pk_fma_f16 v8, v24, v19, v8 op_sel_hi:[1,0,1]
	v_pk_fma_f16 v7, v25, v15, v7 op_sel:[0,1,0]
	v_pk_fma_f16 v8, v25, v19, v8 op_sel:[0,1,0]
	;; [unrolled: 4-line block ×4, first 2 shown]
	s_cbranch_vccz .LBB78_8
.LBB78_3:                               ; =>This Inner Loop Header: Depth=1
	v_add_co_u32 v14, s24, v11, s22
	v_add_co_ci_u32_e64 v15, null, 0, s23, s24
	v_cmp_gt_i64_e32 vcc_lo, s[34:35], v[14:15]
	v_mov_b32_e32 v14, 0
	v_mov_b32_e32 v15, 0
	s_and_b32 s25, s0, vcc_lo
	s_and_saveexec_b32 s24, s25
	s_cbranch_execz .LBB78_5
; %bb.4:                                ;   in Loop: Header=BB78_3 Depth=1
	flat_load_ushort v15, v[4:5]
.LBB78_5:                               ;   in Loop: Header=BB78_3 Depth=1
	s_or_b32 exec_lo, exec_lo, s24
	v_add_co_u32 v16, s24, v6, s22
	v_add_co_ci_u32_e64 v17, null, 0, s23, s24
	s_waitcnt vmcnt(0) lgkmcnt(0)
	ds_write_b16 v12, v15
	v_cmp_gt_i64_e32 vcc_lo, s[34:35], v[16:17]
	s_and_b32 s25, vcc_lo, s1
	s_and_saveexec_b32 s24, s25
	s_cbranch_execz .LBB78_2
; %bb.6:                                ;   in Loop: Header=BB78_3 Depth=1
	flat_load_ushort v14, v[2:3]
	s_branch .LBB78_2
.LBB78_7:
	v_mov_b32_e32 v8, 0
.LBB78_8:
	s_clause 0x1
	s_load_dword s20, s[4:5], 0x50
	s_load_dword s4, s[4:5], 0x18
	v_add_co_u32 v1, s5, s18, v1
	v_add_co_ci_u32_e64 v2, null, s19, 0, s5
	s_lshl_b64 s[0:1], s[10:11], 1
	s_waitcnt lgkmcnt(0)
	s_add_u32 s5, s2, s0
	v_cmp_gt_i64_e64 s0, s[30:31], v[1:2]
	s_addc_u32 s3, s3, s1
	v_cmp_neq_f16_e64 s10, s20, 0
	s_and_b32 vcc_lo, exec_lo, s10
	s_cbranch_vccnz .LBB78_21
; %bb.9:
	s_and_saveexec_b32 s10, s0
	s_cbranch_execz .LBB78_19
; %bb.10:
	v_mul_lo_u32 v5, v2, s8
	v_mul_lo_u32 v6, v1, s9
	v_mad_u64_u32 v[3:4], null, v1, s8, 0
	v_add3_u32 v4, v4, v6, v5
	v_add_co_u32 v5, s1, s6, v0
	v_add_co_ci_u32_e64 v6, null, s7, 0, s1
	v_lshlrev_b64 v[9:10], 1, v[3:4]
	v_cmp_gt_i64_e32 vcc_lo, s[28:29], v[5:6]
	v_lshlrev_b64 v[3:4], 1, v[5:6]
	v_add_co_u32 v9, s1, s5, v9
	v_add_co_ci_u32_e64 v10, null, s3, v10, s1
	s_and_saveexec_b32 s2, vcc_lo
	s_cbranch_execz .LBB78_12
; %bb.11:
	v_add_co_u32 v11, s1, v9, v3
	v_add_co_ci_u32_e64 v12, null, v10, v4, s1
	v_mul_f16_e32 v13, s4, v7
	flat_store_short v[11:12], v13
.LBB78_12:
	s_or_b32 exec_lo, exec_lo, s2
	v_add_co_u32 v5, s1, v5, 16
	v_add_co_ci_u32_e64 v6, null, 0, v6, s1
	v_cmp_gt_i64_e64 s1, s[28:29], v[5:6]
	s_and_saveexec_b32 s11, s1
	s_cbranch_execz .LBB78_14
; %bb.13:
	v_add_co_u32 v5, s2, v9, v3
	v_add_co_ci_u32_e64 v6, null, v10, v4, s2
	v_mul_f16_sdwa v11, s4, v7 dst_sel:DWORD dst_unused:UNUSED_PAD src0_sel:DWORD src1_sel:WORD_1
	flat_store_short v[5:6], v11 offset:32
.LBB78_14:
	s_or_b32 exec_lo, exec_lo, s11
	v_add_co_u32 v5, s2, v1, 16
	v_add_co_ci_u32_e64 v6, null, 0, v2, s2
	v_cmp_gt_i64_e64 s2, s[30:31], v[5:6]
	s_and_b32 exec_lo, exec_lo, s2
	s_cbranch_execz .LBB78_19
; %bb.15:
	s_lshl_b64 s[18:19], s[8:9], 5
	v_add_co_u32 v5, s2, v9, s18
	v_add_co_ci_u32_e64 v6, null, s19, v10, s2
	v_add_co_u32 v3, s2, v5, v3
	v_add_co_ci_u32_e64 v4, null, v6, v4, s2
	s_and_saveexec_b32 s2, vcc_lo
	s_cbranch_execz .LBB78_17
; %bb.16:
	v_mul_f16_e32 v5, s4, v8
	flat_store_short v[3:4], v5
.LBB78_17:
	s_or_b32 exec_lo, exec_lo, s2
	s_and_b32 exec_lo, exec_lo, s1
	s_cbranch_execz .LBB78_19
; %bb.18:
	v_mul_f16_sdwa v5, s4, v8 dst_sel:DWORD dst_unused:UNUSED_PAD src0_sel:DWORD src1_sel:WORD_1
	flat_store_short v[3:4], v5 offset:32
.LBB78_19:
	s_or_b32 exec_lo, exec_lo, s10
	s_cbranch_execz .LBB78_22
.LBB78_20:
	s_endpgm
.LBB78_21:
.LBB78_22:
	s_and_saveexec_b32 s1, s0
	s_cbranch_execz .LBB78_20
; %bb.23:
	v_mul_lo_u32 v5, v2, s14
	v_mul_lo_u32 v6, v1, s15
	v_mad_u64_u32 v[3:4], null, v1, s14, 0
	v_mul_lo_u32 v11, v2, s8
	v_mul_lo_u32 v12, v1, s9
	v_mad_u64_u32 v[9:10], null, v1, s8, 0
	s_lshl_b64 s[0:1], s[16:17], 1
	v_add3_u32 v4, v4, v6, v5
	v_add_co_u32 v5, s2, s6, v0
	v_add_co_ci_u32_e64 v6, null, s7, 0, s2
	v_add3_u32 v10, v10, v12, v11
	v_lshlrev_b64 v[3:4], 1, v[3:4]
	s_add_u32 s0, s12, s0
	s_addc_u32 s1, s13, s1
	v_cmp_gt_i64_e32 vcc_lo, s[28:29], v[5:6]
	v_lshlrev_b64 v[10:11], 1, v[9:10]
	v_add_co_u32 v0, s0, s0, v3
	v_add_co_ci_u32_e64 v9, null, s1, v4, s0
	v_add_co_u32 v10, s0, s5, v10
	v_lshlrev_b64 v[3:4], 1, v[5:6]
	v_add_co_ci_u32_e64 v11, null, s3, v11, s0
	s_and_saveexec_b32 s1, vcc_lo
	s_cbranch_execz .LBB78_25
; %bb.24:
	v_add_co_u32 v12, s0, v0, v3
	v_add_co_ci_u32_e64 v13, null, v9, v4, s0
	flat_load_ushort v12, v[12:13]
	s_waitcnt vmcnt(0) lgkmcnt(0)
	v_mul_f16_e32 v14, s20, v12
	v_add_co_u32 v12, s0, v10, v3
	v_add_co_ci_u32_e64 v13, null, v11, v4, s0
	v_fmac_f16_e32 v14, s4, v7
	flat_store_short v[12:13], v14
.LBB78_25:
	s_or_b32 exec_lo, exec_lo, s1
	v_add_co_u32 v5, s0, v5, 16
	v_add_co_ci_u32_e64 v6, null, 0, v6, s0
	v_cmp_gt_i64_e64 s0, s[28:29], v[5:6]
	s_and_saveexec_b32 s2, s0
	s_cbranch_execz .LBB78_27
; %bb.26:
	v_add_co_u32 v5, s1, v0, v3
	v_add_co_ci_u32_e64 v6, null, v9, v4, s1
	flat_load_ushort v5, v[5:6] offset:32
	v_lshrrev_b32_e32 v6, 16, v7
	s_waitcnt vmcnt(0) lgkmcnt(0)
	v_mul_f16_e32 v7, s20, v5
	v_add_co_u32 v5, s1, v10, v3
	v_fmac_f16_e32 v7, s4, v6
	v_add_co_ci_u32_e64 v6, null, v11, v4, s1
	flat_store_short v[5:6], v7 offset:32
.LBB78_27:
	s_or_b32 exec_lo, exec_lo, s2
	v_add_co_u32 v1, s1, v1, 16
	v_add_co_ci_u32_e64 v2, null, 0, v2, s1
	v_cmp_gt_i64_e64 s1, s[30:31], v[1:2]
	s_and_b32 exec_lo, exec_lo, s1
	s_cbranch_execz .LBB78_20
; %bb.28:
	s_lshl_b64 s[2:3], s[14:15], 5
	v_add_co_u32 v0, s1, v0, s2
	v_add_co_ci_u32_e64 v1, null, s3, v9, s1
	s_lshl_b64 s[2:3], s[8:9], 5
	v_add_co_u32 v2, s1, v10, s2
	v_add_co_ci_u32_e64 v7, null, s3, v11, s1
	v_add_co_u32 v5, s1, v0, v3
	v_add_co_ci_u32_e64 v6, null, v1, v4, s1
	;; [unrolled: 2-line block ×3, first 2 shown]
	s_and_saveexec_b32 s1, vcc_lo
	s_cbranch_execz .LBB78_30
; %bb.29:
	flat_load_ushort v2, v[5:6]
	s_waitcnt vmcnt(0) lgkmcnt(0)
	v_mul_f16_e32 v2, s20, v2
	v_fmac_f16_e32 v2, s4, v8
	flat_store_short v[0:1], v2
.LBB78_30:
	s_or_b32 exec_lo, exec_lo, s1
	s_and_b32 exec_lo, exec_lo, s0
	s_cbranch_execz .LBB78_20
; %bb.31:
	flat_load_ushort v2, v[5:6] offset:32
	v_lshrrev_b32_e32 v3, 16, v8
	s_waitcnt vmcnt(0) lgkmcnt(0)
	v_mul_f16_e32 v2, s20, v2
	v_fmac_f16_e32 v2, s4, v3
	flat_store_short v[0:1], v2 offset:32
	s_endpgm
	.section	.rodata,"a",@progbits
	.p2align	6, 0x0
	.amdhsa_kernel _ZN12_GLOBAL__N_135rocblas_gemm_batched_general_kernelIDF16_Li16ELi16ELi32ELi32ELi8ELi32ELi8ELi8ELi32ELc84ELc84EKPKDF16_S3_KPDF16_EEvlllT_PT11_llS8_llS6_PT12_llPT13_lli
		.amdhsa_group_segment_fixed_size 1024
		.amdhsa_private_segment_fixed_size 0
		.amdhsa_kernarg_size 140
		.amdhsa_user_sgpr_count 6
		.amdhsa_user_sgpr_private_segment_buffer 1
		.amdhsa_user_sgpr_dispatch_ptr 0
		.amdhsa_user_sgpr_queue_ptr 0
		.amdhsa_user_sgpr_kernarg_segment_ptr 1
		.amdhsa_user_sgpr_dispatch_id 0
		.amdhsa_user_sgpr_flat_scratch_init 0
		.amdhsa_user_sgpr_private_segment_size 0
		.amdhsa_wavefront_size32 1
		.amdhsa_uses_dynamic_stack 0
		.amdhsa_system_sgpr_private_segment_wavefront_offset 0
		.amdhsa_system_sgpr_workgroup_id_x 1
		.amdhsa_system_sgpr_workgroup_id_y 1
		.amdhsa_system_sgpr_workgroup_id_z 1
		.amdhsa_system_sgpr_workgroup_info 0
		.amdhsa_system_vgpr_workitem_id 1
		.amdhsa_next_free_vgpr 30
		.amdhsa_next_free_sgpr 44
		.amdhsa_reserve_vcc 1
		.amdhsa_reserve_flat_scratch 0
		.amdhsa_float_round_mode_32 0
		.amdhsa_float_round_mode_16_64 0
		.amdhsa_float_denorm_mode_32 3
		.amdhsa_float_denorm_mode_16_64 3
		.amdhsa_dx10_clamp 1
		.amdhsa_ieee_mode 1
		.amdhsa_fp16_overflow 0
		.amdhsa_workgroup_processor_mode 1
		.amdhsa_memory_ordered 1
		.amdhsa_forward_progress 1
		.amdhsa_shared_vgpr_count 0
		.amdhsa_exception_fp_ieee_invalid_op 0
		.amdhsa_exception_fp_denorm_src 0
		.amdhsa_exception_fp_ieee_div_zero 0
		.amdhsa_exception_fp_ieee_overflow 0
		.amdhsa_exception_fp_ieee_underflow 0
		.amdhsa_exception_fp_ieee_inexact 0
		.amdhsa_exception_int_div_zero 0
	.end_amdhsa_kernel
	.section	.text._ZN12_GLOBAL__N_135rocblas_gemm_batched_general_kernelIDF16_Li16ELi16ELi32ELi32ELi8ELi32ELi8ELi8ELi32ELc84ELc84EKPKDF16_S3_KPDF16_EEvlllT_PT11_llS8_llS6_PT12_llPT13_lli,"axG",@progbits,_ZN12_GLOBAL__N_135rocblas_gemm_batched_general_kernelIDF16_Li16ELi16ELi32ELi32ELi8ELi32ELi8ELi8ELi32ELc84ELc84EKPKDF16_S3_KPDF16_EEvlllT_PT11_llS8_llS6_PT12_llPT13_lli,comdat
.Lfunc_end78:
	.size	_ZN12_GLOBAL__N_135rocblas_gemm_batched_general_kernelIDF16_Li16ELi16ELi32ELi32ELi8ELi32ELi8ELi8ELi32ELc84ELc84EKPKDF16_S3_KPDF16_EEvlllT_PT11_llS8_llS6_PT12_llPT13_lli, .Lfunc_end78-_ZN12_GLOBAL__N_135rocblas_gemm_batched_general_kernelIDF16_Li16ELi16ELi32ELi32ELi8ELi32ELi8ELi8ELi32ELc84ELc84EKPKDF16_S3_KPDF16_EEvlllT_PT11_llS8_llS6_PT12_llPT13_lli
                                        ; -- End function
	.set _ZN12_GLOBAL__N_135rocblas_gemm_batched_general_kernelIDF16_Li16ELi16ELi32ELi32ELi8ELi32ELi8ELi8ELi32ELc84ELc84EKPKDF16_S3_KPDF16_EEvlllT_PT11_llS8_llS6_PT12_llPT13_lli.num_vgpr, 30
	.set _ZN12_GLOBAL__N_135rocblas_gemm_batched_general_kernelIDF16_Li16ELi16ELi32ELi32ELi8ELi32ELi8ELi8ELi32ELc84ELc84EKPKDF16_S3_KPDF16_EEvlllT_PT11_llS8_llS6_PT12_llPT13_lli.num_agpr, 0
	.set _ZN12_GLOBAL__N_135rocblas_gemm_batched_general_kernelIDF16_Li16ELi16ELi32ELi32ELi8ELi32ELi8ELi8ELi32ELc84ELc84EKPKDF16_S3_KPDF16_EEvlllT_PT11_llS8_llS6_PT12_llPT13_lli.numbered_sgpr, 44
	.set _ZN12_GLOBAL__N_135rocblas_gemm_batched_general_kernelIDF16_Li16ELi16ELi32ELi32ELi8ELi32ELi8ELi8ELi32ELc84ELc84EKPKDF16_S3_KPDF16_EEvlllT_PT11_llS8_llS6_PT12_llPT13_lli.num_named_barrier, 0
	.set _ZN12_GLOBAL__N_135rocblas_gemm_batched_general_kernelIDF16_Li16ELi16ELi32ELi32ELi8ELi32ELi8ELi8ELi32ELc84ELc84EKPKDF16_S3_KPDF16_EEvlllT_PT11_llS8_llS6_PT12_llPT13_lli.private_seg_size, 0
	.set _ZN12_GLOBAL__N_135rocblas_gemm_batched_general_kernelIDF16_Li16ELi16ELi32ELi32ELi8ELi32ELi8ELi8ELi32ELc84ELc84EKPKDF16_S3_KPDF16_EEvlllT_PT11_llS8_llS6_PT12_llPT13_lli.uses_vcc, 1
	.set _ZN12_GLOBAL__N_135rocblas_gemm_batched_general_kernelIDF16_Li16ELi16ELi32ELi32ELi8ELi32ELi8ELi8ELi32ELc84ELc84EKPKDF16_S3_KPDF16_EEvlllT_PT11_llS8_llS6_PT12_llPT13_lli.uses_flat_scratch, 0
	.set _ZN12_GLOBAL__N_135rocblas_gemm_batched_general_kernelIDF16_Li16ELi16ELi32ELi32ELi8ELi32ELi8ELi8ELi32ELc84ELc84EKPKDF16_S3_KPDF16_EEvlllT_PT11_llS8_llS6_PT12_llPT13_lli.has_dyn_sized_stack, 0
	.set _ZN12_GLOBAL__N_135rocblas_gemm_batched_general_kernelIDF16_Li16ELi16ELi32ELi32ELi8ELi32ELi8ELi8ELi32ELc84ELc84EKPKDF16_S3_KPDF16_EEvlllT_PT11_llS8_llS6_PT12_llPT13_lli.has_recursion, 0
	.set _ZN12_GLOBAL__N_135rocblas_gemm_batched_general_kernelIDF16_Li16ELi16ELi32ELi32ELi8ELi32ELi8ELi8ELi32ELc84ELc84EKPKDF16_S3_KPDF16_EEvlllT_PT11_llS8_llS6_PT12_llPT13_lli.has_indirect_call, 0
	.section	.AMDGPU.csdata,"",@progbits
; Kernel info:
; codeLenInByte = 1956
; TotalNumSgprs: 46
; NumVgprs: 30
; ScratchSize: 0
; MemoryBound: 0
; FloatMode: 240
; IeeeMode: 1
; LDSByteSize: 1024 bytes/workgroup (compile time only)
; SGPRBlocks: 0
; VGPRBlocks: 3
; NumSGPRsForWavesPerEU: 46
; NumVGPRsForWavesPerEU: 30
; Occupancy: 16
; WaveLimiterHint : 1
; COMPUTE_PGM_RSRC2:SCRATCH_EN: 0
; COMPUTE_PGM_RSRC2:USER_SGPR: 6
; COMPUTE_PGM_RSRC2:TRAP_HANDLER: 0
; COMPUTE_PGM_RSRC2:TGID_X_EN: 1
; COMPUTE_PGM_RSRC2:TGID_Y_EN: 1
; COMPUTE_PGM_RSRC2:TGID_Z_EN: 1
; COMPUTE_PGM_RSRC2:TIDIG_COMP_CNT: 1
	.section	.text._ZN12_GLOBAL__N_135rocblas_gemm_batched_general_kernelIDF16_Li16ELi16ELi32ELi32ELi8ELi32ELi8ELi8ELi32ELc67ELc67EKPKDF16_S3_KPDF16_EEvlllT_PT11_llS8_llS6_PT12_llPT13_lli,"axG",@progbits,_ZN12_GLOBAL__N_135rocblas_gemm_batched_general_kernelIDF16_Li16ELi16ELi32ELi32ELi8ELi32ELi8ELi8ELi32ELc67ELc67EKPKDF16_S3_KPDF16_EEvlllT_PT11_llS8_llS6_PT12_llPT13_lli,comdat
	.globl	_ZN12_GLOBAL__N_135rocblas_gemm_batched_general_kernelIDF16_Li16ELi16ELi32ELi32ELi8ELi32ELi8ELi8ELi32ELc67ELc67EKPKDF16_S3_KPDF16_EEvlllT_PT11_llS8_llS6_PT12_llPT13_lli ; -- Begin function _ZN12_GLOBAL__N_135rocblas_gemm_batched_general_kernelIDF16_Li16ELi16ELi32ELi32ELi8ELi32ELi8ELi8ELi32ELc67ELc67EKPKDF16_S3_KPDF16_EEvlllT_PT11_llS8_llS6_PT12_llPT13_lli
	.p2align	8
	.type	_ZN12_GLOBAL__N_135rocblas_gemm_batched_general_kernelIDF16_Li16ELi16ELi32ELi32ELi8ELi32ELi8ELi8ELi32ELc67ELc67EKPKDF16_S3_KPDF16_EEvlllT_PT11_llS8_llS6_PT12_llPT13_lli,@function
_ZN12_GLOBAL__N_135rocblas_gemm_batched_general_kernelIDF16_Li16ELi16ELi32ELi32ELi8ELi32ELi8ELi8ELi32ELc67ELc67EKPKDF16_S3_KPDF16_EEvlllT_PT11_llS8_llS6_PT12_llPT13_lli: ; @_ZN12_GLOBAL__N_135rocblas_gemm_batched_general_kernelIDF16_Li16ELi16ELi32ELi32ELi8ELi32ELi8ELi8ELi32ELc67ELc67EKPKDF16_S3_KPDF16_EEvlllT_PT11_llS8_llS6_PT12_llPT13_lli
; %bb.0:
	s_clause 0x1
	s_load_dwordx8 s[12:19], s[4:5], 0x58
	s_load_dwordx2 s[34:35], s[4:5], 0x10
	s_mov_b32 s9, 0
	s_load_dwordx4 s[28:31], s[4:5], 0x0
	s_lshl_b64 s[42:43], s[8:9], 3
	s_load_dwordx4 s[8:11], s[4:5], 0x78
	s_mov_b32 s40, s7
	v_mov_b32_e32 v7, 0
	s_waitcnt lgkmcnt(0)
	s_add_u32 s0, s12, s42
	s_addc_u32 s1, s13, s43
	s_add_u32 s2, s18, s42
	s_addc_u32 s3, s19, s43
	s_load_dwordx2 s[12:13], s[0:1], 0x0
	s_load_dwordx2 s[2:3], s[2:3], 0x0
	v_cmp_lt_i64_e64 s0, s[34:35], 1
	s_ashr_i32 s7, s6, 31
	s_ashr_i32 s41, s40, 31
	s_lshl_b64 s[6:7], s[6:7], 5
	s_lshl_b64 s[18:19], s[40:41], 5
	s_and_b32 vcc_lo, exec_lo, s0
	s_cbranch_vccnz .LBB79_7
; %bb.1:
	s_load_dwordx4 s[36:39], s[4:5], 0x40
	v_lshlrev_b32_e32 v2, 4, v1
	v_and_b32_e32 v6, 7, v0
	s_load_dwordx8 s[20:27], s[4:5], 0x20
	v_mov_b32_e32 v3, s7
	v_lshlrev_b32_e32 v9, 1, v0
	v_add_nc_u32_e32 v4, v2, v0
	v_add_nc_u32_e32 v10, 0x200, v2
	v_lshlrev_b32_e32 v8, 1, v6
	v_and_b32_e32 v12, 31, v4
	v_lshrrev_b32_e32 v16, 3, v4
	v_lshrrev_b32_e32 v11, 5, v4
	v_or_b32_e32 v2, s6, v12
	v_add_co_u32 v4, s0, v16, s18
	v_add_co_ci_u32_e64 v5, null, 0, s19, s0
	s_waitcnt lgkmcnt(0)
	v_mad_u64_u32 v[14:15], null, s36, v6, 0
	v_add_co_u32 v17, s0, s6, v12
	v_add_co_ci_u32_e64 v18, null, s7, 0, s0
	v_cmp_gt_i64_e64 s0, s[28:29], v[2:3]
	v_lshlrev_b32_e32 v13, 1, v12
	v_mov_b32_e32 v2, v15
	v_lshl_or_b32 v8, v16, 4, v8
	v_cmp_gt_i64_e64 s1, s[30:31], v[4:5]
	v_mul_lo_u32 v5, s23, v17
	v_lshl_or_b32 v12, v11, 6, v13
	v_mad_u64_u32 v[2:3], null, s37, v6, v[2:3]
	v_add_nc_u32_e32 v13, 0x200, v8
	v_mul_lo_u32 v8, s22, v18
	v_mad_u64_u32 v[3:4], null, s22, v17, 0
	s_add_u32 s26, s26, s42
	s_addc_u32 s27, s27, s43
	s_add_u32 s20, s20, s42
	v_mov_b32_e32 v15, v2
	s_load_dwordx2 s[22:23], s[26:27], 0x0
	s_addc_u32 s21, s21, s43
	v_add3_u32 v4, v4, v8, v5
	s_load_dwordx2 s[20:21], s[20:21], 0x0
	v_lshlrev_b64 v[14:15], 1, v[14:15]
	s_lshl_b64 s[26:27], s[40:41], 6
	s_lshl_b64 s[38:39], s[38:39], 1
	v_lshlrev_b64 v[2:3], 1, v[3:4]
	s_add_u32 s26, s38, s26
	s_addc_u32 s27, s39, s27
	v_add_co_u32 v4, vcc_lo, s26, v14
	v_lshlrev_b32_e32 v8, 1, v16
	s_lshl_b64 s[24:25], s[24:25], 1
	v_add_co_ci_u32_e64 v5, null, s27, v15, vcc_lo
	v_add_co_u32 v2, vcc_lo, v2, s24
	v_lshlrev_b32_e32 v14, 1, v11
	v_add_co_ci_u32_e64 v3, null, s25, v3, vcc_lo
	v_add_co_u32 v4, vcc_lo, v4, v8
	v_add_co_ci_u32_e64 v5, null, 0, v5, vcc_lo
	v_add_co_u32 v8, vcc_lo, v2, v14
	v_add_co_ci_u32_e64 v14, null, 0, v3, vcc_lo
	s_waitcnt lgkmcnt(0)
	v_add_co_u32 v2, vcc_lo, s22, v4
	v_add_co_ci_u32_e64 v3, null, s23, v5, vcc_lo
	v_add_co_u32 v4, vcc_lo, s20, v8
	v_add_co_ci_u32_e64 v5, null, s21, v14, vcc_lo
	v_mov_b32_e32 v8, 0
	s_lshl_b64 s[20:21], s[36:37], 4
	s_mov_b64 s[22:23], 0
	s_branch .LBB79_3
.LBB79_2:                               ;   in Loop: Header=BB79_3 Depth=1
	s_or_b32 exec_lo, exec_lo, s24
	s_waitcnt vmcnt(0) lgkmcnt(0)
	ds_write_b16 v13, v14
	s_waitcnt lgkmcnt(0)
	s_barrier
	buffer_gl0_inv
	ds_read_u16 v22, v9
	ds_read_u16 v23, v9 offset:64
	ds_read_u16 v24, v9 offset:128
	;; [unrolled: 1-line block ×7, first 2 shown]
	s_add_u32 s22, s22, 8
	s_addc_u32 s23, s23, 0
	v_add_co_u32 v2, vcc_lo, v2, s20
	v_cmp_lt_i64_e64 s24, s[22:23], s[34:35]
	v_add_co_ci_u32_e64 v3, null, s21, v3, vcc_lo
	v_add_co_u32 v4, vcc_lo, v4, 16
	v_add_co_ci_u32_e64 v5, null, 0, v5, vcc_lo
	s_and_b32 vcc_lo, exec_lo, s24
	s_waitcnt lgkmcnt(7)
	ds_read_u16_d16_hi v22, v9 offset:32
	ds_read_b128 v[14:17], v10
	ds_read_b128 v[18:21], v10 offset:256
	s_waitcnt lgkmcnt(9)
	ds_read_u16_d16_hi v23, v9 offset:96
	s_waitcnt lgkmcnt(9)
	ds_read_u16_d16_hi v24, v9 offset:160
	;; [unrolled: 2-line block ×7, first 2 shown]
	s_waitcnt lgkmcnt(0)
	s_barrier
	buffer_gl0_inv
	v_pk_fma_f16 v7, v22, v14, v7 op_sel_hi:[1,0,1]
	v_pk_fma_f16 v8, v22, v18, v8 op_sel_hi:[1,0,1]
	v_pk_fma_f16 v7, v23, v14, v7 op_sel:[0,1,0]
	v_pk_fma_f16 v8, v23, v18, v8 op_sel:[0,1,0]
	v_pk_fma_f16 v7, v24, v15, v7 op_sel_hi:[1,0,1]
	v_pk_fma_f16 v8, v24, v19, v8 op_sel_hi:[1,0,1]
	v_pk_fma_f16 v7, v25, v15, v7 op_sel:[0,1,0]
	v_pk_fma_f16 v8, v25, v19, v8 op_sel:[0,1,0]
	v_pk_fma_f16 v7, v26, v16, v7 op_sel_hi:[1,0,1]
	v_pk_fma_f16 v8, v26, v20, v8 op_sel_hi:[1,0,1]
	v_pk_fma_f16 v7, v27, v16, v7 op_sel:[0,1,0]
	v_pk_fma_f16 v8, v27, v20, v8 op_sel:[0,1,0]
	v_pk_fma_f16 v7, v28, v17, v7 op_sel_hi:[1,0,1]
	v_pk_fma_f16 v8, v28, v21, v8 op_sel_hi:[1,0,1]
	v_pk_fma_f16 v7, v29, v17, v7 op_sel:[0,1,0]
	v_pk_fma_f16 v8, v29, v21, v8 op_sel:[0,1,0]
	s_cbranch_vccz .LBB79_8
.LBB79_3:                               ; =>This Inner Loop Header: Depth=1
	v_add_co_u32 v14, s24, v11, s22
	v_add_co_ci_u32_e64 v15, null, 0, s23, s24
	v_cmp_gt_i64_e32 vcc_lo, s[34:35], v[14:15]
	v_mov_b32_e32 v14, 0
	v_mov_b32_e32 v15, 0
	s_and_b32 s25, s0, vcc_lo
	s_and_saveexec_b32 s24, s25
	s_cbranch_execz .LBB79_5
; %bb.4:                                ;   in Loop: Header=BB79_3 Depth=1
	flat_load_ushort v15, v[4:5]
.LBB79_5:                               ;   in Loop: Header=BB79_3 Depth=1
	s_or_b32 exec_lo, exec_lo, s24
	v_add_co_u32 v16, s24, v6, s22
	v_add_co_ci_u32_e64 v17, null, 0, s23, s24
	s_waitcnt vmcnt(0) lgkmcnt(0)
	ds_write_b16 v12, v15
	v_cmp_gt_i64_e32 vcc_lo, s[34:35], v[16:17]
	s_and_b32 s25, vcc_lo, s1
	s_and_saveexec_b32 s24, s25
	s_cbranch_execz .LBB79_2
; %bb.6:                                ;   in Loop: Header=BB79_3 Depth=1
	flat_load_ushort v14, v[2:3]
	s_branch .LBB79_2
.LBB79_7:
	v_mov_b32_e32 v8, 0
.LBB79_8:
	s_clause 0x1
	s_load_dword s20, s[4:5], 0x50
	s_load_dword s4, s[4:5], 0x18
	v_add_co_u32 v1, s5, s18, v1
	v_add_co_ci_u32_e64 v2, null, s19, 0, s5
	s_lshl_b64 s[0:1], s[10:11], 1
	s_waitcnt lgkmcnt(0)
	s_add_u32 s5, s2, s0
	v_cmp_gt_i64_e64 s0, s[30:31], v[1:2]
	s_addc_u32 s3, s3, s1
	v_cmp_neq_f16_e64 s10, s20, 0
	s_and_b32 vcc_lo, exec_lo, s10
	s_cbranch_vccnz .LBB79_21
; %bb.9:
	s_and_saveexec_b32 s10, s0
	s_cbranch_execz .LBB79_19
; %bb.10:
	v_mul_lo_u32 v5, v2, s8
	v_mul_lo_u32 v6, v1, s9
	v_mad_u64_u32 v[3:4], null, v1, s8, 0
	v_add3_u32 v4, v4, v6, v5
	v_add_co_u32 v5, s1, s6, v0
	v_add_co_ci_u32_e64 v6, null, s7, 0, s1
	v_lshlrev_b64 v[9:10], 1, v[3:4]
	v_cmp_gt_i64_e32 vcc_lo, s[28:29], v[5:6]
	v_lshlrev_b64 v[3:4], 1, v[5:6]
	v_add_co_u32 v9, s1, s5, v9
	v_add_co_ci_u32_e64 v10, null, s3, v10, s1
	s_and_saveexec_b32 s2, vcc_lo
	s_cbranch_execz .LBB79_12
; %bb.11:
	v_add_co_u32 v11, s1, v9, v3
	v_add_co_ci_u32_e64 v12, null, v10, v4, s1
	v_mul_f16_e32 v13, s4, v7
	flat_store_short v[11:12], v13
.LBB79_12:
	s_or_b32 exec_lo, exec_lo, s2
	v_add_co_u32 v5, s1, v5, 16
	v_add_co_ci_u32_e64 v6, null, 0, v6, s1
	v_cmp_gt_i64_e64 s1, s[28:29], v[5:6]
	s_and_saveexec_b32 s11, s1
	s_cbranch_execz .LBB79_14
; %bb.13:
	v_add_co_u32 v5, s2, v9, v3
	v_add_co_ci_u32_e64 v6, null, v10, v4, s2
	v_mul_f16_sdwa v11, s4, v7 dst_sel:DWORD dst_unused:UNUSED_PAD src0_sel:DWORD src1_sel:WORD_1
	flat_store_short v[5:6], v11 offset:32
.LBB79_14:
	s_or_b32 exec_lo, exec_lo, s11
	v_add_co_u32 v5, s2, v1, 16
	v_add_co_ci_u32_e64 v6, null, 0, v2, s2
	v_cmp_gt_i64_e64 s2, s[30:31], v[5:6]
	s_and_b32 exec_lo, exec_lo, s2
	s_cbranch_execz .LBB79_19
; %bb.15:
	s_lshl_b64 s[18:19], s[8:9], 5
	v_add_co_u32 v5, s2, v9, s18
	v_add_co_ci_u32_e64 v6, null, s19, v10, s2
	v_add_co_u32 v3, s2, v5, v3
	v_add_co_ci_u32_e64 v4, null, v6, v4, s2
	s_and_saveexec_b32 s2, vcc_lo
	s_cbranch_execz .LBB79_17
; %bb.16:
	v_mul_f16_e32 v5, s4, v8
	flat_store_short v[3:4], v5
.LBB79_17:
	s_or_b32 exec_lo, exec_lo, s2
	s_and_b32 exec_lo, exec_lo, s1
	s_cbranch_execz .LBB79_19
; %bb.18:
	v_mul_f16_sdwa v5, s4, v8 dst_sel:DWORD dst_unused:UNUSED_PAD src0_sel:DWORD src1_sel:WORD_1
	flat_store_short v[3:4], v5 offset:32
.LBB79_19:
	s_or_b32 exec_lo, exec_lo, s10
	s_cbranch_execz .LBB79_22
.LBB79_20:
	s_endpgm
.LBB79_21:
.LBB79_22:
	s_and_saveexec_b32 s1, s0
	s_cbranch_execz .LBB79_20
; %bb.23:
	v_mul_lo_u32 v5, v2, s14
	v_mul_lo_u32 v6, v1, s15
	v_mad_u64_u32 v[3:4], null, v1, s14, 0
	v_mul_lo_u32 v11, v2, s8
	v_mul_lo_u32 v12, v1, s9
	v_mad_u64_u32 v[9:10], null, v1, s8, 0
	s_lshl_b64 s[0:1], s[16:17], 1
	v_add3_u32 v4, v4, v6, v5
	v_add_co_u32 v5, s2, s6, v0
	v_add_co_ci_u32_e64 v6, null, s7, 0, s2
	v_add3_u32 v10, v10, v12, v11
	v_lshlrev_b64 v[3:4], 1, v[3:4]
	s_add_u32 s0, s12, s0
	s_addc_u32 s1, s13, s1
	v_cmp_gt_i64_e32 vcc_lo, s[28:29], v[5:6]
	v_lshlrev_b64 v[10:11], 1, v[9:10]
	v_add_co_u32 v0, s0, s0, v3
	v_add_co_ci_u32_e64 v9, null, s1, v4, s0
	v_add_co_u32 v10, s0, s5, v10
	v_lshlrev_b64 v[3:4], 1, v[5:6]
	v_add_co_ci_u32_e64 v11, null, s3, v11, s0
	s_and_saveexec_b32 s1, vcc_lo
	s_cbranch_execz .LBB79_25
; %bb.24:
	v_add_co_u32 v12, s0, v0, v3
	v_add_co_ci_u32_e64 v13, null, v9, v4, s0
	flat_load_ushort v12, v[12:13]
	s_waitcnt vmcnt(0) lgkmcnt(0)
	v_mul_f16_e32 v14, s20, v12
	v_add_co_u32 v12, s0, v10, v3
	v_add_co_ci_u32_e64 v13, null, v11, v4, s0
	v_fmac_f16_e32 v14, s4, v7
	flat_store_short v[12:13], v14
.LBB79_25:
	s_or_b32 exec_lo, exec_lo, s1
	v_add_co_u32 v5, s0, v5, 16
	v_add_co_ci_u32_e64 v6, null, 0, v6, s0
	v_cmp_gt_i64_e64 s0, s[28:29], v[5:6]
	s_and_saveexec_b32 s2, s0
	s_cbranch_execz .LBB79_27
; %bb.26:
	v_add_co_u32 v5, s1, v0, v3
	v_add_co_ci_u32_e64 v6, null, v9, v4, s1
	flat_load_ushort v5, v[5:6] offset:32
	v_lshrrev_b32_e32 v6, 16, v7
	s_waitcnt vmcnt(0) lgkmcnt(0)
	v_mul_f16_e32 v7, s20, v5
	v_add_co_u32 v5, s1, v10, v3
	v_fmac_f16_e32 v7, s4, v6
	v_add_co_ci_u32_e64 v6, null, v11, v4, s1
	flat_store_short v[5:6], v7 offset:32
.LBB79_27:
	s_or_b32 exec_lo, exec_lo, s2
	v_add_co_u32 v1, s1, v1, 16
	v_add_co_ci_u32_e64 v2, null, 0, v2, s1
	v_cmp_gt_i64_e64 s1, s[30:31], v[1:2]
	s_and_b32 exec_lo, exec_lo, s1
	s_cbranch_execz .LBB79_20
; %bb.28:
	s_lshl_b64 s[2:3], s[14:15], 5
	v_add_co_u32 v0, s1, v0, s2
	v_add_co_ci_u32_e64 v1, null, s3, v9, s1
	s_lshl_b64 s[2:3], s[8:9], 5
	v_add_co_u32 v2, s1, v10, s2
	v_add_co_ci_u32_e64 v7, null, s3, v11, s1
	v_add_co_u32 v5, s1, v0, v3
	v_add_co_ci_u32_e64 v6, null, v1, v4, s1
	;; [unrolled: 2-line block ×3, first 2 shown]
	s_and_saveexec_b32 s1, vcc_lo
	s_cbranch_execz .LBB79_30
; %bb.29:
	flat_load_ushort v2, v[5:6]
	s_waitcnt vmcnt(0) lgkmcnt(0)
	v_mul_f16_e32 v2, s20, v2
	v_fmac_f16_e32 v2, s4, v8
	flat_store_short v[0:1], v2
.LBB79_30:
	s_or_b32 exec_lo, exec_lo, s1
	s_and_b32 exec_lo, exec_lo, s0
	s_cbranch_execz .LBB79_20
; %bb.31:
	flat_load_ushort v2, v[5:6] offset:32
	v_lshrrev_b32_e32 v3, 16, v8
	s_waitcnt vmcnt(0) lgkmcnt(0)
	v_mul_f16_e32 v2, s20, v2
	v_fmac_f16_e32 v2, s4, v3
	flat_store_short v[0:1], v2 offset:32
	s_endpgm
	.section	.rodata,"a",@progbits
	.p2align	6, 0x0
	.amdhsa_kernel _ZN12_GLOBAL__N_135rocblas_gemm_batched_general_kernelIDF16_Li16ELi16ELi32ELi32ELi8ELi32ELi8ELi8ELi32ELc67ELc67EKPKDF16_S3_KPDF16_EEvlllT_PT11_llS8_llS6_PT12_llPT13_lli
		.amdhsa_group_segment_fixed_size 1024
		.amdhsa_private_segment_fixed_size 0
		.amdhsa_kernarg_size 140
		.amdhsa_user_sgpr_count 6
		.amdhsa_user_sgpr_private_segment_buffer 1
		.amdhsa_user_sgpr_dispatch_ptr 0
		.amdhsa_user_sgpr_queue_ptr 0
		.amdhsa_user_sgpr_kernarg_segment_ptr 1
		.amdhsa_user_sgpr_dispatch_id 0
		.amdhsa_user_sgpr_flat_scratch_init 0
		.amdhsa_user_sgpr_private_segment_size 0
		.amdhsa_wavefront_size32 1
		.amdhsa_uses_dynamic_stack 0
		.amdhsa_system_sgpr_private_segment_wavefront_offset 0
		.amdhsa_system_sgpr_workgroup_id_x 1
		.amdhsa_system_sgpr_workgroup_id_y 1
		.amdhsa_system_sgpr_workgroup_id_z 1
		.amdhsa_system_sgpr_workgroup_info 0
		.amdhsa_system_vgpr_workitem_id 1
		.amdhsa_next_free_vgpr 30
		.amdhsa_next_free_sgpr 44
		.amdhsa_reserve_vcc 1
		.amdhsa_reserve_flat_scratch 0
		.amdhsa_float_round_mode_32 0
		.amdhsa_float_round_mode_16_64 0
		.amdhsa_float_denorm_mode_32 3
		.amdhsa_float_denorm_mode_16_64 3
		.amdhsa_dx10_clamp 1
		.amdhsa_ieee_mode 1
		.amdhsa_fp16_overflow 0
		.amdhsa_workgroup_processor_mode 1
		.amdhsa_memory_ordered 1
		.amdhsa_forward_progress 1
		.amdhsa_shared_vgpr_count 0
		.amdhsa_exception_fp_ieee_invalid_op 0
		.amdhsa_exception_fp_denorm_src 0
		.amdhsa_exception_fp_ieee_div_zero 0
		.amdhsa_exception_fp_ieee_overflow 0
		.amdhsa_exception_fp_ieee_underflow 0
		.amdhsa_exception_fp_ieee_inexact 0
		.amdhsa_exception_int_div_zero 0
	.end_amdhsa_kernel
	.section	.text._ZN12_GLOBAL__N_135rocblas_gemm_batched_general_kernelIDF16_Li16ELi16ELi32ELi32ELi8ELi32ELi8ELi8ELi32ELc67ELc67EKPKDF16_S3_KPDF16_EEvlllT_PT11_llS8_llS6_PT12_llPT13_lli,"axG",@progbits,_ZN12_GLOBAL__N_135rocblas_gemm_batched_general_kernelIDF16_Li16ELi16ELi32ELi32ELi8ELi32ELi8ELi8ELi32ELc67ELc67EKPKDF16_S3_KPDF16_EEvlllT_PT11_llS8_llS6_PT12_llPT13_lli,comdat
.Lfunc_end79:
	.size	_ZN12_GLOBAL__N_135rocblas_gemm_batched_general_kernelIDF16_Li16ELi16ELi32ELi32ELi8ELi32ELi8ELi8ELi32ELc67ELc67EKPKDF16_S3_KPDF16_EEvlllT_PT11_llS8_llS6_PT12_llPT13_lli, .Lfunc_end79-_ZN12_GLOBAL__N_135rocblas_gemm_batched_general_kernelIDF16_Li16ELi16ELi32ELi32ELi8ELi32ELi8ELi8ELi32ELc67ELc67EKPKDF16_S3_KPDF16_EEvlllT_PT11_llS8_llS6_PT12_llPT13_lli
                                        ; -- End function
	.set _ZN12_GLOBAL__N_135rocblas_gemm_batched_general_kernelIDF16_Li16ELi16ELi32ELi32ELi8ELi32ELi8ELi8ELi32ELc67ELc67EKPKDF16_S3_KPDF16_EEvlllT_PT11_llS8_llS6_PT12_llPT13_lli.num_vgpr, 30
	.set _ZN12_GLOBAL__N_135rocblas_gemm_batched_general_kernelIDF16_Li16ELi16ELi32ELi32ELi8ELi32ELi8ELi8ELi32ELc67ELc67EKPKDF16_S3_KPDF16_EEvlllT_PT11_llS8_llS6_PT12_llPT13_lli.num_agpr, 0
	.set _ZN12_GLOBAL__N_135rocblas_gemm_batched_general_kernelIDF16_Li16ELi16ELi32ELi32ELi8ELi32ELi8ELi8ELi32ELc67ELc67EKPKDF16_S3_KPDF16_EEvlllT_PT11_llS8_llS6_PT12_llPT13_lli.numbered_sgpr, 44
	.set _ZN12_GLOBAL__N_135rocblas_gemm_batched_general_kernelIDF16_Li16ELi16ELi32ELi32ELi8ELi32ELi8ELi8ELi32ELc67ELc67EKPKDF16_S3_KPDF16_EEvlllT_PT11_llS8_llS6_PT12_llPT13_lli.num_named_barrier, 0
	.set _ZN12_GLOBAL__N_135rocblas_gemm_batched_general_kernelIDF16_Li16ELi16ELi32ELi32ELi8ELi32ELi8ELi8ELi32ELc67ELc67EKPKDF16_S3_KPDF16_EEvlllT_PT11_llS8_llS6_PT12_llPT13_lli.private_seg_size, 0
	.set _ZN12_GLOBAL__N_135rocblas_gemm_batched_general_kernelIDF16_Li16ELi16ELi32ELi32ELi8ELi32ELi8ELi8ELi32ELc67ELc67EKPKDF16_S3_KPDF16_EEvlllT_PT11_llS8_llS6_PT12_llPT13_lli.uses_vcc, 1
	.set _ZN12_GLOBAL__N_135rocblas_gemm_batched_general_kernelIDF16_Li16ELi16ELi32ELi32ELi8ELi32ELi8ELi8ELi32ELc67ELc67EKPKDF16_S3_KPDF16_EEvlllT_PT11_llS8_llS6_PT12_llPT13_lli.uses_flat_scratch, 0
	.set _ZN12_GLOBAL__N_135rocblas_gemm_batched_general_kernelIDF16_Li16ELi16ELi32ELi32ELi8ELi32ELi8ELi8ELi32ELc67ELc67EKPKDF16_S3_KPDF16_EEvlllT_PT11_llS8_llS6_PT12_llPT13_lli.has_dyn_sized_stack, 0
	.set _ZN12_GLOBAL__N_135rocblas_gemm_batched_general_kernelIDF16_Li16ELi16ELi32ELi32ELi8ELi32ELi8ELi8ELi32ELc67ELc67EKPKDF16_S3_KPDF16_EEvlllT_PT11_llS8_llS6_PT12_llPT13_lli.has_recursion, 0
	.set _ZN12_GLOBAL__N_135rocblas_gemm_batched_general_kernelIDF16_Li16ELi16ELi32ELi32ELi8ELi32ELi8ELi8ELi32ELc67ELc67EKPKDF16_S3_KPDF16_EEvlllT_PT11_llS8_llS6_PT12_llPT13_lli.has_indirect_call, 0
	.section	.AMDGPU.csdata,"",@progbits
; Kernel info:
; codeLenInByte = 1956
; TotalNumSgprs: 46
; NumVgprs: 30
; ScratchSize: 0
; MemoryBound: 0
; FloatMode: 240
; IeeeMode: 1
; LDSByteSize: 1024 bytes/workgroup (compile time only)
; SGPRBlocks: 0
; VGPRBlocks: 3
; NumSGPRsForWavesPerEU: 46
; NumVGPRsForWavesPerEU: 30
; Occupancy: 16
; WaveLimiterHint : 1
; COMPUTE_PGM_RSRC2:SCRATCH_EN: 0
; COMPUTE_PGM_RSRC2:USER_SGPR: 6
; COMPUTE_PGM_RSRC2:TRAP_HANDLER: 0
; COMPUTE_PGM_RSRC2:TGID_X_EN: 1
; COMPUTE_PGM_RSRC2:TGID_Y_EN: 1
; COMPUTE_PGM_RSRC2:TGID_Z_EN: 1
; COMPUTE_PGM_RSRC2:TIDIG_COMP_CNT: 1
	.section	.text._ZN12_GLOBAL__N_135rocblas_gemm_batched_general_kernelIDF16_Li16ELi16ELi32ELi32ELi8ELi32ELi8ELi8ELi32ELc67ELc78EKPKDF16_S3_KPDF16_EEvlllT_PT11_llS8_llS6_PT12_llPT13_lli,"axG",@progbits,_ZN12_GLOBAL__N_135rocblas_gemm_batched_general_kernelIDF16_Li16ELi16ELi32ELi32ELi8ELi32ELi8ELi8ELi32ELc67ELc78EKPKDF16_S3_KPDF16_EEvlllT_PT11_llS8_llS6_PT12_llPT13_lli,comdat
	.globl	_ZN12_GLOBAL__N_135rocblas_gemm_batched_general_kernelIDF16_Li16ELi16ELi32ELi32ELi8ELi32ELi8ELi8ELi32ELc67ELc78EKPKDF16_S3_KPDF16_EEvlllT_PT11_llS8_llS6_PT12_llPT13_lli ; -- Begin function _ZN12_GLOBAL__N_135rocblas_gemm_batched_general_kernelIDF16_Li16ELi16ELi32ELi32ELi8ELi32ELi8ELi8ELi32ELc67ELc78EKPKDF16_S3_KPDF16_EEvlllT_PT11_llS8_llS6_PT12_llPT13_lli
	.p2align	8
	.type	_ZN12_GLOBAL__N_135rocblas_gemm_batched_general_kernelIDF16_Li16ELi16ELi32ELi32ELi8ELi32ELi8ELi8ELi32ELc67ELc78EKPKDF16_S3_KPDF16_EEvlllT_PT11_llS8_llS6_PT12_llPT13_lli,@function
_ZN12_GLOBAL__N_135rocblas_gemm_batched_general_kernelIDF16_Li16ELi16ELi32ELi32ELi8ELi32ELi8ELi8ELi32ELc67ELc78EKPKDF16_S3_KPDF16_EEvlllT_PT11_llS8_llS6_PT12_llPT13_lli: ; @_ZN12_GLOBAL__N_135rocblas_gemm_batched_general_kernelIDF16_Li16ELi16ELi32ELi32ELi8ELi32ELi8ELi8ELi32ELc67ELc78EKPKDF16_S3_KPDF16_EEvlllT_PT11_llS8_llS6_PT12_llPT13_lli
; %bb.0:
	s_clause 0x1
	s_load_dwordx8 s[12:19], s[4:5], 0x58
	s_load_dwordx2 s[34:35], s[4:5], 0x10
	s_mov_b32 s9, 0
	s_load_dwordx4 s[28:31], s[4:5], 0x0
	s_lshl_b64 s[38:39], s[8:9], 3
	s_load_dwordx4 s[8:11], s[4:5], 0x78
	s_mov_b32 s0, s7
	v_mov_b32_e32 v7, 0
	s_waitcnt lgkmcnt(0)
	s_add_u32 s2, s12, s38
	s_addc_u32 s3, s13, s39
	s_add_u32 s18, s18, s38
	s_addc_u32 s19, s19, s39
	s_load_dwordx2 s[12:13], s[2:3], 0x0
	s_load_dwordx2 s[18:19], s[18:19], 0x0
	v_cmp_lt_i64_e64 s2, s[34:35], 1
	s_ashr_i32 s7, s6, 31
	s_ashr_i32 s1, s0, 31
	s_lshl_b64 s[6:7], s[6:7], 5
	s_lshl_b64 s[36:37], s[0:1], 5
	s_and_b32 vcc_lo, exec_lo, s2
	s_cbranch_vccnz .LBB80_7
; %bb.1:
	v_lshlrev_b32_e32 v8, 4, v1
	s_clause 0x1
	s_load_dwordx4 s[0:3], s[4:5], 0x40
	s_load_dwordx8 s[20:27], s[4:5], 0x20
	v_mov_b32_e32 v3, s7
	v_and_b32_e32 v6, 7, v0
	v_add_nc_u32_e32 v2, v8, v0
	v_lshlrev_b32_e32 v16, 1, v6
	v_lshrrev_b32_e32 v10, 3, v2
	v_and_b32_e32 v11, 31, v2
	v_lshrrev_b32_e32 v9, 5, v2
	v_add_co_u32 v4, s33, v10, s36
	v_add_co_ci_u32_e64 v5, null, 0, s37, s33
	v_or_b32_e32 v2, s6, v11
	v_lshlrev_b32_e32 v17, 1, v11
	s_waitcnt lgkmcnt(0)
	v_mul_lo_u32 v18, s1, v4
	v_add_co_u32 v11, s1, s6, v11
	v_add_co_ci_u32_e64 v14, null, s7, 0, s1
	v_mul_lo_u32 v19, s0, v5
	v_mad_u64_u32 v[12:13], null, s0, v4, 0
	v_mul_lo_u32 v20, s23, v11
	v_mul_lo_u32 v21, s22, v14
	v_mad_u64_u32 v[14:15], null, s22, v11, 0
	s_add_u32 s26, s26, s38
	s_addc_u32 s27, s27, s39
	v_add3_u32 v13, v13, v19, v18
	s_add_u32 s20, s20, s38
	s_load_dwordx2 s[26:27], s[26:27], 0x0
	s_addc_u32 s21, s21, s39
	v_add3_u32 v15, v15, v21, v20
	s_load_dwordx2 s[20:21], s[20:21], 0x0
	v_cmp_gt_i64_e64 s0, s[28:29], v[2:3]
	v_lshlrev_b64 v[2:3], 1, v[12:13]
	v_cmp_gt_i64_e64 s1, s[30:31], v[4:5]
	s_lshl_b64 s[2:3], s[2:3], 1
	v_lshlrev_b64 v[4:5], 1, v[14:15]
	v_add_nc_u32_e32 v13, 0x200, v8
	v_lshlrev_b32_e32 v8, 1, v9
	v_add_co_u32 v2, vcc_lo, v2, s2
	v_add_co_ci_u32_e64 v3, null, s3, v3, vcc_lo
	s_lshl_b64 s[2:3], s[24:25], 1
	v_lshl_or_b32 v11, v10, 4, v16
	v_add_co_u32 v4, vcc_lo, v4, s2
	v_add_co_ci_u32_e64 v5, null, s3, v5, vcc_lo
	v_add_co_u32 v2, vcc_lo, v2, v16
	v_add_co_ci_u32_e64 v3, null, 0, v3, vcc_lo
	;; [unrolled: 2-line block ×3, first 2 shown]
	s_waitcnt lgkmcnt(0)
	v_add_co_u32 v2, vcc_lo, s26, v2
	v_add_co_ci_u32_e64 v3, null, s27, v3, vcc_lo
	v_add_co_u32 v4, vcc_lo, s20, v4
	v_lshl_or_b32 v10, v9, 6, v17
	v_add_nc_u32_e32 v11, 0x200, v11
	v_lshlrev_b32_e32 v12, 1, v0
	v_add_co_ci_u32_e64 v5, null, s21, v5, vcc_lo
	v_mov_b32_e32 v8, 0
	s_mov_b64 s[2:3], 0
	s_branch .LBB80_3
.LBB80_2:                               ;   in Loop: Header=BB80_3 Depth=1
	s_or_b32 exec_lo, exec_lo, s20
	s_waitcnt vmcnt(0) lgkmcnt(0)
	ds_write_b16 v11, v14
	s_waitcnt lgkmcnt(0)
	s_barrier
	buffer_gl0_inv
	ds_read_u16 v22, v12
	ds_read_u16 v23, v12 offset:64
	ds_read_u16 v24, v12 offset:128
	ds_read_u16 v25, v12 offset:192
	ds_read_u16 v26, v12 offset:256
	ds_read_u16 v27, v12 offset:320
	ds_read_u16 v28, v12 offset:384
	ds_read_u16 v29, v12 offset:448
	s_add_u32 s2, s2, 8
	s_addc_u32 s3, s3, 0
	v_add_co_u32 v2, vcc_lo, v2, 16
	v_cmp_lt_i64_e64 s20, s[2:3], s[34:35]
	v_add_co_ci_u32_e64 v3, null, 0, v3, vcc_lo
	v_add_co_u32 v4, vcc_lo, v4, 16
	v_add_co_ci_u32_e64 v5, null, 0, v5, vcc_lo
	s_and_b32 vcc_lo, exec_lo, s20
	s_waitcnt lgkmcnt(7)
	ds_read_u16_d16_hi v22, v12 offset:32
	ds_read_b128 v[14:17], v13
	ds_read_b128 v[18:21], v13 offset:256
	s_waitcnt lgkmcnt(9)
	ds_read_u16_d16_hi v23, v12 offset:96
	s_waitcnt lgkmcnt(9)
	ds_read_u16_d16_hi v24, v12 offset:160
	;; [unrolled: 2-line block ×7, first 2 shown]
	s_waitcnt lgkmcnt(0)
	s_barrier
	buffer_gl0_inv
	v_pk_fma_f16 v7, v22, v14, v7 op_sel_hi:[1,0,1]
	v_pk_fma_f16 v8, v22, v18, v8 op_sel_hi:[1,0,1]
	v_pk_fma_f16 v7, v23, v14, v7 op_sel:[0,1,0]
	v_pk_fma_f16 v8, v23, v18, v8 op_sel:[0,1,0]
	v_pk_fma_f16 v7, v24, v15, v7 op_sel_hi:[1,0,1]
	v_pk_fma_f16 v8, v24, v19, v8 op_sel_hi:[1,0,1]
	v_pk_fma_f16 v7, v25, v15, v7 op_sel:[0,1,0]
	v_pk_fma_f16 v8, v25, v19, v8 op_sel:[0,1,0]
	;; [unrolled: 4-line block ×4, first 2 shown]
	s_cbranch_vccz .LBB80_8
.LBB80_3:                               ; =>This Inner Loop Header: Depth=1
	v_add_co_u32 v14, s20, v9, s2
	v_add_co_ci_u32_e64 v15, null, 0, s3, s20
	v_cmp_gt_i64_e32 vcc_lo, s[34:35], v[14:15]
	v_mov_b32_e32 v14, 0
	v_mov_b32_e32 v15, 0
	s_and_b32 s21, s0, vcc_lo
	s_and_saveexec_b32 s20, s21
	s_cbranch_execz .LBB80_5
; %bb.4:                                ;   in Loop: Header=BB80_3 Depth=1
	flat_load_ushort v15, v[4:5]
.LBB80_5:                               ;   in Loop: Header=BB80_3 Depth=1
	s_or_b32 exec_lo, exec_lo, s20
	v_add_co_u32 v16, s20, v6, s2
	v_add_co_ci_u32_e64 v17, null, 0, s3, s20
	s_waitcnt vmcnt(0) lgkmcnt(0)
	ds_write_b16 v10, v15
	v_cmp_gt_i64_e32 vcc_lo, s[34:35], v[16:17]
	s_and_b32 s21, vcc_lo, s1
	s_and_saveexec_b32 s20, s21
	s_cbranch_execz .LBB80_2
; %bb.6:                                ;   in Loop: Header=BB80_3 Depth=1
	flat_load_ushort v14, v[2:3]
	s_branch .LBB80_2
.LBB80_7:
	v_mov_b32_e32 v8, 0
.LBB80_8:
	s_clause 0x1
	s_load_dword s20, s[4:5], 0x50
	s_load_dword s3, s[4:5], 0x18
	v_add_co_u32 v1, s2, s36, v1
	v_add_co_ci_u32_e64 v2, null, s37, 0, s2
	s_lshl_b64 s[0:1], s[10:11], 1
	s_waitcnt lgkmcnt(0)
	s_add_u32 s4, s18, s0
	v_cmp_gt_i64_e64 s0, s[30:31], v[1:2]
	s_addc_u32 s5, s19, s1
	v_cmp_neq_f16_e64 s2, s20, 0
	s_and_b32 vcc_lo, exec_lo, s2
	s_cbranch_vccnz .LBB80_21
; %bb.9:
	s_and_saveexec_b32 s10, s0
	s_cbranch_execz .LBB80_19
; %bb.10:
	v_mul_lo_u32 v5, v2, s8
	v_mul_lo_u32 v6, v1, s9
	v_mad_u64_u32 v[3:4], null, v1, s8, 0
	v_add3_u32 v4, v4, v6, v5
	v_add_co_u32 v5, s1, s6, v0
	v_add_co_ci_u32_e64 v6, null, s7, 0, s1
	v_lshlrev_b64 v[9:10], 1, v[3:4]
	v_cmp_gt_i64_e32 vcc_lo, s[28:29], v[5:6]
	v_lshlrev_b64 v[3:4], 1, v[5:6]
	v_add_co_u32 v9, s1, s4, v9
	v_add_co_ci_u32_e64 v10, null, s5, v10, s1
	s_and_saveexec_b32 s2, vcc_lo
	s_cbranch_execz .LBB80_12
; %bb.11:
	v_add_co_u32 v11, s1, v9, v3
	v_add_co_ci_u32_e64 v12, null, v10, v4, s1
	v_mul_f16_e32 v13, s3, v7
	flat_store_short v[11:12], v13
.LBB80_12:
	s_or_b32 exec_lo, exec_lo, s2
	v_add_co_u32 v5, s1, v5, 16
	v_add_co_ci_u32_e64 v6, null, 0, v6, s1
	v_cmp_gt_i64_e64 s1, s[28:29], v[5:6]
	s_and_saveexec_b32 s11, s1
	s_cbranch_execz .LBB80_14
; %bb.13:
	v_add_co_u32 v5, s2, v9, v3
	v_add_co_ci_u32_e64 v6, null, v10, v4, s2
	v_mul_f16_sdwa v11, s3, v7 dst_sel:DWORD dst_unused:UNUSED_PAD src0_sel:DWORD src1_sel:WORD_1
	flat_store_short v[5:6], v11 offset:32
.LBB80_14:
	s_or_b32 exec_lo, exec_lo, s11
	v_add_co_u32 v5, s2, v1, 16
	v_add_co_ci_u32_e64 v6, null, 0, v2, s2
	v_cmp_gt_i64_e64 s2, s[30:31], v[5:6]
	s_and_b32 exec_lo, exec_lo, s2
	s_cbranch_execz .LBB80_19
; %bb.15:
	s_lshl_b64 s[18:19], s[8:9], 5
	v_add_co_u32 v5, s2, v9, s18
	v_add_co_ci_u32_e64 v6, null, s19, v10, s2
	v_add_co_u32 v3, s2, v5, v3
	v_add_co_ci_u32_e64 v4, null, v6, v4, s2
	s_and_saveexec_b32 s2, vcc_lo
	s_cbranch_execz .LBB80_17
; %bb.16:
	v_mul_f16_e32 v5, s3, v8
	flat_store_short v[3:4], v5
.LBB80_17:
	s_or_b32 exec_lo, exec_lo, s2
	s_and_b32 exec_lo, exec_lo, s1
	s_cbranch_execz .LBB80_19
; %bb.18:
	v_mul_f16_sdwa v5, s3, v8 dst_sel:DWORD dst_unused:UNUSED_PAD src0_sel:DWORD src1_sel:WORD_1
	flat_store_short v[3:4], v5 offset:32
.LBB80_19:
	s_or_b32 exec_lo, exec_lo, s10
	s_cbranch_execz .LBB80_22
.LBB80_20:
	s_endpgm
.LBB80_21:
.LBB80_22:
	s_and_saveexec_b32 s1, s0
	s_cbranch_execz .LBB80_20
; %bb.23:
	v_mul_lo_u32 v5, v2, s14
	v_mul_lo_u32 v6, v1, s15
	v_mad_u64_u32 v[3:4], null, v1, s14, 0
	v_mul_lo_u32 v11, v2, s8
	v_mul_lo_u32 v12, v1, s9
	v_mad_u64_u32 v[9:10], null, v1, s8, 0
	s_lshl_b64 s[0:1], s[16:17], 1
	v_add3_u32 v4, v4, v6, v5
	v_add_co_u32 v5, s2, s6, v0
	v_add_co_ci_u32_e64 v6, null, s7, 0, s2
	v_add3_u32 v10, v10, v12, v11
	v_lshlrev_b64 v[3:4], 1, v[3:4]
	s_add_u32 s0, s12, s0
	s_addc_u32 s1, s13, s1
	v_cmp_gt_i64_e32 vcc_lo, s[28:29], v[5:6]
	v_lshlrev_b64 v[10:11], 1, v[9:10]
	v_add_co_u32 v0, s0, s0, v3
	v_add_co_ci_u32_e64 v9, null, s1, v4, s0
	v_add_co_u32 v10, s0, s4, v10
	v_lshlrev_b64 v[3:4], 1, v[5:6]
	v_add_co_ci_u32_e64 v11, null, s5, v11, s0
	s_and_saveexec_b32 s1, vcc_lo
	s_cbranch_execz .LBB80_25
; %bb.24:
	v_add_co_u32 v12, s0, v0, v3
	v_add_co_ci_u32_e64 v13, null, v9, v4, s0
	flat_load_ushort v12, v[12:13]
	s_waitcnt vmcnt(0) lgkmcnt(0)
	v_mul_f16_e32 v14, s20, v12
	v_add_co_u32 v12, s0, v10, v3
	v_add_co_ci_u32_e64 v13, null, v11, v4, s0
	v_fmac_f16_e32 v14, s3, v7
	flat_store_short v[12:13], v14
.LBB80_25:
	s_or_b32 exec_lo, exec_lo, s1
	v_add_co_u32 v5, s0, v5, 16
	v_add_co_ci_u32_e64 v6, null, 0, v6, s0
	v_cmp_gt_i64_e64 s0, s[28:29], v[5:6]
	s_and_saveexec_b32 s2, s0
	s_cbranch_execz .LBB80_27
; %bb.26:
	v_add_co_u32 v5, s1, v0, v3
	v_add_co_ci_u32_e64 v6, null, v9, v4, s1
	flat_load_ushort v5, v[5:6] offset:32
	v_lshrrev_b32_e32 v6, 16, v7
	s_waitcnt vmcnt(0) lgkmcnt(0)
	v_mul_f16_e32 v7, s20, v5
	v_add_co_u32 v5, s1, v10, v3
	v_fmac_f16_e32 v7, s3, v6
	v_add_co_ci_u32_e64 v6, null, v11, v4, s1
	flat_store_short v[5:6], v7 offset:32
.LBB80_27:
	s_or_b32 exec_lo, exec_lo, s2
	v_add_co_u32 v1, s1, v1, 16
	v_add_co_ci_u32_e64 v2, null, 0, v2, s1
	v_cmp_gt_i64_e64 s1, s[30:31], v[1:2]
	s_and_b32 exec_lo, exec_lo, s1
	s_cbranch_execz .LBB80_20
; %bb.28:
	s_lshl_b64 s[4:5], s[14:15], 5
	v_add_co_u32 v0, s1, v0, s4
	v_add_co_ci_u32_e64 v1, null, s5, v9, s1
	s_lshl_b64 s[4:5], s[8:9], 5
	v_add_co_u32 v2, s1, v10, s4
	v_add_co_ci_u32_e64 v7, null, s5, v11, s1
	v_add_co_u32 v5, s1, v0, v3
	v_add_co_ci_u32_e64 v6, null, v1, v4, s1
	;; [unrolled: 2-line block ×3, first 2 shown]
	s_and_saveexec_b32 s1, vcc_lo
	s_cbranch_execz .LBB80_30
; %bb.29:
	flat_load_ushort v2, v[5:6]
	s_waitcnt vmcnt(0) lgkmcnt(0)
	v_mul_f16_e32 v2, s20, v2
	v_fmac_f16_e32 v2, s3, v8
	flat_store_short v[0:1], v2
.LBB80_30:
	s_or_b32 exec_lo, exec_lo, s1
	s_and_b32 exec_lo, exec_lo, s0
	s_cbranch_execz .LBB80_20
; %bb.31:
	flat_load_ushort v2, v[5:6] offset:32
	v_lshrrev_b32_e32 v3, 16, v8
	s_waitcnt vmcnt(0) lgkmcnt(0)
	v_mul_f16_e32 v2, s20, v2
	v_fmac_f16_e32 v2, s3, v3
	flat_store_short v[0:1], v2 offset:32
	s_endpgm
	.section	.rodata,"a",@progbits
	.p2align	6, 0x0
	.amdhsa_kernel _ZN12_GLOBAL__N_135rocblas_gemm_batched_general_kernelIDF16_Li16ELi16ELi32ELi32ELi8ELi32ELi8ELi8ELi32ELc67ELc78EKPKDF16_S3_KPDF16_EEvlllT_PT11_llS8_llS6_PT12_llPT13_lli
		.amdhsa_group_segment_fixed_size 1024
		.amdhsa_private_segment_fixed_size 0
		.amdhsa_kernarg_size 140
		.amdhsa_user_sgpr_count 6
		.amdhsa_user_sgpr_private_segment_buffer 1
		.amdhsa_user_sgpr_dispatch_ptr 0
		.amdhsa_user_sgpr_queue_ptr 0
		.amdhsa_user_sgpr_kernarg_segment_ptr 1
		.amdhsa_user_sgpr_dispatch_id 0
		.amdhsa_user_sgpr_flat_scratch_init 0
		.amdhsa_user_sgpr_private_segment_size 0
		.amdhsa_wavefront_size32 1
		.amdhsa_uses_dynamic_stack 0
		.amdhsa_system_sgpr_private_segment_wavefront_offset 0
		.amdhsa_system_sgpr_workgroup_id_x 1
		.amdhsa_system_sgpr_workgroup_id_y 1
		.amdhsa_system_sgpr_workgroup_id_z 1
		.amdhsa_system_sgpr_workgroup_info 0
		.amdhsa_system_vgpr_workitem_id 1
		.amdhsa_next_free_vgpr 30
		.amdhsa_next_free_sgpr 40
		.amdhsa_reserve_vcc 1
		.amdhsa_reserve_flat_scratch 0
		.amdhsa_float_round_mode_32 0
		.amdhsa_float_round_mode_16_64 0
		.amdhsa_float_denorm_mode_32 3
		.amdhsa_float_denorm_mode_16_64 3
		.amdhsa_dx10_clamp 1
		.amdhsa_ieee_mode 1
		.amdhsa_fp16_overflow 0
		.amdhsa_workgroup_processor_mode 1
		.amdhsa_memory_ordered 1
		.amdhsa_forward_progress 1
		.amdhsa_shared_vgpr_count 0
		.amdhsa_exception_fp_ieee_invalid_op 0
		.amdhsa_exception_fp_denorm_src 0
		.amdhsa_exception_fp_ieee_div_zero 0
		.amdhsa_exception_fp_ieee_overflow 0
		.amdhsa_exception_fp_ieee_underflow 0
		.amdhsa_exception_fp_ieee_inexact 0
		.amdhsa_exception_int_div_zero 0
	.end_amdhsa_kernel
	.section	.text._ZN12_GLOBAL__N_135rocblas_gemm_batched_general_kernelIDF16_Li16ELi16ELi32ELi32ELi8ELi32ELi8ELi8ELi32ELc67ELc78EKPKDF16_S3_KPDF16_EEvlllT_PT11_llS8_llS6_PT12_llPT13_lli,"axG",@progbits,_ZN12_GLOBAL__N_135rocblas_gemm_batched_general_kernelIDF16_Li16ELi16ELi32ELi32ELi8ELi32ELi8ELi8ELi32ELc67ELc78EKPKDF16_S3_KPDF16_EEvlllT_PT11_llS8_llS6_PT12_llPT13_lli,comdat
.Lfunc_end80:
	.size	_ZN12_GLOBAL__N_135rocblas_gemm_batched_general_kernelIDF16_Li16ELi16ELi32ELi32ELi8ELi32ELi8ELi8ELi32ELc67ELc78EKPKDF16_S3_KPDF16_EEvlllT_PT11_llS8_llS6_PT12_llPT13_lli, .Lfunc_end80-_ZN12_GLOBAL__N_135rocblas_gemm_batched_general_kernelIDF16_Li16ELi16ELi32ELi32ELi8ELi32ELi8ELi8ELi32ELc67ELc78EKPKDF16_S3_KPDF16_EEvlllT_PT11_llS8_llS6_PT12_llPT13_lli
                                        ; -- End function
	.set _ZN12_GLOBAL__N_135rocblas_gemm_batched_general_kernelIDF16_Li16ELi16ELi32ELi32ELi8ELi32ELi8ELi8ELi32ELc67ELc78EKPKDF16_S3_KPDF16_EEvlllT_PT11_llS8_llS6_PT12_llPT13_lli.num_vgpr, 30
	.set _ZN12_GLOBAL__N_135rocblas_gemm_batched_general_kernelIDF16_Li16ELi16ELi32ELi32ELi8ELi32ELi8ELi8ELi32ELc67ELc78EKPKDF16_S3_KPDF16_EEvlllT_PT11_llS8_llS6_PT12_llPT13_lli.num_agpr, 0
	.set _ZN12_GLOBAL__N_135rocblas_gemm_batched_general_kernelIDF16_Li16ELi16ELi32ELi32ELi8ELi32ELi8ELi8ELi32ELc67ELc78EKPKDF16_S3_KPDF16_EEvlllT_PT11_llS8_llS6_PT12_llPT13_lli.numbered_sgpr, 40
	.set _ZN12_GLOBAL__N_135rocblas_gemm_batched_general_kernelIDF16_Li16ELi16ELi32ELi32ELi8ELi32ELi8ELi8ELi32ELc67ELc78EKPKDF16_S3_KPDF16_EEvlllT_PT11_llS8_llS6_PT12_llPT13_lli.num_named_barrier, 0
	.set _ZN12_GLOBAL__N_135rocblas_gemm_batched_general_kernelIDF16_Li16ELi16ELi32ELi32ELi8ELi32ELi8ELi8ELi32ELc67ELc78EKPKDF16_S3_KPDF16_EEvlllT_PT11_llS8_llS6_PT12_llPT13_lli.private_seg_size, 0
	.set _ZN12_GLOBAL__N_135rocblas_gemm_batched_general_kernelIDF16_Li16ELi16ELi32ELi32ELi8ELi32ELi8ELi8ELi32ELc67ELc78EKPKDF16_S3_KPDF16_EEvlllT_PT11_llS8_llS6_PT12_llPT13_lli.uses_vcc, 1
	.set _ZN12_GLOBAL__N_135rocblas_gemm_batched_general_kernelIDF16_Li16ELi16ELi32ELi32ELi8ELi32ELi8ELi8ELi32ELc67ELc78EKPKDF16_S3_KPDF16_EEvlllT_PT11_llS8_llS6_PT12_llPT13_lli.uses_flat_scratch, 0
	.set _ZN12_GLOBAL__N_135rocblas_gemm_batched_general_kernelIDF16_Li16ELi16ELi32ELi32ELi8ELi32ELi8ELi8ELi32ELc67ELc78EKPKDF16_S3_KPDF16_EEvlllT_PT11_llS8_llS6_PT12_llPT13_lli.has_dyn_sized_stack, 0
	.set _ZN12_GLOBAL__N_135rocblas_gemm_batched_general_kernelIDF16_Li16ELi16ELi32ELi32ELi8ELi32ELi8ELi8ELi32ELc67ELc78EKPKDF16_S3_KPDF16_EEvlllT_PT11_llS8_llS6_PT12_llPT13_lli.has_recursion, 0
	.set _ZN12_GLOBAL__N_135rocblas_gemm_batched_general_kernelIDF16_Li16ELi16ELi32ELi32ELi8ELi32ELi8ELi8ELi32ELc67ELc78EKPKDF16_S3_KPDF16_EEvlllT_PT11_llS8_llS6_PT12_llPT13_lli.has_indirect_call, 0
	.section	.AMDGPU.csdata,"",@progbits
; Kernel info:
; codeLenInByte = 1948
; TotalNumSgprs: 42
; NumVgprs: 30
; ScratchSize: 0
; MemoryBound: 0
; FloatMode: 240
; IeeeMode: 1
; LDSByteSize: 1024 bytes/workgroup (compile time only)
; SGPRBlocks: 0
; VGPRBlocks: 3
; NumSGPRsForWavesPerEU: 42
; NumVGPRsForWavesPerEU: 30
; Occupancy: 16
; WaveLimiterHint : 1
; COMPUTE_PGM_RSRC2:SCRATCH_EN: 0
; COMPUTE_PGM_RSRC2:USER_SGPR: 6
; COMPUTE_PGM_RSRC2:TRAP_HANDLER: 0
; COMPUTE_PGM_RSRC2:TGID_X_EN: 1
; COMPUTE_PGM_RSRC2:TGID_Y_EN: 1
; COMPUTE_PGM_RSRC2:TGID_Z_EN: 1
; COMPUTE_PGM_RSRC2:TIDIG_COMP_CNT: 1
	.section	.text._ZN12_GLOBAL__N_135rocblas_gemm_batched_general_kernelIDF16_Li16ELi16ELi32ELi32ELi8ELi32ELi8ELi8ELi32ELc67ELc84EKPKDF16_S3_KPDF16_EEvlllT_PT11_llS8_llS6_PT12_llPT13_lli,"axG",@progbits,_ZN12_GLOBAL__N_135rocblas_gemm_batched_general_kernelIDF16_Li16ELi16ELi32ELi32ELi8ELi32ELi8ELi8ELi32ELc67ELc84EKPKDF16_S3_KPDF16_EEvlllT_PT11_llS8_llS6_PT12_llPT13_lli,comdat
	.globl	_ZN12_GLOBAL__N_135rocblas_gemm_batched_general_kernelIDF16_Li16ELi16ELi32ELi32ELi8ELi32ELi8ELi8ELi32ELc67ELc84EKPKDF16_S3_KPDF16_EEvlllT_PT11_llS8_llS6_PT12_llPT13_lli ; -- Begin function _ZN12_GLOBAL__N_135rocblas_gemm_batched_general_kernelIDF16_Li16ELi16ELi32ELi32ELi8ELi32ELi8ELi8ELi32ELc67ELc84EKPKDF16_S3_KPDF16_EEvlllT_PT11_llS8_llS6_PT12_llPT13_lli
	.p2align	8
	.type	_ZN12_GLOBAL__N_135rocblas_gemm_batched_general_kernelIDF16_Li16ELi16ELi32ELi32ELi8ELi32ELi8ELi8ELi32ELc67ELc84EKPKDF16_S3_KPDF16_EEvlllT_PT11_llS8_llS6_PT12_llPT13_lli,@function
_ZN12_GLOBAL__N_135rocblas_gemm_batched_general_kernelIDF16_Li16ELi16ELi32ELi32ELi8ELi32ELi8ELi8ELi32ELc67ELc84EKPKDF16_S3_KPDF16_EEvlllT_PT11_llS8_llS6_PT12_llPT13_lli: ; @_ZN12_GLOBAL__N_135rocblas_gemm_batched_general_kernelIDF16_Li16ELi16ELi32ELi32ELi8ELi32ELi8ELi8ELi32ELc67ELc84EKPKDF16_S3_KPDF16_EEvlllT_PT11_llS8_llS6_PT12_llPT13_lli
; %bb.0:
	s_clause 0x1
	s_load_dwordx8 s[12:19], s[4:5], 0x58
	s_load_dwordx2 s[34:35], s[4:5], 0x10
	s_mov_b32 s9, 0
	s_load_dwordx4 s[28:31], s[4:5], 0x0
	s_lshl_b64 s[42:43], s[8:9], 3
	s_load_dwordx4 s[8:11], s[4:5], 0x78
	s_mov_b32 s40, s7
	v_mov_b32_e32 v7, 0
	s_waitcnt lgkmcnt(0)
	s_add_u32 s0, s12, s42
	s_addc_u32 s1, s13, s43
	s_add_u32 s2, s18, s42
	s_addc_u32 s3, s19, s43
	s_load_dwordx2 s[12:13], s[0:1], 0x0
	s_load_dwordx2 s[2:3], s[2:3], 0x0
	v_cmp_lt_i64_e64 s0, s[34:35], 1
	s_ashr_i32 s7, s6, 31
	s_ashr_i32 s41, s40, 31
	s_lshl_b64 s[6:7], s[6:7], 5
	s_lshl_b64 s[18:19], s[40:41], 5
	s_and_b32 vcc_lo, exec_lo, s0
	s_cbranch_vccnz .LBB81_7
; %bb.1:
	s_load_dwordx4 s[36:39], s[4:5], 0x40
	v_lshlrev_b32_e32 v2, 4, v1
	v_and_b32_e32 v6, 7, v0
	s_load_dwordx8 s[20:27], s[4:5], 0x20
	v_mov_b32_e32 v3, s7
	v_lshlrev_b32_e32 v9, 1, v0
	v_add_nc_u32_e32 v4, v2, v0
	v_add_nc_u32_e32 v10, 0x200, v2
	v_lshlrev_b32_e32 v8, 1, v6
	v_and_b32_e32 v12, 31, v4
	v_lshrrev_b32_e32 v16, 3, v4
	v_lshrrev_b32_e32 v11, 5, v4
	v_or_b32_e32 v2, s6, v12
	v_add_co_u32 v4, s0, v16, s18
	v_add_co_ci_u32_e64 v5, null, 0, s19, s0
	s_waitcnt lgkmcnt(0)
	v_mad_u64_u32 v[14:15], null, s36, v6, 0
	v_add_co_u32 v17, s0, s6, v12
	v_add_co_ci_u32_e64 v18, null, s7, 0, s0
	v_cmp_gt_i64_e64 s0, s[28:29], v[2:3]
	v_lshlrev_b32_e32 v13, 1, v12
	v_mov_b32_e32 v2, v15
	v_lshl_or_b32 v8, v16, 4, v8
	v_cmp_gt_i64_e64 s1, s[30:31], v[4:5]
	v_mul_lo_u32 v5, s23, v17
	v_lshl_or_b32 v12, v11, 6, v13
	v_mad_u64_u32 v[2:3], null, s37, v6, v[2:3]
	v_add_nc_u32_e32 v13, 0x200, v8
	v_mul_lo_u32 v8, s22, v18
	v_mad_u64_u32 v[3:4], null, s22, v17, 0
	s_add_u32 s26, s26, s42
	s_addc_u32 s27, s27, s43
	s_add_u32 s20, s20, s42
	v_mov_b32_e32 v15, v2
	s_load_dwordx2 s[22:23], s[26:27], 0x0
	s_addc_u32 s21, s21, s43
	v_add3_u32 v4, v4, v8, v5
	s_load_dwordx2 s[20:21], s[20:21], 0x0
	v_lshlrev_b64 v[14:15], 1, v[14:15]
	s_lshl_b64 s[26:27], s[40:41], 6
	s_lshl_b64 s[38:39], s[38:39], 1
	v_lshlrev_b64 v[2:3], 1, v[3:4]
	s_add_u32 s26, s38, s26
	s_addc_u32 s27, s39, s27
	v_add_co_u32 v4, vcc_lo, s26, v14
	v_lshlrev_b32_e32 v8, 1, v16
	s_lshl_b64 s[24:25], s[24:25], 1
	v_add_co_ci_u32_e64 v5, null, s27, v15, vcc_lo
	v_add_co_u32 v2, vcc_lo, v2, s24
	v_lshlrev_b32_e32 v14, 1, v11
	v_add_co_ci_u32_e64 v3, null, s25, v3, vcc_lo
	v_add_co_u32 v4, vcc_lo, v4, v8
	v_add_co_ci_u32_e64 v5, null, 0, v5, vcc_lo
	v_add_co_u32 v8, vcc_lo, v2, v14
	v_add_co_ci_u32_e64 v14, null, 0, v3, vcc_lo
	s_waitcnt lgkmcnt(0)
	v_add_co_u32 v2, vcc_lo, s22, v4
	v_add_co_ci_u32_e64 v3, null, s23, v5, vcc_lo
	v_add_co_u32 v4, vcc_lo, s20, v8
	v_add_co_ci_u32_e64 v5, null, s21, v14, vcc_lo
	v_mov_b32_e32 v8, 0
	s_lshl_b64 s[20:21], s[36:37], 4
	s_mov_b64 s[22:23], 0
	s_branch .LBB81_3
.LBB81_2:                               ;   in Loop: Header=BB81_3 Depth=1
	s_or_b32 exec_lo, exec_lo, s24
	s_waitcnt vmcnt(0) lgkmcnt(0)
	ds_write_b16 v13, v14
	s_waitcnt lgkmcnt(0)
	s_barrier
	buffer_gl0_inv
	ds_read_u16 v22, v9
	ds_read_u16 v23, v9 offset:64
	ds_read_u16 v24, v9 offset:128
	;; [unrolled: 1-line block ×7, first 2 shown]
	s_add_u32 s22, s22, 8
	s_addc_u32 s23, s23, 0
	v_add_co_u32 v2, vcc_lo, v2, s20
	v_cmp_lt_i64_e64 s24, s[22:23], s[34:35]
	v_add_co_ci_u32_e64 v3, null, s21, v3, vcc_lo
	v_add_co_u32 v4, vcc_lo, v4, 16
	v_add_co_ci_u32_e64 v5, null, 0, v5, vcc_lo
	s_and_b32 vcc_lo, exec_lo, s24
	s_waitcnt lgkmcnt(7)
	ds_read_u16_d16_hi v22, v9 offset:32
	ds_read_b128 v[14:17], v10
	ds_read_b128 v[18:21], v10 offset:256
	s_waitcnt lgkmcnt(9)
	ds_read_u16_d16_hi v23, v9 offset:96
	s_waitcnt lgkmcnt(9)
	ds_read_u16_d16_hi v24, v9 offset:160
	;; [unrolled: 2-line block ×7, first 2 shown]
	s_waitcnt lgkmcnt(0)
	s_barrier
	buffer_gl0_inv
	v_pk_fma_f16 v7, v22, v14, v7 op_sel_hi:[1,0,1]
	v_pk_fma_f16 v8, v22, v18, v8 op_sel_hi:[1,0,1]
	v_pk_fma_f16 v7, v23, v14, v7 op_sel:[0,1,0]
	v_pk_fma_f16 v8, v23, v18, v8 op_sel:[0,1,0]
	v_pk_fma_f16 v7, v24, v15, v7 op_sel_hi:[1,0,1]
	v_pk_fma_f16 v8, v24, v19, v8 op_sel_hi:[1,0,1]
	v_pk_fma_f16 v7, v25, v15, v7 op_sel:[0,1,0]
	v_pk_fma_f16 v8, v25, v19, v8 op_sel:[0,1,0]
	;; [unrolled: 4-line block ×4, first 2 shown]
	s_cbranch_vccz .LBB81_8
.LBB81_3:                               ; =>This Inner Loop Header: Depth=1
	v_add_co_u32 v14, s24, v11, s22
	v_add_co_ci_u32_e64 v15, null, 0, s23, s24
	v_cmp_gt_i64_e32 vcc_lo, s[34:35], v[14:15]
	v_mov_b32_e32 v14, 0
	v_mov_b32_e32 v15, 0
	s_and_b32 s25, s0, vcc_lo
	s_and_saveexec_b32 s24, s25
	s_cbranch_execz .LBB81_5
; %bb.4:                                ;   in Loop: Header=BB81_3 Depth=1
	flat_load_ushort v15, v[4:5]
.LBB81_5:                               ;   in Loop: Header=BB81_3 Depth=1
	s_or_b32 exec_lo, exec_lo, s24
	v_add_co_u32 v16, s24, v6, s22
	v_add_co_ci_u32_e64 v17, null, 0, s23, s24
	s_waitcnt vmcnt(0) lgkmcnt(0)
	ds_write_b16 v12, v15
	v_cmp_gt_i64_e32 vcc_lo, s[34:35], v[16:17]
	s_and_b32 s25, vcc_lo, s1
	s_and_saveexec_b32 s24, s25
	s_cbranch_execz .LBB81_2
; %bb.6:                                ;   in Loop: Header=BB81_3 Depth=1
	flat_load_ushort v14, v[2:3]
	s_branch .LBB81_2
.LBB81_7:
	v_mov_b32_e32 v8, 0
.LBB81_8:
	s_clause 0x1
	s_load_dword s20, s[4:5], 0x50
	s_load_dword s4, s[4:5], 0x18
	v_add_co_u32 v1, s5, s18, v1
	v_add_co_ci_u32_e64 v2, null, s19, 0, s5
	s_lshl_b64 s[0:1], s[10:11], 1
	s_waitcnt lgkmcnt(0)
	s_add_u32 s5, s2, s0
	v_cmp_gt_i64_e64 s0, s[30:31], v[1:2]
	s_addc_u32 s3, s3, s1
	v_cmp_neq_f16_e64 s10, s20, 0
	s_and_b32 vcc_lo, exec_lo, s10
	s_cbranch_vccnz .LBB81_21
; %bb.9:
	s_and_saveexec_b32 s10, s0
	s_cbranch_execz .LBB81_19
; %bb.10:
	v_mul_lo_u32 v5, v2, s8
	v_mul_lo_u32 v6, v1, s9
	v_mad_u64_u32 v[3:4], null, v1, s8, 0
	v_add3_u32 v4, v4, v6, v5
	v_add_co_u32 v5, s1, s6, v0
	v_add_co_ci_u32_e64 v6, null, s7, 0, s1
	v_lshlrev_b64 v[9:10], 1, v[3:4]
	v_cmp_gt_i64_e32 vcc_lo, s[28:29], v[5:6]
	v_lshlrev_b64 v[3:4], 1, v[5:6]
	v_add_co_u32 v9, s1, s5, v9
	v_add_co_ci_u32_e64 v10, null, s3, v10, s1
	s_and_saveexec_b32 s2, vcc_lo
	s_cbranch_execz .LBB81_12
; %bb.11:
	v_add_co_u32 v11, s1, v9, v3
	v_add_co_ci_u32_e64 v12, null, v10, v4, s1
	v_mul_f16_e32 v13, s4, v7
	flat_store_short v[11:12], v13
.LBB81_12:
	s_or_b32 exec_lo, exec_lo, s2
	v_add_co_u32 v5, s1, v5, 16
	v_add_co_ci_u32_e64 v6, null, 0, v6, s1
	v_cmp_gt_i64_e64 s1, s[28:29], v[5:6]
	s_and_saveexec_b32 s11, s1
	s_cbranch_execz .LBB81_14
; %bb.13:
	v_add_co_u32 v5, s2, v9, v3
	v_add_co_ci_u32_e64 v6, null, v10, v4, s2
	v_mul_f16_sdwa v11, s4, v7 dst_sel:DWORD dst_unused:UNUSED_PAD src0_sel:DWORD src1_sel:WORD_1
	flat_store_short v[5:6], v11 offset:32
.LBB81_14:
	s_or_b32 exec_lo, exec_lo, s11
	v_add_co_u32 v5, s2, v1, 16
	v_add_co_ci_u32_e64 v6, null, 0, v2, s2
	v_cmp_gt_i64_e64 s2, s[30:31], v[5:6]
	s_and_b32 exec_lo, exec_lo, s2
	s_cbranch_execz .LBB81_19
; %bb.15:
	s_lshl_b64 s[18:19], s[8:9], 5
	v_add_co_u32 v5, s2, v9, s18
	v_add_co_ci_u32_e64 v6, null, s19, v10, s2
	v_add_co_u32 v3, s2, v5, v3
	v_add_co_ci_u32_e64 v4, null, v6, v4, s2
	s_and_saveexec_b32 s2, vcc_lo
	s_cbranch_execz .LBB81_17
; %bb.16:
	v_mul_f16_e32 v5, s4, v8
	flat_store_short v[3:4], v5
.LBB81_17:
	s_or_b32 exec_lo, exec_lo, s2
	s_and_b32 exec_lo, exec_lo, s1
	s_cbranch_execz .LBB81_19
; %bb.18:
	v_mul_f16_sdwa v5, s4, v8 dst_sel:DWORD dst_unused:UNUSED_PAD src0_sel:DWORD src1_sel:WORD_1
	flat_store_short v[3:4], v5 offset:32
.LBB81_19:
	s_or_b32 exec_lo, exec_lo, s10
	s_cbranch_execz .LBB81_22
.LBB81_20:
	s_endpgm
.LBB81_21:
.LBB81_22:
	s_and_saveexec_b32 s1, s0
	s_cbranch_execz .LBB81_20
; %bb.23:
	v_mul_lo_u32 v5, v2, s14
	v_mul_lo_u32 v6, v1, s15
	v_mad_u64_u32 v[3:4], null, v1, s14, 0
	v_mul_lo_u32 v11, v2, s8
	v_mul_lo_u32 v12, v1, s9
	v_mad_u64_u32 v[9:10], null, v1, s8, 0
	s_lshl_b64 s[0:1], s[16:17], 1
	v_add3_u32 v4, v4, v6, v5
	v_add_co_u32 v5, s2, s6, v0
	v_add_co_ci_u32_e64 v6, null, s7, 0, s2
	v_add3_u32 v10, v10, v12, v11
	v_lshlrev_b64 v[3:4], 1, v[3:4]
	s_add_u32 s0, s12, s0
	s_addc_u32 s1, s13, s1
	v_cmp_gt_i64_e32 vcc_lo, s[28:29], v[5:6]
	v_lshlrev_b64 v[10:11], 1, v[9:10]
	v_add_co_u32 v0, s0, s0, v3
	v_add_co_ci_u32_e64 v9, null, s1, v4, s0
	v_add_co_u32 v10, s0, s5, v10
	v_lshlrev_b64 v[3:4], 1, v[5:6]
	v_add_co_ci_u32_e64 v11, null, s3, v11, s0
	s_and_saveexec_b32 s1, vcc_lo
	s_cbranch_execz .LBB81_25
; %bb.24:
	v_add_co_u32 v12, s0, v0, v3
	v_add_co_ci_u32_e64 v13, null, v9, v4, s0
	flat_load_ushort v12, v[12:13]
	s_waitcnt vmcnt(0) lgkmcnt(0)
	v_mul_f16_e32 v14, s20, v12
	v_add_co_u32 v12, s0, v10, v3
	v_add_co_ci_u32_e64 v13, null, v11, v4, s0
	v_fmac_f16_e32 v14, s4, v7
	flat_store_short v[12:13], v14
.LBB81_25:
	s_or_b32 exec_lo, exec_lo, s1
	v_add_co_u32 v5, s0, v5, 16
	v_add_co_ci_u32_e64 v6, null, 0, v6, s0
	v_cmp_gt_i64_e64 s0, s[28:29], v[5:6]
	s_and_saveexec_b32 s2, s0
	s_cbranch_execz .LBB81_27
; %bb.26:
	v_add_co_u32 v5, s1, v0, v3
	v_add_co_ci_u32_e64 v6, null, v9, v4, s1
	flat_load_ushort v5, v[5:6] offset:32
	v_lshrrev_b32_e32 v6, 16, v7
	s_waitcnt vmcnt(0) lgkmcnt(0)
	v_mul_f16_e32 v7, s20, v5
	v_add_co_u32 v5, s1, v10, v3
	v_fmac_f16_e32 v7, s4, v6
	v_add_co_ci_u32_e64 v6, null, v11, v4, s1
	flat_store_short v[5:6], v7 offset:32
.LBB81_27:
	s_or_b32 exec_lo, exec_lo, s2
	v_add_co_u32 v1, s1, v1, 16
	v_add_co_ci_u32_e64 v2, null, 0, v2, s1
	v_cmp_gt_i64_e64 s1, s[30:31], v[1:2]
	s_and_b32 exec_lo, exec_lo, s1
	s_cbranch_execz .LBB81_20
; %bb.28:
	s_lshl_b64 s[2:3], s[14:15], 5
	v_add_co_u32 v0, s1, v0, s2
	v_add_co_ci_u32_e64 v1, null, s3, v9, s1
	s_lshl_b64 s[2:3], s[8:9], 5
	v_add_co_u32 v2, s1, v10, s2
	v_add_co_ci_u32_e64 v7, null, s3, v11, s1
	v_add_co_u32 v5, s1, v0, v3
	v_add_co_ci_u32_e64 v6, null, v1, v4, s1
	;; [unrolled: 2-line block ×3, first 2 shown]
	s_and_saveexec_b32 s1, vcc_lo
	s_cbranch_execz .LBB81_30
; %bb.29:
	flat_load_ushort v2, v[5:6]
	s_waitcnt vmcnt(0) lgkmcnt(0)
	v_mul_f16_e32 v2, s20, v2
	v_fmac_f16_e32 v2, s4, v8
	flat_store_short v[0:1], v2
.LBB81_30:
	s_or_b32 exec_lo, exec_lo, s1
	s_and_b32 exec_lo, exec_lo, s0
	s_cbranch_execz .LBB81_20
; %bb.31:
	flat_load_ushort v2, v[5:6] offset:32
	v_lshrrev_b32_e32 v3, 16, v8
	s_waitcnt vmcnt(0) lgkmcnt(0)
	v_mul_f16_e32 v2, s20, v2
	v_fmac_f16_e32 v2, s4, v3
	flat_store_short v[0:1], v2 offset:32
	s_endpgm
	.section	.rodata,"a",@progbits
	.p2align	6, 0x0
	.amdhsa_kernel _ZN12_GLOBAL__N_135rocblas_gemm_batched_general_kernelIDF16_Li16ELi16ELi32ELi32ELi8ELi32ELi8ELi8ELi32ELc67ELc84EKPKDF16_S3_KPDF16_EEvlllT_PT11_llS8_llS6_PT12_llPT13_lli
		.amdhsa_group_segment_fixed_size 1024
		.amdhsa_private_segment_fixed_size 0
		.amdhsa_kernarg_size 140
		.amdhsa_user_sgpr_count 6
		.amdhsa_user_sgpr_private_segment_buffer 1
		.amdhsa_user_sgpr_dispatch_ptr 0
		.amdhsa_user_sgpr_queue_ptr 0
		.amdhsa_user_sgpr_kernarg_segment_ptr 1
		.amdhsa_user_sgpr_dispatch_id 0
		.amdhsa_user_sgpr_flat_scratch_init 0
		.amdhsa_user_sgpr_private_segment_size 0
		.amdhsa_wavefront_size32 1
		.amdhsa_uses_dynamic_stack 0
		.amdhsa_system_sgpr_private_segment_wavefront_offset 0
		.amdhsa_system_sgpr_workgroup_id_x 1
		.amdhsa_system_sgpr_workgroup_id_y 1
		.amdhsa_system_sgpr_workgroup_id_z 1
		.amdhsa_system_sgpr_workgroup_info 0
		.amdhsa_system_vgpr_workitem_id 1
		.amdhsa_next_free_vgpr 30
		.amdhsa_next_free_sgpr 44
		.amdhsa_reserve_vcc 1
		.amdhsa_reserve_flat_scratch 0
		.amdhsa_float_round_mode_32 0
		.amdhsa_float_round_mode_16_64 0
		.amdhsa_float_denorm_mode_32 3
		.amdhsa_float_denorm_mode_16_64 3
		.amdhsa_dx10_clamp 1
		.amdhsa_ieee_mode 1
		.amdhsa_fp16_overflow 0
		.amdhsa_workgroup_processor_mode 1
		.amdhsa_memory_ordered 1
		.amdhsa_forward_progress 1
		.amdhsa_shared_vgpr_count 0
		.amdhsa_exception_fp_ieee_invalid_op 0
		.amdhsa_exception_fp_denorm_src 0
		.amdhsa_exception_fp_ieee_div_zero 0
		.amdhsa_exception_fp_ieee_overflow 0
		.amdhsa_exception_fp_ieee_underflow 0
		.amdhsa_exception_fp_ieee_inexact 0
		.amdhsa_exception_int_div_zero 0
	.end_amdhsa_kernel
	.section	.text._ZN12_GLOBAL__N_135rocblas_gemm_batched_general_kernelIDF16_Li16ELi16ELi32ELi32ELi8ELi32ELi8ELi8ELi32ELc67ELc84EKPKDF16_S3_KPDF16_EEvlllT_PT11_llS8_llS6_PT12_llPT13_lli,"axG",@progbits,_ZN12_GLOBAL__N_135rocblas_gemm_batched_general_kernelIDF16_Li16ELi16ELi32ELi32ELi8ELi32ELi8ELi8ELi32ELc67ELc84EKPKDF16_S3_KPDF16_EEvlllT_PT11_llS8_llS6_PT12_llPT13_lli,comdat
.Lfunc_end81:
	.size	_ZN12_GLOBAL__N_135rocblas_gemm_batched_general_kernelIDF16_Li16ELi16ELi32ELi32ELi8ELi32ELi8ELi8ELi32ELc67ELc84EKPKDF16_S3_KPDF16_EEvlllT_PT11_llS8_llS6_PT12_llPT13_lli, .Lfunc_end81-_ZN12_GLOBAL__N_135rocblas_gemm_batched_general_kernelIDF16_Li16ELi16ELi32ELi32ELi8ELi32ELi8ELi8ELi32ELc67ELc84EKPKDF16_S3_KPDF16_EEvlllT_PT11_llS8_llS6_PT12_llPT13_lli
                                        ; -- End function
	.set _ZN12_GLOBAL__N_135rocblas_gemm_batched_general_kernelIDF16_Li16ELi16ELi32ELi32ELi8ELi32ELi8ELi8ELi32ELc67ELc84EKPKDF16_S3_KPDF16_EEvlllT_PT11_llS8_llS6_PT12_llPT13_lli.num_vgpr, 30
	.set _ZN12_GLOBAL__N_135rocblas_gemm_batched_general_kernelIDF16_Li16ELi16ELi32ELi32ELi8ELi32ELi8ELi8ELi32ELc67ELc84EKPKDF16_S3_KPDF16_EEvlllT_PT11_llS8_llS6_PT12_llPT13_lli.num_agpr, 0
	.set _ZN12_GLOBAL__N_135rocblas_gemm_batched_general_kernelIDF16_Li16ELi16ELi32ELi32ELi8ELi32ELi8ELi8ELi32ELc67ELc84EKPKDF16_S3_KPDF16_EEvlllT_PT11_llS8_llS6_PT12_llPT13_lli.numbered_sgpr, 44
	.set _ZN12_GLOBAL__N_135rocblas_gemm_batched_general_kernelIDF16_Li16ELi16ELi32ELi32ELi8ELi32ELi8ELi8ELi32ELc67ELc84EKPKDF16_S3_KPDF16_EEvlllT_PT11_llS8_llS6_PT12_llPT13_lli.num_named_barrier, 0
	.set _ZN12_GLOBAL__N_135rocblas_gemm_batched_general_kernelIDF16_Li16ELi16ELi32ELi32ELi8ELi32ELi8ELi8ELi32ELc67ELc84EKPKDF16_S3_KPDF16_EEvlllT_PT11_llS8_llS6_PT12_llPT13_lli.private_seg_size, 0
	.set _ZN12_GLOBAL__N_135rocblas_gemm_batched_general_kernelIDF16_Li16ELi16ELi32ELi32ELi8ELi32ELi8ELi8ELi32ELc67ELc84EKPKDF16_S3_KPDF16_EEvlllT_PT11_llS8_llS6_PT12_llPT13_lli.uses_vcc, 1
	.set _ZN12_GLOBAL__N_135rocblas_gemm_batched_general_kernelIDF16_Li16ELi16ELi32ELi32ELi8ELi32ELi8ELi8ELi32ELc67ELc84EKPKDF16_S3_KPDF16_EEvlllT_PT11_llS8_llS6_PT12_llPT13_lli.uses_flat_scratch, 0
	.set _ZN12_GLOBAL__N_135rocblas_gemm_batched_general_kernelIDF16_Li16ELi16ELi32ELi32ELi8ELi32ELi8ELi8ELi32ELc67ELc84EKPKDF16_S3_KPDF16_EEvlllT_PT11_llS8_llS6_PT12_llPT13_lli.has_dyn_sized_stack, 0
	.set _ZN12_GLOBAL__N_135rocblas_gemm_batched_general_kernelIDF16_Li16ELi16ELi32ELi32ELi8ELi32ELi8ELi8ELi32ELc67ELc84EKPKDF16_S3_KPDF16_EEvlllT_PT11_llS8_llS6_PT12_llPT13_lli.has_recursion, 0
	.set _ZN12_GLOBAL__N_135rocblas_gemm_batched_general_kernelIDF16_Li16ELi16ELi32ELi32ELi8ELi32ELi8ELi8ELi32ELc67ELc84EKPKDF16_S3_KPDF16_EEvlllT_PT11_llS8_llS6_PT12_llPT13_lli.has_indirect_call, 0
	.section	.AMDGPU.csdata,"",@progbits
; Kernel info:
; codeLenInByte = 1956
; TotalNumSgprs: 46
; NumVgprs: 30
; ScratchSize: 0
; MemoryBound: 0
; FloatMode: 240
; IeeeMode: 1
; LDSByteSize: 1024 bytes/workgroup (compile time only)
; SGPRBlocks: 0
; VGPRBlocks: 3
; NumSGPRsForWavesPerEU: 46
; NumVGPRsForWavesPerEU: 30
; Occupancy: 16
; WaveLimiterHint : 1
; COMPUTE_PGM_RSRC2:SCRATCH_EN: 0
; COMPUTE_PGM_RSRC2:USER_SGPR: 6
; COMPUTE_PGM_RSRC2:TRAP_HANDLER: 0
; COMPUTE_PGM_RSRC2:TGID_X_EN: 1
; COMPUTE_PGM_RSRC2:TGID_Y_EN: 1
; COMPUTE_PGM_RSRC2:TGID_Z_EN: 1
; COMPUTE_PGM_RSRC2:TIDIG_COMP_CNT: 1
	.section	.text._ZN12_GLOBAL__N_135rocblas_gemm_batched_general_kernelIDF16_Li16ELi16ELi32ELi32ELi8ELi32ELi8ELi8ELi32ELc78ELc67EKPKDF16_S3_KPDF16_EEvlllT_PT11_llS8_llS6_PT12_llPT13_lli,"axG",@progbits,_ZN12_GLOBAL__N_135rocblas_gemm_batched_general_kernelIDF16_Li16ELi16ELi32ELi32ELi8ELi32ELi8ELi8ELi32ELc78ELc67EKPKDF16_S3_KPDF16_EEvlllT_PT11_llS8_llS6_PT12_llPT13_lli,comdat
	.globl	_ZN12_GLOBAL__N_135rocblas_gemm_batched_general_kernelIDF16_Li16ELi16ELi32ELi32ELi8ELi32ELi8ELi8ELi32ELc78ELc67EKPKDF16_S3_KPDF16_EEvlllT_PT11_llS8_llS6_PT12_llPT13_lli ; -- Begin function _ZN12_GLOBAL__N_135rocblas_gemm_batched_general_kernelIDF16_Li16ELi16ELi32ELi32ELi8ELi32ELi8ELi8ELi32ELc78ELc67EKPKDF16_S3_KPDF16_EEvlllT_PT11_llS8_llS6_PT12_llPT13_lli
	.p2align	8
	.type	_ZN12_GLOBAL__N_135rocblas_gemm_batched_general_kernelIDF16_Li16ELi16ELi32ELi32ELi8ELi32ELi8ELi8ELi32ELc78ELc67EKPKDF16_S3_KPDF16_EEvlllT_PT11_llS8_llS6_PT12_llPT13_lli,@function
_ZN12_GLOBAL__N_135rocblas_gemm_batched_general_kernelIDF16_Li16ELi16ELi32ELi32ELi8ELi32ELi8ELi8ELi32ELc78ELc67EKPKDF16_S3_KPDF16_EEvlllT_PT11_llS8_llS6_PT12_llPT13_lli: ; @_ZN12_GLOBAL__N_135rocblas_gemm_batched_general_kernelIDF16_Li16ELi16ELi32ELi32ELi8ELi32ELi8ELi8ELi32ELc78ELc67EKPKDF16_S3_KPDF16_EEvlllT_PT11_llS8_llS6_PT12_llPT13_lli
; %bb.0:
	s_clause 0x1
	s_load_dwordx8 s[12:19], s[4:5], 0x58
	s_load_dwordx2 s[34:35], s[4:5], 0x10
	s_mov_b32 s9, 0
	s_load_dwordx4 s[28:31], s[4:5], 0x0
	s_lshl_b64 s[44:45], s[8:9], 3
	s_load_dwordx4 s[8:11], s[4:5], 0x78
	s_mov_b32 s42, s7
	v_mov_b32_e32 v7, 0
	s_waitcnt lgkmcnt(0)
	s_add_u32 s0, s12, s44
	s_addc_u32 s1, s13, s45
	s_add_u32 s2, s18, s44
	s_addc_u32 s3, s19, s45
	s_load_dwordx2 s[12:13], s[0:1], 0x0
	s_load_dwordx2 s[2:3], s[2:3], 0x0
	v_cmp_lt_i64_e64 s0, s[34:35], 1
	s_ashr_i32 s7, s6, 31
	s_ashr_i32 s43, s42, 31
	s_lshl_b64 s[18:19], s[6:7], 5
	s_lshl_b64 s[40:41], s[42:43], 5
	s_and_b32 vcc_lo, exec_lo, s0
	s_cbranch_vccnz .LBB82_7
; %bb.1:
	s_clause 0x1
	s_load_dwordx4 s[36:39], s[4:5], 0x40
	s_load_dwordx8 s[20:27], s[4:5], 0x20
	v_lshlrev_b32_e32 v2, 4, v1
	v_and_b32_e32 v6, 7, v0
	v_mov_b32_e32 v3, s19
	v_lshlrev_b32_e32 v9, 1, v0
	v_add_nc_u32_e32 v4, v2, v0
	v_add_nc_u32_e32 v10, 0x200, v2
	v_lshlrev_b32_e32 v8, 1, v6
	v_lshrrev_b32_e32 v11, 5, v4
	v_and_b32_e32 v13, 31, v4
	v_lshrrev_b32_e32 v12, 3, v4
	v_or_b32_e32 v2, s18, v13
	v_add_co_u32 v4, s0, v12, s40
	s_waitcnt lgkmcnt(0)
	v_mad_u64_u32 v[14:15], null, s36, v6, 0
	v_mad_u64_u32 v[16:17], null, s22, v11, 0
	v_add_co_ci_u32_e64 v5, null, 0, s41, s0
	v_cmp_gt_i64_e64 s0, s[28:29], v[2:3]
	s_add_u32 s26, s26, s44
	v_mov_b32_e32 v2, v15
	v_cmp_gt_i64_e64 s1, s[30:31], v[4:5]
	v_mov_b32_e32 v3, v17
	s_addc_u32 s27, s27, s45
	s_add_u32 s20, s20, s44
	s_load_dwordx2 s[26:27], s[26:27], 0x0
	s_addc_u32 s21, s21, s45
	v_mad_u64_u32 v[4:5], null, s37, v6, v[2:3]
	s_load_dwordx2 s[20:21], s[20:21], 0x0
	s_lshl_b64 s[42:43], s[42:43], 6
	s_lshl_b64 s[38:39], s[38:39], 1
	v_lshlrev_b32_e32 v19, 1, v12
	s_add_u32 s33, s38, s42
	s_addc_u32 s42, s39, s43
	v_mad_u64_u32 v[2:3], null, s23, v11, v[3:4]
	v_mov_b32_e32 v15, v4
	s_lshl_b64 s[38:39], s[6:7], 6
	s_lshl_b64 s[24:25], s[24:25], 1
	;; [unrolled: 1-line block ×3, first 2 shown]
	s_add_u32 s24, s24, s38
	v_lshlrev_b32_e32 v18, 1, v13
	v_mov_b32_e32 v17, v2
	v_lshlrev_b64 v[2:3], 1, v[14:15]
	s_addc_u32 s25, s25, s39
	v_lshl_or_b32 v8, v12, 4, v8
	v_lshl_or_b32 v12, v11, 6, v18
	v_lshlrev_b64 v[4:5], 1, v[16:17]
	v_add_co_u32 v2, vcc_lo, s33, v2
	v_add_co_ci_u32_e64 v3, null, s42, v3, vcc_lo
	v_add_co_u32 v4, vcc_lo, s24, v4
	v_add_co_ci_u32_e64 v5, null, s25, v5, vcc_lo
	v_add_co_u32 v2, vcc_lo, v2, v19
	v_add_co_ci_u32_e64 v3, null, 0, v3, vcc_lo
	v_add_co_u32 v4, vcc_lo, v4, v18
	v_add_co_ci_u32_e64 v5, null, 0, v5, vcc_lo
	s_waitcnt lgkmcnt(0)
	v_add_co_u32 v2, vcc_lo, s26, v2
	v_add_co_ci_u32_e64 v3, null, s27, v3, vcc_lo
	v_add_co_u32 v4, vcc_lo, s20, v4
	v_add_nc_u32_e32 v13, 0x200, v8
	v_add_co_ci_u32_e64 v5, null, s21, v5, vcc_lo
	v_mov_b32_e32 v8, 0
	s_lshl_b64 s[20:21], s[22:23], 4
	s_mov_b64 s[22:23], 0
	s_branch .LBB82_3
.LBB82_2:                               ;   in Loop: Header=BB82_3 Depth=1
	s_or_b32 exec_lo, exec_lo, s24
	s_waitcnt vmcnt(0) lgkmcnt(0)
	ds_write_b16 v13, v14
	s_waitcnt lgkmcnt(0)
	s_barrier
	buffer_gl0_inv
	ds_read_u16 v22, v9
	ds_read_u16 v23, v9 offset:64
	ds_read_u16 v24, v9 offset:128
	;; [unrolled: 1-line block ×7, first 2 shown]
	s_add_u32 s22, s22, 8
	s_addc_u32 s23, s23, 0
	v_add_co_u32 v2, vcc_lo, v2, s6
	v_cmp_lt_i64_e64 s24, s[22:23], s[34:35]
	v_add_co_ci_u32_e64 v3, null, s7, v3, vcc_lo
	v_add_co_u32 v4, vcc_lo, v4, s20
	v_add_co_ci_u32_e64 v5, null, s21, v5, vcc_lo
	s_and_b32 vcc_lo, exec_lo, s24
	s_waitcnt lgkmcnt(7)
	ds_read_u16_d16_hi v22, v9 offset:32
	ds_read_b128 v[14:17], v10
	ds_read_b128 v[18:21], v10 offset:256
	s_waitcnt lgkmcnt(9)
	ds_read_u16_d16_hi v23, v9 offset:96
	s_waitcnt lgkmcnt(9)
	ds_read_u16_d16_hi v24, v9 offset:160
	;; [unrolled: 2-line block ×7, first 2 shown]
	s_waitcnt lgkmcnt(0)
	s_barrier
	buffer_gl0_inv
	v_pk_fma_f16 v7, v22, v14, v7 op_sel_hi:[1,0,1]
	v_pk_fma_f16 v8, v22, v18, v8 op_sel_hi:[1,0,1]
	v_pk_fma_f16 v7, v23, v14, v7 op_sel:[0,1,0]
	v_pk_fma_f16 v8, v23, v18, v8 op_sel:[0,1,0]
	v_pk_fma_f16 v7, v24, v15, v7 op_sel_hi:[1,0,1]
	v_pk_fma_f16 v8, v24, v19, v8 op_sel_hi:[1,0,1]
	v_pk_fma_f16 v7, v25, v15, v7 op_sel:[0,1,0]
	v_pk_fma_f16 v8, v25, v19, v8 op_sel:[0,1,0]
	v_pk_fma_f16 v7, v26, v16, v7 op_sel_hi:[1,0,1]
	v_pk_fma_f16 v8, v26, v20, v8 op_sel_hi:[1,0,1]
	v_pk_fma_f16 v7, v27, v16, v7 op_sel:[0,1,0]
	v_pk_fma_f16 v8, v27, v20, v8 op_sel:[0,1,0]
	v_pk_fma_f16 v7, v28, v17, v7 op_sel_hi:[1,0,1]
	v_pk_fma_f16 v8, v28, v21, v8 op_sel_hi:[1,0,1]
	v_pk_fma_f16 v7, v29, v17, v7 op_sel:[0,1,0]
	v_pk_fma_f16 v8, v29, v21, v8 op_sel:[0,1,0]
	s_cbranch_vccz .LBB82_8
.LBB82_3:                               ; =>This Inner Loop Header: Depth=1
	v_add_co_u32 v14, s24, v11, s22
	v_add_co_ci_u32_e64 v15, null, 0, s23, s24
	v_cmp_gt_i64_e32 vcc_lo, s[34:35], v[14:15]
	v_mov_b32_e32 v14, 0
	v_mov_b32_e32 v15, 0
	s_and_b32 s25, s0, vcc_lo
	s_and_saveexec_b32 s24, s25
	s_cbranch_execz .LBB82_5
; %bb.4:                                ;   in Loop: Header=BB82_3 Depth=1
	flat_load_ushort v15, v[4:5]
.LBB82_5:                               ;   in Loop: Header=BB82_3 Depth=1
	s_or_b32 exec_lo, exec_lo, s24
	v_add_co_u32 v16, s24, v6, s22
	v_add_co_ci_u32_e64 v17, null, 0, s23, s24
	s_waitcnt vmcnt(0) lgkmcnt(0)
	ds_write_b16 v12, v15
	v_cmp_gt_i64_e32 vcc_lo, s[34:35], v[16:17]
	s_and_b32 s25, vcc_lo, s1
	s_and_saveexec_b32 s24, s25
	s_cbranch_execz .LBB82_2
; %bb.6:                                ;   in Loop: Header=BB82_3 Depth=1
	flat_load_ushort v14, v[2:3]
	s_branch .LBB82_2
.LBB82_7:
	v_mov_b32_e32 v8, 0
.LBB82_8:
	s_clause 0x1
	s_load_dword s6, s[4:5], 0x50
	s_load_dword s4, s[4:5], 0x18
	v_add_co_u32 v1, s5, s40, v1
	v_add_co_ci_u32_e64 v2, null, s41, 0, s5
	s_lshl_b64 s[0:1], s[10:11], 1
	s_waitcnt lgkmcnt(0)
	s_add_u32 s5, s2, s0
	v_cmp_gt_i64_e64 s0, s[30:31], v[1:2]
	s_addc_u32 s3, s3, s1
	v_cmp_neq_f16_e64 s7, s6, 0
	s_and_b32 vcc_lo, exec_lo, s7
	s_cbranch_vccnz .LBB82_21
; %bb.9:
	s_and_saveexec_b32 s7, s0
	s_cbranch_execz .LBB82_19
; %bb.10:
	v_mul_lo_u32 v5, v2, s8
	v_mul_lo_u32 v6, v1, s9
	v_mad_u64_u32 v[3:4], null, v1, s8, 0
	v_add3_u32 v4, v4, v6, v5
	v_add_co_u32 v5, s1, s18, v0
	v_add_co_ci_u32_e64 v6, null, s19, 0, s1
	v_lshlrev_b64 v[9:10], 1, v[3:4]
	v_cmp_gt_i64_e32 vcc_lo, s[28:29], v[5:6]
	v_lshlrev_b64 v[3:4], 1, v[5:6]
	v_add_co_u32 v9, s1, s5, v9
	v_add_co_ci_u32_e64 v10, null, s3, v10, s1
	s_and_saveexec_b32 s2, vcc_lo
	s_cbranch_execz .LBB82_12
; %bb.11:
	v_add_co_u32 v11, s1, v9, v3
	v_add_co_ci_u32_e64 v12, null, v10, v4, s1
	v_mul_f16_e32 v13, s4, v7
	flat_store_short v[11:12], v13
.LBB82_12:
	s_or_b32 exec_lo, exec_lo, s2
	v_add_co_u32 v5, s1, v5, 16
	v_add_co_ci_u32_e64 v6, null, 0, v6, s1
	v_cmp_gt_i64_e64 s1, s[28:29], v[5:6]
	s_and_saveexec_b32 s10, s1
	s_cbranch_execz .LBB82_14
; %bb.13:
	v_add_co_u32 v5, s2, v9, v3
	v_add_co_ci_u32_e64 v6, null, v10, v4, s2
	v_mul_f16_sdwa v11, s4, v7 dst_sel:DWORD dst_unused:UNUSED_PAD src0_sel:DWORD src1_sel:WORD_1
	flat_store_short v[5:6], v11 offset:32
.LBB82_14:
	s_or_b32 exec_lo, exec_lo, s10
	v_add_co_u32 v5, s2, v1, 16
	v_add_co_ci_u32_e64 v6, null, 0, v2, s2
	v_cmp_gt_i64_e64 s2, s[30:31], v[5:6]
	s_and_b32 exec_lo, exec_lo, s2
	s_cbranch_execz .LBB82_19
; %bb.15:
	s_lshl_b64 s[10:11], s[8:9], 5
	v_add_co_u32 v5, s2, v9, s10
	v_add_co_ci_u32_e64 v6, null, s11, v10, s2
	v_add_co_u32 v3, s2, v5, v3
	v_add_co_ci_u32_e64 v4, null, v6, v4, s2
	s_and_saveexec_b32 s2, vcc_lo
	s_cbranch_execz .LBB82_17
; %bb.16:
	v_mul_f16_e32 v5, s4, v8
	flat_store_short v[3:4], v5
.LBB82_17:
	s_or_b32 exec_lo, exec_lo, s2
	s_and_b32 exec_lo, exec_lo, s1
	s_cbranch_execz .LBB82_19
; %bb.18:
	v_mul_f16_sdwa v5, s4, v8 dst_sel:DWORD dst_unused:UNUSED_PAD src0_sel:DWORD src1_sel:WORD_1
	flat_store_short v[3:4], v5 offset:32
.LBB82_19:
	s_or_b32 exec_lo, exec_lo, s7
	s_cbranch_execz .LBB82_22
.LBB82_20:
	s_endpgm
.LBB82_21:
.LBB82_22:
	s_and_saveexec_b32 s1, s0
	s_cbranch_execz .LBB82_20
; %bb.23:
	v_mul_lo_u32 v5, v2, s14
	v_mul_lo_u32 v6, v1, s15
	v_mad_u64_u32 v[3:4], null, v1, s14, 0
	v_mul_lo_u32 v11, v2, s8
	v_mul_lo_u32 v12, v1, s9
	v_mad_u64_u32 v[9:10], null, v1, s8, 0
	s_lshl_b64 s[0:1], s[16:17], 1
	v_add3_u32 v4, v4, v6, v5
	v_add_co_u32 v5, s2, s18, v0
	v_add_co_ci_u32_e64 v6, null, s19, 0, s2
	v_add3_u32 v10, v10, v12, v11
	v_lshlrev_b64 v[3:4], 1, v[3:4]
	s_add_u32 s0, s12, s0
	s_addc_u32 s1, s13, s1
	v_cmp_gt_i64_e32 vcc_lo, s[28:29], v[5:6]
	v_lshlrev_b64 v[10:11], 1, v[9:10]
	v_add_co_u32 v0, s0, s0, v3
	v_add_co_ci_u32_e64 v9, null, s1, v4, s0
	v_add_co_u32 v10, s0, s5, v10
	v_lshlrev_b64 v[3:4], 1, v[5:6]
	v_add_co_ci_u32_e64 v11, null, s3, v11, s0
	s_and_saveexec_b32 s1, vcc_lo
	s_cbranch_execz .LBB82_25
; %bb.24:
	v_add_co_u32 v12, s0, v0, v3
	v_add_co_ci_u32_e64 v13, null, v9, v4, s0
	flat_load_ushort v12, v[12:13]
	s_waitcnt vmcnt(0) lgkmcnt(0)
	v_mul_f16_e32 v14, s6, v12
	v_add_co_u32 v12, s0, v10, v3
	v_add_co_ci_u32_e64 v13, null, v11, v4, s0
	v_fmac_f16_e32 v14, s4, v7
	flat_store_short v[12:13], v14
.LBB82_25:
	s_or_b32 exec_lo, exec_lo, s1
	v_add_co_u32 v5, s0, v5, 16
	v_add_co_ci_u32_e64 v6, null, 0, v6, s0
	v_cmp_gt_i64_e64 s0, s[28:29], v[5:6]
	s_and_saveexec_b32 s2, s0
	s_cbranch_execz .LBB82_27
; %bb.26:
	v_add_co_u32 v5, s1, v0, v3
	v_add_co_ci_u32_e64 v6, null, v9, v4, s1
	flat_load_ushort v5, v[5:6] offset:32
	v_lshrrev_b32_e32 v6, 16, v7
	s_waitcnt vmcnt(0) lgkmcnt(0)
	v_mul_f16_e32 v7, s6, v5
	v_add_co_u32 v5, s1, v10, v3
	v_fmac_f16_e32 v7, s4, v6
	v_add_co_ci_u32_e64 v6, null, v11, v4, s1
	flat_store_short v[5:6], v7 offset:32
.LBB82_27:
	s_or_b32 exec_lo, exec_lo, s2
	v_add_co_u32 v1, s1, v1, 16
	v_add_co_ci_u32_e64 v2, null, 0, v2, s1
	v_cmp_gt_i64_e64 s1, s[30:31], v[1:2]
	s_and_b32 exec_lo, exec_lo, s1
	s_cbranch_execz .LBB82_20
; %bb.28:
	s_lshl_b64 s[2:3], s[14:15], 5
	v_add_co_u32 v0, s1, v0, s2
	v_add_co_ci_u32_e64 v1, null, s3, v9, s1
	s_lshl_b64 s[2:3], s[8:9], 5
	v_add_co_u32 v2, s1, v10, s2
	v_add_co_ci_u32_e64 v7, null, s3, v11, s1
	v_add_co_u32 v5, s1, v0, v3
	v_add_co_ci_u32_e64 v6, null, v1, v4, s1
	;; [unrolled: 2-line block ×3, first 2 shown]
	s_and_saveexec_b32 s1, vcc_lo
	s_cbranch_execz .LBB82_30
; %bb.29:
	flat_load_ushort v2, v[5:6]
	s_waitcnt vmcnt(0) lgkmcnt(0)
	v_mul_f16_e32 v2, s6, v2
	v_fmac_f16_e32 v2, s4, v8
	flat_store_short v[0:1], v2
.LBB82_30:
	s_or_b32 exec_lo, exec_lo, s1
	s_and_b32 exec_lo, exec_lo, s0
	s_cbranch_execz .LBB82_20
; %bb.31:
	flat_load_ushort v2, v[5:6] offset:32
	v_lshrrev_b32_e32 v3, 16, v8
	s_waitcnt vmcnt(0) lgkmcnt(0)
	v_mul_f16_e32 v2, s6, v2
	v_fmac_f16_e32 v2, s4, v3
	flat_store_short v[0:1], v2 offset:32
	s_endpgm
	.section	.rodata,"a",@progbits
	.p2align	6, 0x0
	.amdhsa_kernel _ZN12_GLOBAL__N_135rocblas_gemm_batched_general_kernelIDF16_Li16ELi16ELi32ELi32ELi8ELi32ELi8ELi8ELi32ELc78ELc67EKPKDF16_S3_KPDF16_EEvlllT_PT11_llS8_llS6_PT12_llPT13_lli
		.amdhsa_group_segment_fixed_size 1024
		.amdhsa_private_segment_fixed_size 0
		.amdhsa_kernarg_size 140
		.amdhsa_user_sgpr_count 6
		.amdhsa_user_sgpr_private_segment_buffer 1
		.amdhsa_user_sgpr_dispatch_ptr 0
		.amdhsa_user_sgpr_queue_ptr 0
		.amdhsa_user_sgpr_kernarg_segment_ptr 1
		.amdhsa_user_sgpr_dispatch_id 0
		.amdhsa_user_sgpr_flat_scratch_init 0
		.amdhsa_user_sgpr_private_segment_size 0
		.amdhsa_wavefront_size32 1
		.amdhsa_uses_dynamic_stack 0
		.amdhsa_system_sgpr_private_segment_wavefront_offset 0
		.amdhsa_system_sgpr_workgroup_id_x 1
		.amdhsa_system_sgpr_workgroup_id_y 1
		.amdhsa_system_sgpr_workgroup_id_z 1
		.amdhsa_system_sgpr_workgroup_info 0
		.amdhsa_system_vgpr_workitem_id 1
		.amdhsa_next_free_vgpr 30
		.amdhsa_next_free_sgpr 46
		.amdhsa_reserve_vcc 1
		.amdhsa_reserve_flat_scratch 0
		.amdhsa_float_round_mode_32 0
		.amdhsa_float_round_mode_16_64 0
		.amdhsa_float_denorm_mode_32 3
		.amdhsa_float_denorm_mode_16_64 3
		.amdhsa_dx10_clamp 1
		.amdhsa_ieee_mode 1
		.amdhsa_fp16_overflow 0
		.amdhsa_workgroup_processor_mode 1
		.amdhsa_memory_ordered 1
		.amdhsa_forward_progress 1
		.amdhsa_shared_vgpr_count 0
		.amdhsa_exception_fp_ieee_invalid_op 0
		.amdhsa_exception_fp_denorm_src 0
		.amdhsa_exception_fp_ieee_div_zero 0
		.amdhsa_exception_fp_ieee_overflow 0
		.amdhsa_exception_fp_ieee_underflow 0
		.amdhsa_exception_fp_ieee_inexact 0
		.amdhsa_exception_int_div_zero 0
	.end_amdhsa_kernel
	.section	.text._ZN12_GLOBAL__N_135rocblas_gemm_batched_general_kernelIDF16_Li16ELi16ELi32ELi32ELi8ELi32ELi8ELi8ELi32ELc78ELc67EKPKDF16_S3_KPDF16_EEvlllT_PT11_llS8_llS6_PT12_llPT13_lli,"axG",@progbits,_ZN12_GLOBAL__N_135rocblas_gemm_batched_general_kernelIDF16_Li16ELi16ELi32ELi32ELi8ELi32ELi8ELi8ELi32ELc78ELc67EKPKDF16_S3_KPDF16_EEvlllT_PT11_llS8_llS6_PT12_llPT13_lli,comdat
.Lfunc_end82:
	.size	_ZN12_GLOBAL__N_135rocblas_gemm_batched_general_kernelIDF16_Li16ELi16ELi32ELi32ELi8ELi32ELi8ELi8ELi32ELc78ELc67EKPKDF16_S3_KPDF16_EEvlllT_PT11_llS8_llS6_PT12_llPT13_lli, .Lfunc_end82-_ZN12_GLOBAL__N_135rocblas_gemm_batched_general_kernelIDF16_Li16ELi16ELi32ELi32ELi8ELi32ELi8ELi8ELi32ELc78ELc67EKPKDF16_S3_KPDF16_EEvlllT_PT11_llS8_llS6_PT12_llPT13_lli
                                        ; -- End function
	.set _ZN12_GLOBAL__N_135rocblas_gemm_batched_general_kernelIDF16_Li16ELi16ELi32ELi32ELi8ELi32ELi8ELi8ELi32ELc78ELc67EKPKDF16_S3_KPDF16_EEvlllT_PT11_llS8_llS6_PT12_llPT13_lli.num_vgpr, 30
	.set _ZN12_GLOBAL__N_135rocblas_gemm_batched_general_kernelIDF16_Li16ELi16ELi32ELi32ELi8ELi32ELi8ELi8ELi32ELc78ELc67EKPKDF16_S3_KPDF16_EEvlllT_PT11_llS8_llS6_PT12_llPT13_lli.num_agpr, 0
	.set _ZN12_GLOBAL__N_135rocblas_gemm_batched_general_kernelIDF16_Li16ELi16ELi32ELi32ELi8ELi32ELi8ELi8ELi32ELc78ELc67EKPKDF16_S3_KPDF16_EEvlllT_PT11_llS8_llS6_PT12_llPT13_lli.numbered_sgpr, 46
	.set _ZN12_GLOBAL__N_135rocblas_gemm_batched_general_kernelIDF16_Li16ELi16ELi32ELi32ELi8ELi32ELi8ELi8ELi32ELc78ELc67EKPKDF16_S3_KPDF16_EEvlllT_PT11_llS8_llS6_PT12_llPT13_lli.num_named_barrier, 0
	.set _ZN12_GLOBAL__N_135rocblas_gemm_batched_general_kernelIDF16_Li16ELi16ELi32ELi32ELi8ELi32ELi8ELi8ELi32ELc78ELc67EKPKDF16_S3_KPDF16_EEvlllT_PT11_llS8_llS6_PT12_llPT13_lli.private_seg_size, 0
	.set _ZN12_GLOBAL__N_135rocblas_gemm_batched_general_kernelIDF16_Li16ELi16ELi32ELi32ELi8ELi32ELi8ELi8ELi32ELc78ELc67EKPKDF16_S3_KPDF16_EEvlllT_PT11_llS8_llS6_PT12_llPT13_lli.uses_vcc, 1
	.set _ZN12_GLOBAL__N_135rocblas_gemm_batched_general_kernelIDF16_Li16ELi16ELi32ELi32ELi8ELi32ELi8ELi8ELi32ELc78ELc67EKPKDF16_S3_KPDF16_EEvlllT_PT11_llS8_llS6_PT12_llPT13_lli.uses_flat_scratch, 0
	.set _ZN12_GLOBAL__N_135rocblas_gemm_batched_general_kernelIDF16_Li16ELi16ELi32ELi32ELi8ELi32ELi8ELi8ELi32ELc78ELc67EKPKDF16_S3_KPDF16_EEvlllT_PT11_llS8_llS6_PT12_llPT13_lli.has_dyn_sized_stack, 0
	.set _ZN12_GLOBAL__N_135rocblas_gemm_batched_general_kernelIDF16_Li16ELi16ELi32ELi32ELi8ELi32ELi8ELi8ELi32ELc78ELc67EKPKDF16_S3_KPDF16_EEvlllT_PT11_llS8_llS6_PT12_llPT13_lli.has_recursion, 0
	.set _ZN12_GLOBAL__N_135rocblas_gemm_batched_general_kernelIDF16_Li16ELi16ELi32ELi32ELi8ELi32ELi8ELi8ELi32ELc78ELc67EKPKDF16_S3_KPDF16_EEvlllT_PT11_llS8_llS6_PT12_llPT13_lli.has_indirect_call, 0
	.section	.AMDGPU.csdata,"",@progbits
; Kernel info:
; codeLenInByte = 1948
; TotalNumSgprs: 48
; NumVgprs: 30
; ScratchSize: 0
; MemoryBound: 0
; FloatMode: 240
; IeeeMode: 1
; LDSByteSize: 1024 bytes/workgroup (compile time only)
; SGPRBlocks: 0
; VGPRBlocks: 3
; NumSGPRsForWavesPerEU: 48
; NumVGPRsForWavesPerEU: 30
; Occupancy: 16
; WaveLimiterHint : 1
; COMPUTE_PGM_RSRC2:SCRATCH_EN: 0
; COMPUTE_PGM_RSRC2:USER_SGPR: 6
; COMPUTE_PGM_RSRC2:TRAP_HANDLER: 0
; COMPUTE_PGM_RSRC2:TGID_X_EN: 1
; COMPUTE_PGM_RSRC2:TGID_Y_EN: 1
; COMPUTE_PGM_RSRC2:TGID_Z_EN: 1
; COMPUTE_PGM_RSRC2:TIDIG_COMP_CNT: 1
	.section	.text._ZN12_GLOBAL__N_135rocblas_gemm_batched_general_kernelIDF16_Li16ELi16ELi32ELi32ELi8ELi32ELi8ELi8ELi32ELc84ELc67EKPKDF16_S3_KPDF16_EEvlllT_PT11_llS8_llS6_PT12_llPT13_lli,"axG",@progbits,_ZN12_GLOBAL__N_135rocblas_gemm_batched_general_kernelIDF16_Li16ELi16ELi32ELi32ELi8ELi32ELi8ELi8ELi32ELc84ELc67EKPKDF16_S3_KPDF16_EEvlllT_PT11_llS8_llS6_PT12_llPT13_lli,comdat
	.globl	_ZN12_GLOBAL__N_135rocblas_gemm_batched_general_kernelIDF16_Li16ELi16ELi32ELi32ELi8ELi32ELi8ELi8ELi32ELc84ELc67EKPKDF16_S3_KPDF16_EEvlllT_PT11_llS8_llS6_PT12_llPT13_lli ; -- Begin function _ZN12_GLOBAL__N_135rocblas_gemm_batched_general_kernelIDF16_Li16ELi16ELi32ELi32ELi8ELi32ELi8ELi8ELi32ELc84ELc67EKPKDF16_S3_KPDF16_EEvlllT_PT11_llS8_llS6_PT12_llPT13_lli
	.p2align	8
	.type	_ZN12_GLOBAL__N_135rocblas_gemm_batched_general_kernelIDF16_Li16ELi16ELi32ELi32ELi8ELi32ELi8ELi8ELi32ELc84ELc67EKPKDF16_S3_KPDF16_EEvlllT_PT11_llS8_llS6_PT12_llPT13_lli,@function
_ZN12_GLOBAL__N_135rocblas_gemm_batched_general_kernelIDF16_Li16ELi16ELi32ELi32ELi8ELi32ELi8ELi8ELi32ELc84ELc67EKPKDF16_S3_KPDF16_EEvlllT_PT11_llS8_llS6_PT12_llPT13_lli: ; @_ZN12_GLOBAL__N_135rocblas_gemm_batched_general_kernelIDF16_Li16ELi16ELi32ELi32ELi8ELi32ELi8ELi8ELi32ELc84ELc67EKPKDF16_S3_KPDF16_EEvlllT_PT11_llS8_llS6_PT12_llPT13_lli
; %bb.0:
	s_clause 0x1
	s_load_dwordx8 s[12:19], s[4:5], 0x58
	s_load_dwordx2 s[34:35], s[4:5], 0x10
	s_mov_b32 s9, 0
	s_load_dwordx4 s[28:31], s[4:5], 0x0
	s_lshl_b64 s[42:43], s[8:9], 3
	s_load_dwordx4 s[8:11], s[4:5], 0x78
	s_mov_b32 s40, s7
	v_mov_b32_e32 v7, 0
	s_waitcnt lgkmcnt(0)
	s_add_u32 s0, s12, s42
	s_addc_u32 s1, s13, s43
	s_add_u32 s2, s18, s42
	s_addc_u32 s3, s19, s43
	s_load_dwordx2 s[12:13], s[0:1], 0x0
	s_load_dwordx2 s[2:3], s[2:3], 0x0
	v_cmp_lt_i64_e64 s0, s[34:35], 1
	s_ashr_i32 s7, s6, 31
	s_ashr_i32 s41, s40, 31
	s_lshl_b64 s[6:7], s[6:7], 5
	s_lshl_b64 s[18:19], s[40:41], 5
	s_and_b32 vcc_lo, exec_lo, s0
	s_cbranch_vccnz .LBB83_7
; %bb.1:
	s_load_dwordx4 s[36:39], s[4:5], 0x40
	v_lshlrev_b32_e32 v2, 4, v1
	v_and_b32_e32 v6, 7, v0
	s_load_dwordx8 s[20:27], s[4:5], 0x20
	v_mov_b32_e32 v3, s7
	v_lshlrev_b32_e32 v9, 1, v0
	v_add_nc_u32_e32 v4, v2, v0
	v_add_nc_u32_e32 v10, 0x200, v2
	v_lshlrev_b32_e32 v8, 1, v6
	v_and_b32_e32 v12, 31, v4
	v_lshrrev_b32_e32 v16, 3, v4
	v_lshrrev_b32_e32 v11, 5, v4
	v_or_b32_e32 v2, s6, v12
	v_add_co_u32 v4, s0, v16, s18
	v_add_co_ci_u32_e64 v5, null, 0, s19, s0
	s_waitcnt lgkmcnt(0)
	v_mad_u64_u32 v[14:15], null, s36, v6, 0
	v_add_co_u32 v17, s0, s6, v12
	v_add_co_ci_u32_e64 v18, null, s7, 0, s0
	v_cmp_gt_i64_e64 s0, s[28:29], v[2:3]
	v_lshlrev_b32_e32 v13, 1, v12
	v_mov_b32_e32 v2, v15
	v_lshl_or_b32 v8, v16, 4, v8
	v_cmp_gt_i64_e64 s1, s[30:31], v[4:5]
	v_mul_lo_u32 v5, s23, v17
	v_lshl_or_b32 v12, v11, 6, v13
	v_mad_u64_u32 v[2:3], null, s37, v6, v[2:3]
	v_add_nc_u32_e32 v13, 0x200, v8
	v_mul_lo_u32 v8, s22, v18
	v_mad_u64_u32 v[3:4], null, s22, v17, 0
	s_add_u32 s26, s26, s42
	s_addc_u32 s27, s27, s43
	s_add_u32 s20, s20, s42
	v_mov_b32_e32 v15, v2
	s_load_dwordx2 s[22:23], s[26:27], 0x0
	s_addc_u32 s21, s21, s43
	v_add3_u32 v4, v4, v8, v5
	s_load_dwordx2 s[20:21], s[20:21], 0x0
	v_lshlrev_b64 v[14:15], 1, v[14:15]
	s_lshl_b64 s[26:27], s[40:41], 6
	s_lshl_b64 s[38:39], s[38:39], 1
	v_lshlrev_b64 v[2:3], 1, v[3:4]
	s_add_u32 s26, s38, s26
	s_addc_u32 s27, s39, s27
	v_add_co_u32 v4, vcc_lo, s26, v14
	v_lshlrev_b32_e32 v8, 1, v16
	s_lshl_b64 s[24:25], s[24:25], 1
	v_add_co_ci_u32_e64 v5, null, s27, v15, vcc_lo
	v_add_co_u32 v2, vcc_lo, v2, s24
	v_lshlrev_b32_e32 v14, 1, v11
	v_add_co_ci_u32_e64 v3, null, s25, v3, vcc_lo
	v_add_co_u32 v4, vcc_lo, v4, v8
	v_add_co_ci_u32_e64 v5, null, 0, v5, vcc_lo
	v_add_co_u32 v8, vcc_lo, v2, v14
	v_add_co_ci_u32_e64 v14, null, 0, v3, vcc_lo
	s_waitcnt lgkmcnt(0)
	v_add_co_u32 v2, vcc_lo, s22, v4
	v_add_co_ci_u32_e64 v3, null, s23, v5, vcc_lo
	v_add_co_u32 v4, vcc_lo, s20, v8
	v_add_co_ci_u32_e64 v5, null, s21, v14, vcc_lo
	v_mov_b32_e32 v8, 0
	s_lshl_b64 s[20:21], s[36:37], 4
	s_mov_b64 s[22:23], 0
	s_branch .LBB83_3
.LBB83_2:                               ;   in Loop: Header=BB83_3 Depth=1
	s_or_b32 exec_lo, exec_lo, s24
	s_waitcnt vmcnt(0) lgkmcnt(0)
	ds_write_b16 v13, v14
	s_waitcnt lgkmcnt(0)
	s_barrier
	buffer_gl0_inv
	ds_read_u16 v22, v9
	ds_read_u16 v23, v9 offset:64
	ds_read_u16 v24, v9 offset:128
	;; [unrolled: 1-line block ×7, first 2 shown]
	s_add_u32 s22, s22, 8
	s_addc_u32 s23, s23, 0
	v_add_co_u32 v2, vcc_lo, v2, s20
	v_cmp_lt_i64_e64 s24, s[22:23], s[34:35]
	v_add_co_ci_u32_e64 v3, null, s21, v3, vcc_lo
	v_add_co_u32 v4, vcc_lo, v4, 16
	v_add_co_ci_u32_e64 v5, null, 0, v5, vcc_lo
	s_and_b32 vcc_lo, exec_lo, s24
	s_waitcnt lgkmcnt(7)
	ds_read_u16_d16_hi v22, v9 offset:32
	ds_read_b128 v[14:17], v10
	ds_read_b128 v[18:21], v10 offset:256
	s_waitcnt lgkmcnt(9)
	ds_read_u16_d16_hi v23, v9 offset:96
	s_waitcnt lgkmcnt(9)
	ds_read_u16_d16_hi v24, v9 offset:160
	;; [unrolled: 2-line block ×7, first 2 shown]
	s_waitcnt lgkmcnt(0)
	s_barrier
	buffer_gl0_inv
	v_pk_fma_f16 v7, v22, v14, v7 op_sel_hi:[1,0,1]
	v_pk_fma_f16 v8, v22, v18, v8 op_sel_hi:[1,0,1]
	v_pk_fma_f16 v7, v23, v14, v7 op_sel:[0,1,0]
	v_pk_fma_f16 v8, v23, v18, v8 op_sel:[0,1,0]
	v_pk_fma_f16 v7, v24, v15, v7 op_sel_hi:[1,0,1]
	v_pk_fma_f16 v8, v24, v19, v8 op_sel_hi:[1,0,1]
	v_pk_fma_f16 v7, v25, v15, v7 op_sel:[0,1,0]
	v_pk_fma_f16 v8, v25, v19, v8 op_sel:[0,1,0]
	;; [unrolled: 4-line block ×4, first 2 shown]
	s_cbranch_vccz .LBB83_8
.LBB83_3:                               ; =>This Inner Loop Header: Depth=1
	v_add_co_u32 v14, s24, v11, s22
	v_add_co_ci_u32_e64 v15, null, 0, s23, s24
	v_cmp_gt_i64_e32 vcc_lo, s[34:35], v[14:15]
	v_mov_b32_e32 v14, 0
	v_mov_b32_e32 v15, 0
	s_and_b32 s25, s0, vcc_lo
	s_and_saveexec_b32 s24, s25
	s_cbranch_execz .LBB83_5
; %bb.4:                                ;   in Loop: Header=BB83_3 Depth=1
	flat_load_ushort v15, v[4:5]
.LBB83_5:                               ;   in Loop: Header=BB83_3 Depth=1
	s_or_b32 exec_lo, exec_lo, s24
	v_add_co_u32 v16, s24, v6, s22
	v_add_co_ci_u32_e64 v17, null, 0, s23, s24
	s_waitcnt vmcnt(0) lgkmcnt(0)
	ds_write_b16 v12, v15
	v_cmp_gt_i64_e32 vcc_lo, s[34:35], v[16:17]
	s_and_b32 s25, vcc_lo, s1
	s_and_saveexec_b32 s24, s25
	s_cbranch_execz .LBB83_2
; %bb.6:                                ;   in Loop: Header=BB83_3 Depth=1
	flat_load_ushort v14, v[2:3]
	s_branch .LBB83_2
.LBB83_7:
	v_mov_b32_e32 v8, 0
.LBB83_8:
	s_clause 0x1
	s_load_dword s20, s[4:5], 0x50
	s_load_dword s4, s[4:5], 0x18
	v_add_co_u32 v1, s5, s18, v1
	v_add_co_ci_u32_e64 v2, null, s19, 0, s5
	s_lshl_b64 s[0:1], s[10:11], 1
	s_waitcnt lgkmcnt(0)
	s_add_u32 s5, s2, s0
	v_cmp_gt_i64_e64 s0, s[30:31], v[1:2]
	s_addc_u32 s3, s3, s1
	v_cmp_neq_f16_e64 s10, s20, 0
	s_and_b32 vcc_lo, exec_lo, s10
	s_cbranch_vccnz .LBB83_21
; %bb.9:
	s_and_saveexec_b32 s10, s0
	s_cbranch_execz .LBB83_19
; %bb.10:
	v_mul_lo_u32 v5, v2, s8
	v_mul_lo_u32 v6, v1, s9
	v_mad_u64_u32 v[3:4], null, v1, s8, 0
	v_add3_u32 v4, v4, v6, v5
	v_add_co_u32 v5, s1, s6, v0
	v_add_co_ci_u32_e64 v6, null, s7, 0, s1
	v_lshlrev_b64 v[9:10], 1, v[3:4]
	v_cmp_gt_i64_e32 vcc_lo, s[28:29], v[5:6]
	v_lshlrev_b64 v[3:4], 1, v[5:6]
	v_add_co_u32 v9, s1, s5, v9
	v_add_co_ci_u32_e64 v10, null, s3, v10, s1
	s_and_saveexec_b32 s2, vcc_lo
	s_cbranch_execz .LBB83_12
; %bb.11:
	v_add_co_u32 v11, s1, v9, v3
	v_add_co_ci_u32_e64 v12, null, v10, v4, s1
	v_mul_f16_e32 v13, s4, v7
	flat_store_short v[11:12], v13
.LBB83_12:
	s_or_b32 exec_lo, exec_lo, s2
	v_add_co_u32 v5, s1, v5, 16
	v_add_co_ci_u32_e64 v6, null, 0, v6, s1
	v_cmp_gt_i64_e64 s1, s[28:29], v[5:6]
	s_and_saveexec_b32 s11, s1
	s_cbranch_execz .LBB83_14
; %bb.13:
	v_add_co_u32 v5, s2, v9, v3
	v_add_co_ci_u32_e64 v6, null, v10, v4, s2
	v_mul_f16_sdwa v11, s4, v7 dst_sel:DWORD dst_unused:UNUSED_PAD src0_sel:DWORD src1_sel:WORD_1
	flat_store_short v[5:6], v11 offset:32
.LBB83_14:
	s_or_b32 exec_lo, exec_lo, s11
	v_add_co_u32 v5, s2, v1, 16
	v_add_co_ci_u32_e64 v6, null, 0, v2, s2
	v_cmp_gt_i64_e64 s2, s[30:31], v[5:6]
	s_and_b32 exec_lo, exec_lo, s2
	s_cbranch_execz .LBB83_19
; %bb.15:
	s_lshl_b64 s[18:19], s[8:9], 5
	v_add_co_u32 v5, s2, v9, s18
	v_add_co_ci_u32_e64 v6, null, s19, v10, s2
	v_add_co_u32 v3, s2, v5, v3
	v_add_co_ci_u32_e64 v4, null, v6, v4, s2
	s_and_saveexec_b32 s2, vcc_lo
	s_cbranch_execz .LBB83_17
; %bb.16:
	v_mul_f16_e32 v5, s4, v8
	flat_store_short v[3:4], v5
.LBB83_17:
	s_or_b32 exec_lo, exec_lo, s2
	s_and_b32 exec_lo, exec_lo, s1
	s_cbranch_execz .LBB83_19
; %bb.18:
	v_mul_f16_sdwa v5, s4, v8 dst_sel:DWORD dst_unused:UNUSED_PAD src0_sel:DWORD src1_sel:WORD_1
	flat_store_short v[3:4], v5 offset:32
.LBB83_19:
	s_or_b32 exec_lo, exec_lo, s10
	s_cbranch_execz .LBB83_22
.LBB83_20:
	s_endpgm
.LBB83_21:
.LBB83_22:
	s_and_saveexec_b32 s1, s0
	s_cbranch_execz .LBB83_20
; %bb.23:
	v_mul_lo_u32 v5, v2, s14
	v_mul_lo_u32 v6, v1, s15
	v_mad_u64_u32 v[3:4], null, v1, s14, 0
	v_mul_lo_u32 v11, v2, s8
	v_mul_lo_u32 v12, v1, s9
	v_mad_u64_u32 v[9:10], null, v1, s8, 0
	s_lshl_b64 s[0:1], s[16:17], 1
	v_add3_u32 v4, v4, v6, v5
	v_add_co_u32 v5, s2, s6, v0
	v_add_co_ci_u32_e64 v6, null, s7, 0, s2
	v_add3_u32 v10, v10, v12, v11
	v_lshlrev_b64 v[3:4], 1, v[3:4]
	s_add_u32 s0, s12, s0
	s_addc_u32 s1, s13, s1
	v_cmp_gt_i64_e32 vcc_lo, s[28:29], v[5:6]
	v_lshlrev_b64 v[10:11], 1, v[9:10]
	v_add_co_u32 v0, s0, s0, v3
	v_add_co_ci_u32_e64 v9, null, s1, v4, s0
	v_add_co_u32 v10, s0, s5, v10
	v_lshlrev_b64 v[3:4], 1, v[5:6]
	v_add_co_ci_u32_e64 v11, null, s3, v11, s0
	s_and_saveexec_b32 s1, vcc_lo
	s_cbranch_execz .LBB83_25
; %bb.24:
	v_add_co_u32 v12, s0, v0, v3
	v_add_co_ci_u32_e64 v13, null, v9, v4, s0
	flat_load_ushort v12, v[12:13]
	s_waitcnt vmcnt(0) lgkmcnt(0)
	v_mul_f16_e32 v14, s20, v12
	v_add_co_u32 v12, s0, v10, v3
	v_add_co_ci_u32_e64 v13, null, v11, v4, s0
	v_fmac_f16_e32 v14, s4, v7
	flat_store_short v[12:13], v14
.LBB83_25:
	s_or_b32 exec_lo, exec_lo, s1
	v_add_co_u32 v5, s0, v5, 16
	v_add_co_ci_u32_e64 v6, null, 0, v6, s0
	v_cmp_gt_i64_e64 s0, s[28:29], v[5:6]
	s_and_saveexec_b32 s2, s0
	s_cbranch_execz .LBB83_27
; %bb.26:
	v_add_co_u32 v5, s1, v0, v3
	v_add_co_ci_u32_e64 v6, null, v9, v4, s1
	flat_load_ushort v5, v[5:6] offset:32
	v_lshrrev_b32_e32 v6, 16, v7
	s_waitcnt vmcnt(0) lgkmcnt(0)
	v_mul_f16_e32 v7, s20, v5
	v_add_co_u32 v5, s1, v10, v3
	v_fmac_f16_e32 v7, s4, v6
	v_add_co_ci_u32_e64 v6, null, v11, v4, s1
	flat_store_short v[5:6], v7 offset:32
.LBB83_27:
	s_or_b32 exec_lo, exec_lo, s2
	v_add_co_u32 v1, s1, v1, 16
	v_add_co_ci_u32_e64 v2, null, 0, v2, s1
	v_cmp_gt_i64_e64 s1, s[30:31], v[1:2]
	s_and_b32 exec_lo, exec_lo, s1
	s_cbranch_execz .LBB83_20
; %bb.28:
	s_lshl_b64 s[2:3], s[14:15], 5
	v_add_co_u32 v0, s1, v0, s2
	v_add_co_ci_u32_e64 v1, null, s3, v9, s1
	s_lshl_b64 s[2:3], s[8:9], 5
	v_add_co_u32 v2, s1, v10, s2
	v_add_co_ci_u32_e64 v7, null, s3, v11, s1
	v_add_co_u32 v5, s1, v0, v3
	v_add_co_ci_u32_e64 v6, null, v1, v4, s1
	;; [unrolled: 2-line block ×3, first 2 shown]
	s_and_saveexec_b32 s1, vcc_lo
	s_cbranch_execz .LBB83_30
; %bb.29:
	flat_load_ushort v2, v[5:6]
	s_waitcnt vmcnt(0) lgkmcnt(0)
	v_mul_f16_e32 v2, s20, v2
	v_fmac_f16_e32 v2, s4, v8
	flat_store_short v[0:1], v2
.LBB83_30:
	s_or_b32 exec_lo, exec_lo, s1
	s_and_b32 exec_lo, exec_lo, s0
	s_cbranch_execz .LBB83_20
; %bb.31:
	flat_load_ushort v2, v[5:6] offset:32
	v_lshrrev_b32_e32 v3, 16, v8
	s_waitcnt vmcnt(0) lgkmcnt(0)
	v_mul_f16_e32 v2, s20, v2
	v_fmac_f16_e32 v2, s4, v3
	flat_store_short v[0:1], v2 offset:32
	s_endpgm
	.section	.rodata,"a",@progbits
	.p2align	6, 0x0
	.amdhsa_kernel _ZN12_GLOBAL__N_135rocblas_gemm_batched_general_kernelIDF16_Li16ELi16ELi32ELi32ELi8ELi32ELi8ELi8ELi32ELc84ELc67EKPKDF16_S3_KPDF16_EEvlllT_PT11_llS8_llS6_PT12_llPT13_lli
		.amdhsa_group_segment_fixed_size 1024
		.amdhsa_private_segment_fixed_size 0
		.amdhsa_kernarg_size 140
		.amdhsa_user_sgpr_count 6
		.amdhsa_user_sgpr_private_segment_buffer 1
		.amdhsa_user_sgpr_dispatch_ptr 0
		.amdhsa_user_sgpr_queue_ptr 0
		.amdhsa_user_sgpr_kernarg_segment_ptr 1
		.amdhsa_user_sgpr_dispatch_id 0
		.amdhsa_user_sgpr_flat_scratch_init 0
		.amdhsa_user_sgpr_private_segment_size 0
		.amdhsa_wavefront_size32 1
		.amdhsa_uses_dynamic_stack 0
		.amdhsa_system_sgpr_private_segment_wavefront_offset 0
		.amdhsa_system_sgpr_workgroup_id_x 1
		.amdhsa_system_sgpr_workgroup_id_y 1
		.amdhsa_system_sgpr_workgroup_id_z 1
		.amdhsa_system_sgpr_workgroup_info 0
		.amdhsa_system_vgpr_workitem_id 1
		.amdhsa_next_free_vgpr 30
		.amdhsa_next_free_sgpr 44
		.amdhsa_reserve_vcc 1
		.amdhsa_reserve_flat_scratch 0
		.amdhsa_float_round_mode_32 0
		.amdhsa_float_round_mode_16_64 0
		.amdhsa_float_denorm_mode_32 3
		.amdhsa_float_denorm_mode_16_64 3
		.amdhsa_dx10_clamp 1
		.amdhsa_ieee_mode 1
		.amdhsa_fp16_overflow 0
		.amdhsa_workgroup_processor_mode 1
		.amdhsa_memory_ordered 1
		.amdhsa_forward_progress 1
		.amdhsa_shared_vgpr_count 0
		.amdhsa_exception_fp_ieee_invalid_op 0
		.amdhsa_exception_fp_denorm_src 0
		.amdhsa_exception_fp_ieee_div_zero 0
		.amdhsa_exception_fp_ieee_overflow 0
		.amdhsa_exception_fp_ieee_underflow 0
		.amdhsa_exception_fp_ieee_inexact 0
		.amdhsa_exception_int_div_zero 0
	.end_amdhsa_kernel
	.section	.text._ZN12_GLOBAL__N_135rocblas_gemm_batched_general_kernelIDF16_Li16ELi16ELi32ELi32ELi8ELi32ELi8ELi8ELi32ELc84ELc67EKPKDF16_S3_KPDF16_EEvlllT_PT11_llS8_llS6_PT12_llPT13_lli,"axG",@progbits,_ZN12_GLOBAL__N_135rocblas_gemm_batched_general_kernelIDF16_Li16ELi16ELi32ELi32ELi8ELi32ELi8ELi8ELi32ELc84ELc67EKPKDF16_S3_KPDF16_EEvlllT_PT11_llS8_llS6_PT12_llPT13_lli,comdat
.Lfunc_end83:
	.size	_ZN12_GLOBAL__N_135rocblas_gemm_batched_general_kernelIDF16_Li16ELi16ELi32ELi32ELi8ELi32ELi8ELi8ELi32ELc84ELc67EKPKDF16_S3_KPDF16_EEvlllT_PT11_llS8_llS6_PT12_llPT13_lli, .Lfunc_end83-_ZN12_GLOBAL__N_135rocblas_gemm_batched_general_kernelIDF16_Li16ELi16ELi32ELi32ELi8ELi32ELi8ELi8ELi32ELc84ELc67EKPKDF16_S3_KPDF16_EEvlllT_PT11_llS8_llS6_PT12_llPT13_lli
                                        ; -- End function
	.set _ZN12_GLOBAL__N_135rocblas_gemm_batched_general_kernelIDF16_Li16ELi16ELi32ELi32ELi8ELi32ELi8ELi8ELi32ELc84ELc67EKPKDF16_S3_KPDF16_EEvlllT_PT11_llS8_llS6_PT12_llPT13_lli.num_vgpr, 30
	.set _ZN12_GLOBAL__N_135rocblas_gemm_batched_general_kernelIDF16_Li16ELi16ELi32ELi32ELi8ELi32ELi8ELi8ELi32ELc84ELc67EKPKDF16_S3_KPDF16_EEvlllT_PT11_llS8_llS6_PT12_llPT13_lli.num_agpr, 0
	.set _ZN12_GLOBAL__N_135rocblas_gemm_batched_general_kernelIDF16_Li16ELi16ELi32ELi32ELi8ELi32ELi8ELi8ELi32ELc84ELc67EKPKDF16_S3_KPDF16_EEvlllT_PT11_llS8_llS6_PT12_llPT13_lli.numbered_sgpr, 44
	.set _ZN12_GLOBAL__N_135rocblas_gemm_batched_general_kernelIDF16_Li16ELi16ELi32ELi32ELi8ELi32ELi8ELi8ELi32ELc84ELc67EKPKDF16_S3_KPDF16_EEvlllT_PT11_llS8_llS6_PT12_llPT13_lli.num_named_barrier, 0
	.set _ZN12_GLOBAL__N_135rocblas_gemm_batched_general_kernelIDF16_Li16ELi16ELi32ELi32ELi8ELi32ELi8ELi8ELi32ELc84ELc67EKPKDF16_S3_KPDF16_EEvlllT_PT11_llS8_llS6_PT12_llPT13_lli.private_seg_size, 0
	.set _ZN12_GLOBAL__N_135rocblas_gemm_batched_general_kernelIDF16_Li16ELi16ELi32ELi32ELi8ELi32ELi8ELi8ELi32ELc84ELc67EKPKDF16_S3_KPDF16_EEvlllT_PT11_llS8_llS6_PT12_llPT13_lli.uses_vcc, 1
	.set _ZN12_GLOBAL__N_135rocblas_gemm_batched_general_kernelIDF16_Li16ELi16ELi32ELi32ELi8ELi32ELi8ELi8ELi32ELc84ELc67EKPKDF16_S3_KPDF16_EEvlllT_PT11_llS8_llS6_PT12_llPT13_lli.uses_flat_scratch, 0
	.set _ZN12_GLOBAL__N_135rocblas_gemm_batched_general_kernelIDF16_Li16ELi16ELi32ELi32ELi8ELi32ELi8ELi8ELi32ELc84ELc67EKPKDF16_S3_KPDF16_EEvlllT_PT11_llS8_llS6_PT12_llPT13_lli.has_dyn_sized_stack, 0
	.set _ZN12_GLOBAL__N_135rocblas_gemm_batched_general_kernelIDF16_Li16ELi16ELi32ELi32ELi8ELi32ELi8ELi8ELi32ELc84ELc67EKPKDF16_S3_KPDF16_EEvlllT_PT11_llS8_llS6_PT12_llPT13_lli.has_recursion, 0
	.set _ZN12_GLOBAL__N_135rocblas_gemm_batched_general_kernelIDF16_Li16ELi16ELi32ELi32ELi8ELi32ELi8ELi8ELi32ELc84ELc67EKPKDF16_S3_KPDF16_EEvlllT_PT11_llS8_llS6_PT12_llPT13_lli.has_indirect_call, 0
	.section	.AMDGPU.csdata,"",@progbits
; Kernel info:
; codeLenInByte = 1956
; TotalNumSgprs: 46
; NumVgprs: 30
; ScratchSize: 0
; MemoryBound: 0
; FloatMode: 240
; IeeeMode: 1
; LDSByteSize: 1024 bytes/workgroup (compile time only)
; SGPRBlocks: 0
; VGPRBlocks: 3
; NumSGPRsForWavesPerEU: 46
; NumVGPRsForWavesPerEU: 30
; Occupancy: 16
; WaveLimiterHint : 1
; COMPUTE_PGM_RSRC2:SCRATCH_EN: 0
; COMPUTE_PGM_RSRC2:USER_SGPR: 6
; COMPUTE_PGM_RSRC2:TRAP_HANDLER: 0
; COMPUTE_PGM_RSRC2:TGID_X_EN: 1
; COMPUTE_PGM_RSRC2:TGID_Y_EN: 1
; COMPUTE_PGM_RSRC2:TGID_Z_EN: 1
; COMPUTE_PGM_RSRC2:TIDIG_COMP_CNT: 1
	.section	.text._ZN12_GLOBAL__N_120gemm_ex_scale_kernelILi32ELi32EfPKPKDF16_PKPDF16_EEviiT1_T2_lllT3_llli,"axG",@progbits,_ZN12_GLOBAL__N_120gemm_ex_scale_kernelILi32ELi32EfPKPKDF16_PKPDF16_EEviiT1_T2_lllT3_llli,comdat
	.globl	_ZN12_GLOBAL__N_120gemm_ex_scale_kernelILi32ELi32EfPKPKDF16_PKPDF16_EEviiT1_T2_lllT3_llli ; -- Begin function _ZN12_GLOBAL__N_120gemm_ex_scale_kernelILi32ELi32EfPKPKDF16_PKPDF16_EEviiT1_T2_lllT3_llli
	.p2align	8
	.type	_ZN12_GLOBAL__N_120gemm_ex_scale_kernelILi32ELi32EfPKPKDF16_PKPDF16_EEviiT1_T2_lllT3_llli,@function
_ZN12_GLOBAL__N_120gemm_ex_scale_kernelILi32ELi32EfPKPKDF16_PKPDF16_EEviiT1_T2_lllT3_llli: ; @_ZN12_GLOBAL__N_120gemm_ex_scale_kernelILi32ELi32EfPKPKDF16_PKPDF16_EEviiT1_T2_lllT3_llli
; %bb.0:
	s_clause 0x1
	s_load_dwordx8 s[12:19], s[4:5], 0x0
	s_load_dwordx2 s[10:11], s[4:5], 0x20
	s_mov_b32 s9, 0
	s_waitcnt lgkmcnt(0)
	v_cmp_eq_f32_e64 s15, s14, 0
	s_and_b32 vcc_lo, exec_lo, s15
	s_cbranch_vccnz .LBB84_2
; %bb.1:
	s_lshl_b64 s[0:1], s[8:9], 3
	s_add_u32 s0, s16, s0
	s_addc_u32 s1, s17, s1
	s_lshl_b64 s[2:3], s[18:19], 1
	s_load_dwordx2 s[0:1], s[0:1], 0x0
	s_waitcnt lgkmcnt(0)
	s_add_u32 s16, s0, s2
	s_addc_u32 s17, s1, s3
	s_branch .LBB84_3
.LBB84_2:
	s_mov_b64 s[16:17], 0
.LBB84_3:
	v_lshl_add_u32 v0, s6, 5, v0
	v_lshl_add_u32 v4, s7, 5, v1
	v_cmp_gt_u32_e32 vcc_lo, s12, v0
	v_cmp_gt_u32_e64 s0, s13, v4
	s_and_b32 s0, vcc_lo, s0
	s_and_saveexec_b32 s1, s0
	s_cbranch_execz .LBB84_9
; %bb.4:
	s_load_dwordx4 s[0:3], s[4:5], 0x30
	s_lshl_b64 s[6:7], s[8:9], 3
	s_load_dwordx2 s[4:5], s[4:5], 0x40
	v_mov_b32_e32 v1, 0
	s_waitcnt lgkmcnt(0)
	s_add_u32 s0, s0, s6
	s_addc_u32 s1, s1, s7
	s_andn2_b32 vcc_lo, exec_lo, s15
	s_load_dwordx2 s[0:1], s[0:1], 0x0
	s_cbranch_vccnz .LBB84_6
; %bb.5:
	v_mov_b32_e32 v3, 0
	v_mov_b32_e32 v2, v0
	s_cbranch_execz .LBB84_7
	s_branch .LBB84_8
.LBB84_6:
	v_mov_b32_e32 v3, v1
	v_mov_b32_e32 v2, v0
.LBB84_7:
	v_mad_u64_u32 v[5:6], null, s10, v4, 0
	v_lshlrev_b64 v[0:1], 1, v[0:1]
	v_mad_u64_u32 v[6:7], null, s11, v4, v[6:7]
	v_lshlrev_b64 v[5:6], 1, v[5:6]
	v_add_co_u32 v5, vcc_lo, s16, v5
	v_add_co_ci_u32_e64 v6, null, s17, v6, vcc_lo
	v_add_co_u32 v0, vcc_lo, v5, v0
	v_add_co_ci_u32_e64 v1, null, v6, v1, vcc_lo
	flat_load_ushort v0, v[0:1]
	s_waitcnt vmcnt(0) lgkmcnt(0)
	v_fma_mixlo_f16 v1, s14, v0, 0 op_sel_hi:[0,1,0]
.LBB84_8:
	v_mad_u64_u32 v[5:6], null, s4, v4, 0
	s_lshl_b64 s[2:3], s[2:3], 1
	v_lshlrev_b64 v[2:3], 1, v[2:3]
	s_waitcnt lgkmcnt(0)
	s_add_u32 s0, s0, s2
	s_addc_u32 s1, s1, s3
	v_mov_b32_e32 v0, v6
	v_mad_u64_u32 v[6:7], null, s5, v4, v[0:1]
	v_lshlrev_b64 v[4:5], 1, v[5:6]
	v_add_co_u32 v0, vcc_lo, s0, v4
	v_add_co_ci_u32_e64 v4, null, s1, v5, vcc_lo
	v_add_co_u32 v2, vcc_lo, v0, v2
	v_add_co_ci_u32_e64 v3, null, v4, v3, vcc_lo
	flat_store_short v[2:3], v1
.LBB84_9:
	s_endpgm
	.section	.rodata,"a",@progbits
	.p2align	6, 0x0
	.amdhsa_kernel _ZN12_GLOBAL__N_120gemm_ex_scale_kernelILi32ELi32EfPKPKDF16_PKPDF16_EEviiT1_T2_lllT3_llli
		.amdhsa_group_segment_fixed_size 0
		.amdhsa_private_segment_fixed_size 0
		.amdhsa_kernarg_size 84
		.amdhsa_user_sgpr_count 6
		.amdhsa_user_sgpr_private_segment_buffer 1
		.amdhsa_user_sgpr_dispatch_ptr 0
		.amdhsa_user_sgpr_queue_ptr 0
		.amdhsa_user_sgpr_kernarg_segment_ptr 1
		.amdhsa_user_sgpr_dispatch_id 0
		.amdhsa_user_sgpr_flat_scratch_init 0
		.amdhsa_user_sgpr_private_segment_size 0
		.amdhsa_wavefront_size32 1
		.amdhsa_uses_dynamic_stack 0
		.amdhsa_system_sgpr_private_segment_wavefront_offset 0
		.amdhsa_system_sgpr_workgroup_id_x 1
		.amdhsa_system_sgpr_workgroup_id_y 1
		.amdhsa_system_sgpr_workgroup_id_z 1
		.amdhsa_system_sgpr_workgroup_info 0
		.amdhsa_system_vgpr_workitem_id 1
		.amdhsa_next_free_vgpr 8
		.amdhsa_next_free_sgpr 20
		.amdhsa_reserve_vcc 1
		.amdhsa_reserve_flat_scratch 0
		.amdhsa_float_round_mode_32 0
		.amdhsa_float_round_mode_16_64 0
		.amdhsa_float_denorm_mode_32 3
		.amdhsa_float_denorm_mode_16_64 3
		.amdhsa_dx10_clamp 1
		.amdhsa_ieee_mode 1
		.amdhsa_fp16_overflow 0
		.amdhsa_workgroup_processor_mode 1
		.amdhsa_memory_ordered 1
		.amdhsa_forward_progress 1
		.amdhsa_shared_vgpr_count 0
		.amdhsa_exception_fp_ieee_invalid_op 0
		.amdhsa_exception_fp_denorm_src 0
		.amdhsa_exception_fp_ieee_div_zero 0
		.amdhsa_exception_fp_ieee_overflow 0
		.amdhsa_exception_fp_ieee_underflow 0
		.amdhsa_exception_fp_ieee_inexact 0
		.amdhsa_exception_int_div_zero 0
	.end_amdhsa_kernel
	.section	.text._ZN12_GLOBAL__N_120gemm_ex_scale_kernelILi32ELi32EfPKPKDF16_PKPDF16_EEviiT1_T2_lllT3_llli,"axG",@progbits,_ZN12_GLOBAL__N_120gemm_ex_scale_kernelILi32ELi32EfPKPKDF16_PKPDF16_EEviiT1_T2_lllT3_llli,comdat
.Lfunc_end84:
	.size	_ZN12_GLOBAL__N_120gemm_ex_scale_kernelILi32ELi32EfPKPKDF16_PKPDF16_EEviiT1_T2_lllT3_llli, .Lfunc_end84-_ZN12_GLOBAL__N_120gemm_ex_scale_kernelILi32ELi32EfPKPKDF16_PKPDF16_EEviiT1_T2_lllT3_llli
                                        ; -- End function
	.set _ZN12_GLOBAL__N_120gemm_ex_scale_kernelILi32ELi32EfPKPKDF16_PKPDF16_EEviiT1_T2_lllT3_llli.num_vgpr, 8
	.set _ZN12_GLOBAL__N_120gemm_ex_scale_kernelILi32ELi32EfPKPKDF16_PKPDF16_EEviiT1_T2_lllT3_llli.num_agpr, 0
	.set _ZN12_GLOBAL__N_120gemm_ex_scale_kernelILi32ELi32EfPKPKDF16_PKPDF16_EEviiT1_T2_lllT3_llli.numbered_sgpr, 20
	.set _ZN12_GLOBAL__N_120gemm_ex_scale_kernelILi32ELi32EfPKPKDF16_PKPDF16_EEviiT1_T2_lllT3_llli.num_named_barrier, 0
	.set _ZN12_GLOBAL__N_120gemm_ex_scale_kernelILi32ELi32EfPKPKDF16_PKPDF16_EEviiT1_T2_lllT3_llli.private_seg_size, 0
	.set _ZN12_GLOBAL__N_120gemm_ex_scale_kernelILi32ELi32EfPKPKDF16_PKPDF16_EEviiT1_T2_lllT3_llli.uses_vcc, 1
	.set _ZN12_GLOBAL__N_120gemm_ex_scale_kernelILi32ELi32EfPKPKDF16_PKPDF16_EEviiT1_T2_lllT3_llli.uses_flat_scratch, 0
	.set _ZN12_GLOBAL__N_120gemm_ex_scale_kernelILi32ELi32EfPKPKDF16_PKPDF16_EEviiT1_T2_lllT3_llli.has_dyn_sized_stack, 0
	.set _ZN12_GLOBAL__N_120gemm_ex_scale_kernelILi32ELi32EfPKPKDF16_PKPDF16_EEviiT1_T2_lllT3_llli.has_recursion, 0
	.set _ZN12_GLOBAL__N_120gemm_ex_scale_kernelILi32ELi32EfPKPKDF16_PKPDF16_EEviiT1_T2_lllT3_llli.has_indirect_call, 0
	.section	.AMDGPU.csdata,"",@progbits
; Kernel info:
; codeLenInByte = 384
; TotalNumSgprs: 22
; NumVgprs: 8
; ScratchSize: 0
; MemoryBound: 0
; FloatMode: 240
; IeeeMode: 1
; LDSByteSize: 0 bytes/workgroup (compile time only)
; SGPRBlocks: 0
; VGPRBlocks: 0
; NumSGPRsForWavesPerEU: 22
; NumVGPRsForWavesPerEU: 8
; Occupancy: 16
; WaveLimiterHint : 1
; COMPUTE_PGM_RSRC2:SCRATCH_EN: 0
; COMPUTE_PGM_RSRC2:USER_SGPR: 6
; COMPUTE_PGM_RSRC2:TRAP_HANDLER: 0
; COMPUTE_PGM_RSRC2:TGID_X_EN: 1
; COMPUTE_PGM_RSRC2:TGID_Y_EN: 1
; COMPUTE_PGM_RSRC2:TGID_Z_EN: 1
; COMPUTE_PGM_RSRC2:TIDIG_COMP_CNT: 1
	.section	.text._ZN12_GLOBAL__N_127rocblas_gemm_batched_kernelIfLi16ELi16ELi64ELi64ELi4ELi64ELi4ELi4ELi64ELc78ELc78EKPKDF16_S3_KPDF16_EEvlllT_PT11_llS8_llS6_PT12_llPT13_lli,"axG",@progbits,_ZN12_GLOBAL__N_127rocblas_gemm_batched_kernelIfLi16ELi16ELi64ELi64ELi4ELi64ELi4ELi4ELi64ELc78ELc78EKPKDF16_S3_KPDF16_EEvlllT_PT11_llS8_llS6_PT12_llPT13_lli,comdat
	.globl	_ZN12_GLOBAL__N_127rocblas_gemm_batched_kernelIfLi16ELi16ELi64ELi64ELi4ELi64ELi4ELi4ELi64ELc78ELc78EKPKDF16_S3_KPDF16_EEvlllT_PT11_llS8_llS6_PT12_llPT13_lli ; -- Begin function _ZN12_GLOBAL__N_127rocblas_gemm_batched_kernelIfLi16ELi16ELi64ELi64ELi4ELi64ELi4ELi4ELi64ELc78ELc78EKPKDF16_S3_KPDF16_EEvlllT_PT11_llS8_llS6_PT12_llPT13_lli
	.p2align	8
	.type	_ZN12_GLOBAL__N_127rocblas_gemm_batched_kernelIfLi16ELi16ELi64ELi64ELi4ELi64ELi4ELi4ELi64ELc78ELc78EKPKDF16_S3_KPDF16_EEvlllT_PT11_llS8_llS6_PT12_llPT13_lli,@function
_ZN12_GLOBAL__N_127rocblas_gemm_batched_kernelIfLi16ELi16ELi64ELi64ELi4ELi64ELi4ELi4ELi64ELc78ELc78EKPKDF16_S3_KPDF16_EEvlllT_PT11_llS8_llS6_PT12_llPT13_lli: ; @_ZN12_GLOBAL__N_127rocblas_gemm_batched_kernelIfLi16ELi16ELi64ELi64ELi4ELi64ELi4ELi4ELi64ELc78ELc78EKPKDF16_S3_KPDF16_EEvlllT_PT11_llS8_llS6_PT12_llPT13_lli
; %bb.0:
	s_clause 0x1
	s_load_dwordx8 s[12:19], s[4:5], 0x58
	s_load_dwordx2 s[28:29], s[4:5], 0x10
	s_mov_b32 s9, 0
	s_load_dwordx4 s[0:3], s[4:5], 0x78
	s_lshl_b64 s[34:35], s[8:9], 3
	s_mov_b32 s10, s7
	v_mov_b32_e32 v18, 0
	v_mov_b32_e32 v21, 0
	;; [unrolled: 1-line block ×14, first 2 shown]
	s_waitcnt lgkmcnt(0)
	s_add_u32 s8, s12, s34
	s_addc_u32 s9, s13, s35
	s_add_u32 s18, s18, s34
	s_addc_u32 s19, s19, s35
	s_load_dwordx2 s[12:13], s[8:9], 0x0
	s_load_dwordx2 s[18:19], s[18:19], 0x0
	v_cmp_lt_i64_e64 s20, s[28:29], 1
	v_mov_b32_e32 v7, 0
	v_mov_b32_e32 v6, 0
	s_ashr_i32 s7, s6, 31
	s_ashr_i32 s11, s10, 31
	s_lshl_b64 s[6:7], s[6:7], 6
	s_and_b32 vcc_lo, exec_lo, s20
	s_lshl_b64 s[30:31], s[10:11], 6
	s_cbranch_vccnz .LBB85_3
; %bb.1:
	v_lshlrev_b32_e32 v2, 4, v1
	s_clause 0x1
	s_load_dwordx4 s[8:11], s[4:5], 0x40
	s_load_dwordx8 s[20:27], s[4:5], 0x20
	v_and_b32_e32 v9, 3, v0
	v_mov_b32_e32 v6, 0
	v_add_nc_u32_e32 v3, v2, v0
	v_add_nc_u32_e32 v23, 0x400, v2
	v_lshlrev_b32_e32 v22, 2, v0
	v_lshlrev_b32_e32 v5, 2, v9
	;; [unrolled: 1-line block ×3, first 2 shown]
	v_lshrrev_b32_e32 v4, 2, v3
	v_and_b32_e32 v10, 63, v3
	v_lshrrev_b32_e32 v11, 6, v3
	v_mov_b32_e32 v14, 0
	v_mov_b32_e32 v15, 0
	v_add_co_u32 v7, s33, v4, s30
	v_add_co_ci_u32_e64 v8, null, 0, s31, s33
	v_lshlrev_b32_e32 v12, 2, v10
	v_mov_b32_e32 v16, 0
	s_waitcnt lgkmcnt(0)
	v_mul_lo_u32 v13, s9, v7
	v_mul_lo_u32 v8, s8, v8
	v_mad_u64_u32 v[2:3], null, s8, v7, 0
	v_lshl_or_b32 v7, v4, 4, v5
	s_add_u32 s8, s20, s34
	v_mad_u64_u32 v[4:5], null, s22, v11, s[6:7]
	s_addc_u32 s9, s21, s35
	s_add_u32 s20, s26, s34
	v_add3_u32 v3, v3, v8, v13
	s_addc_u32 s21, s27, s35
	s_load_dwordx2 s[8:9], s[8:9], 0x0
	s_load_dwordx2 s[20:21], s[20:21], 0x0
	v_add_nc_u32_e32 v25, 0x400, v7
	v_lshlrev_b64 v[2:3], 1, v[2:3]
	v_mad_u64_u32 v[7:8], null, s23, v11, v[5:6]
	s_lshl_b64 s[10:11], s[10:11], 1
	v_lshl_or_b32 v24, v11, 8, v12
	v_mov_b32_e32 v11, 0
	v_add_co_u32 v5, vcc_lo, v2, s10
	v_add_co_ci_u32_e64 v8, null, s11, v3, vcc_lo
	v_add_co_u32 v2, vcc_lo, v4, v10
	v_add_co_ci_u32_e64 v3, null, 0, v7, vcc_lo
	;; [unrolled: 2-line block ×3, first 2 shown]
	v_lshlrev_b64 v[4:5], 1, v[2:3]
	s_lshl_b64 s[10:11], s[24:25], 1
	s_waitcnt lgkmcnt(0)
	v_add_co_u32 v2, vcc_lo, s20, v7
	s_add_u32 s8, s8, s10
	v_add_co_ci_u32_e64 v3, null, s21, v8, vcc_lo
	s_addc_u32 s9, s9, s11
	v_add_co_u32 v4, vcc_lo, s8, v4
	v_add_co_ci_u32_e64 v5, null, s9, v5, vcc_lo
	v_mov_b32_e32 v7, 0
	v_mov_b32_e32 v8, 0
	;; [unrolled: 1-line block ×11, first 2 shown]
	s_lshl_b64 s[8:9], s[22:23], 3
	s_mov_b64 s[10:11], 0
.LBB85_2:                               ; =>This Inner Loop Header: Depth=1
	flat_load_ushort v26, v[4:5]
	flat_load_ushort v27, v[2:3]
	s_add_u32 s10, s10, 4
	s_addc_u32 s11, s11, 0
	v_add_co_u32 v2, vcc_lo, v2, 8
	v_cmp_lt_i64_e64 s20, s[10:11], s[28:29]
	v_add_co_ci_u32_e64 v3, null, 0, v3, vcc_lo
	v_add_co_u32 v4, vcc_lo, v4, s8
	v_add_co_ci_u32_e64 v5, null, s9, v5, vcc_lo
	s_and_b32 vcc_lo, exec_lo, s20
	s_waitcnt vmcnt(1) lgkmcnt(1)
	v_cvt_f32_f16_e32 v26, v26
	s_waitcnt vmcnt(0) lgkmcnt(0)
	v_cvt_f32_f16_e32 v27, v27
	ds_write_b32 v24, v26
	ds_write_b32 v25, v27
	s_waitcnt lgkmcnt(0)
	s_barrier
	buffer_gl0_inv
	ds_read_b128 v[26:29], v23
	ds_read2_b32 v[42:43], v22 offset1:16
	ds_read2_b32 v[44:45], v22 offset0:32 offset1:48
	ds_read_b128 v[30:33], v23 offset:256
	ds_read_b128 v[34:37], v23 offset:512
	;; [unrolled: 1-line block ×3, first 2 shown]
	ds_read2_b32 v[46:47], v22 offset0:64 offset1:80
	ds_read2_b32 v[48:49], v22 offset0:96 offset1:112
	;; [unrolled: 1-line block ×6, first 2 shown]
	s_waitcnt lgkmcnt(0)
	s_barrier
	buffer_gl0_inv
	v_fmac_f32_e32 v18, v42, v26
	v_fmac_f32_e32 v21, v43, v26
	;; [unrolled: 1-line block ×64, first 2 shown]
	s_cbranch_vccnz .LBB85_2
.LBB85_3:
	s_load_dword s8, s[4:5], 0x50
	s_lshl_b64 s[10:11], s[2:3], 1
	s_load_dword s2, s[4:5], 0x18
	v_add_co_u32 v2, s4, s30, v1
	v_add_co_ci_u32_e64 v5, null, s31, 0, s4
	v_add_co_u32 v0, s4, s6, v0
	v_add_co_ci_u32_e64 v1, null, s7, 0, s4
	v_mul_lo_u32 v3, v5, s0
	v_mul_lo_u32 v4, v2, s1
	s_waitcnt lgkmcnt(0)
	s_add_u32 s3, s18, s10
	v_lshlrev_b64 v[0:1], 1, v[0:1]
	s_addc_u32 s4, s19, s11
	v_cmp_neq_f32_e64 s5, s8, 0
	s_and_b32 vcc_lo, exec_lo, s5
	s_mov_b32 s5, 0
	s_cbranch_vccnz .LBB85_7
; %bb.4:
	v_mad_u64_u32 v[22:23], null, v2, s0, 0
	s_lshl_b64 s[6:7], s[0:1], 5
	v_fma_mixlo_f16 v26, s2, v18, 0
	v_fma_mixlo_f16 v27, s2, v21, 0
	;; [unrolled: 1-line block ×5, first 2 shown]
	v_add3_u32 v23, v23, v4, v3
	v_fma_mixlo_f16 v31, s2, v16, 0
	v_fma_mixlo_f16 v32, s2, v15, 0
	v_fma_mixlo_f16 v33, s2, v14, 0
	v_lshlrev_b64 v[22:23], 1, v[22:23]
	v_add_co_u32 v22, vcc_lo, s3, v22
	v_add_co_ci_u32_e64 v23, null, s4, v23, vcc_lo
	v_add_co_u32 v34, vcc_lo, v22, s6
	v_add_co_ci_u32_e64 v35, null, s7, v23, vcc_lo
	;; [unrolled: 2-line block ×4, first 2 shown]
	flat_store_short v[22:23], v26
	flat_store_short v[22:23], v27 offset:32
	flat_store_short v[22:23], v28 offset:64
	;; [unrolled: 1-line block ×3, first 2 shown]
	flat_store_short v[24:25], v30
	flat_store_short v[24:25], v31 offset:32
	v_add_co_u32 v26, vcc_lo, v34, s6
	v_add_co_ci_u32_e64 v27, null, s7, v35, vcc_lo
	v_fma_mixlo_f16 v28, s2, v13, 0
	v_add_co_u32 v22, vcc_lo, v26, v0
	v_add_co_ci_u32_e64 v23, null, v27, v1, vcc_lo
	v_fma_mixlo_f16 v29, s2, v12, 0
	v_fma_mixlo_f16 v30, s2, v11, 0
	flat_store_short v[24:25], v32 offset:64
	flat_store_short v[24:25], v33 offset:96
	flat_store_short v[22:23], v28
	flat_store_short v[22:23], v29 offset:32
	flat_store_short v[22:23], v30 offset:64
	v_add_co_u32 v24, vcc_lo, v26, s6
	v_add_co_ci_u32_e64 v25, null, s7, v27, vcc_lo
	v_fma_mixlo_f16 v28, s2, v10, 0
	v_add_co_u32 v24, vcc_lo, v24, v0
	v_fma_mixlo_f16 v26, s2, v9, 0
	v_add_co_ci_u32_e64 v25, null, v25, v1, vcc_lo
	v_fma_mixlo_f16 v27, s2, v8, 0
	v_fma_mixlo_f16 v29, s2, v7, 0
	;; [unrolled: 1-line block ×3, first 2 shown]
	flat_store_short v[22:23], v28 offset:96
	flat_store_short v[24:25], v26
	flat_store_short v[24:25], v27 offset:32
	flat_store_short v[24:25], v29 offset:64
	;; [unrolled: 1-line block ×3, first 2 shown]
	s_andn2_b32 vcc_lo, exec_lo, s5
	s_cbranch_vccnz .LBB85_6
.LBB85_5:
	v_mul_lo_u32 v5, v5, s14
	v_mul_lo_u32 v24, v2, s15
	v_mad_u64_u32 v[22:23], null, v2, s14, 0
	s_lshl_b64 s[6:7], s[16:17], 1
	s_add_u32 s5, s12, s6
	s_addc_u32 s6, s13, s7
	v_add3_u32 v23, v23, v24, v5
	v_mad_u64_u32 v[24:25], null, v2, s0, 0
	s_lshl_b64 s[0:1], s[0:1], 5
	v_lshlrev_b64 v[22:23], 1, v[22:23]
	v_add3_u32 v25, v25, v4, v3
	v_add_co_u32 v5, vcc_lo, s5, v22
	v_add_co_ci_u32_e64 v26, null, s6, v23, vcc_lo
	v_lshlrev_b64 v[2:3], 1, v[24:25]
	v_add_co_u32 v22, vcc_lo, v5, v0
	v_add_co_ci_u32_e64 v23, null, v26, v1, vcc_lo
	v_add_co_u32 v24, vcc_lo, s3, v2
	flat_load_ushort v27, v[22:23]
	v_add_co_ci_u32_e64 v25, null, s4, v3, vcc_lo
	v_add_co_u32 v2, vcc_lo, v24, v0
	s_lshl_b64 s[4:5], s[14:15], 5
	v_add_co_ci_u32_e64 v3, null, v25, v1, vcc_lo
	s_waitcnt vmcnt(0) lgkmcnt(0)
	v_cvt_f32_f16_e32 v4, v27
	v_mul_f32_e32 v4, s8, v4
	v_fma_mixlo_f16 v4, s2, v18, v4
	v_add_co_u32 v18, vcc_lo, v5, s4
	flat_store_short v[2:3], v4
	flat_load_ushort v4, v[22:23] offset:32
	s_waitcnt vmcnt(0) lgkmcnt(0)
	v_cvt_f32_f16_e32 v4, v4
	v_mul_f32_e32 v4, s8, v4
	v_fma_mixlo_f16 v4, s2, v21, v4
	flat_store_short v[2:3], v4 offset:32
	flat_load_ushort v4, v[22:23] offset:64
	s_waitcnt vmcnt(0) lgkmcnt(0)
	v_cvt_f32_f16_e32 v4, v4
	v_mul_f32_e32 v4, s8, v4
	v_fma_mixlo_f16 v4, s2, v20, v4
	v_add_co_ci_u32_e64 v20, null, s5, v26, vcc_lo
	flat_store_short v[2:3], v4 offset:64
	flat_load_ushort v4, v[22:23] offset:96
	s_waitcnt vmcnt(0) lgkmcnt(0)
	v_cvt_f32_f16_e32 v4, v4
	v_mul_f32_e32 v4, s8, v4
	v_fma_mixlo_f16 v19, s2, v19, v4
	v_add_co_u32 v4, vcc_lo, v18, v0
	v_add_co_ci_u32_e64 v5, null, v20, v1, vcc_lo
	flat_store_short v[2:3], v19 offset:96
	v_add_co_u32 v19, vcc_lo, v24, s0
	flat_load_ushort v2, v[4:5]
	v_add_co_ci_u32_e64 v21, null, s1, v25, vcc_lo
	s_waitcnt vmcnt(0) lgkmcnt(0)
	v_cvt_f32_f16_e32 v2, v2
	v_mul_f32_e32 v22, s8, v2
	v_add_co_u32 v2, vcc_lo, v19, v0
	v_add_co_ci_u32_e64 v3, null, v21, v1, vcc_lo
	v_fma_mixlo_f16 v17, s2, v17, v22
	flat_store_short v[2:3], v17
	flat_load_ushort v17, v[4:5] offset:32
	s_waitcnt vmcnt(0) lgkmcnt(0)
	v_cvt_f32_f16_e32 v17, v17
	v_mul_f32_e32 v17, s8, v17
	v_fma_mixlo_f16 v16, s2, v16, v17
	flat_store_short v[2:3], v16 offset:32
	flat_load_ushort v16, v[4:5] offset:64
	s_waitcnt vmcnt(0) lgkmcnt(0)
	v_cvt_f32_f16_e32 v16, v16
	v_mul_f32_e32 v16, s8, v16
	v_fma_mixlo_f16 v15, s2, v15, v16
	flat_store_short v[2:3], v15 offset:64
	flat_load_ushort v4, v[4:5] offset:96
	v_add_co_u32 v15, vcc_lo, v18, s4
	v_add_co_ci_u32_e64 v16, null, s5, v20, vcc_lo
	s_waitcnt vmcnt(0) lgkmcnt(0)
	v_cvt_f32_f16_e32 v4, v4
	v_mul_f32_e32 v4, s8, v4
	v_fma_mixlo_f16 v14, s2, v14, v4
	v_add_co_u32 v4, vcc_lo, v15, v0
	v_add_co_ci_u32_e64 v5, null, v16, v1, vcc_lo
	flat_store_short v[2:3], v14 offset:96
	v_add_co_u32 v14, vcc_lo, v19, s0
	flat_load_ushort v2, v[4:5]
	v_add_co_ci_u32_e64 v17, null, s1, v21, vcc_lo
	s_waitcnt vmcnt(0) lgkmcnt(0)
	v_cvt_f32_f16_e32 v2, v2
	v_mul_f32_e32 v18, s8, v2
	v_add_co_u32 v2, vcc_lo, v14, v0
	v_add_co_ci_u32_e64 v3, null, v17, v1, vcc_lo
	v_fma_mixlo_f16 v13, s2, v13, v18
	flat_store_short v[2:3], v13
	flat_load_ushort v13, v[4:5] offset:32
	s_waitcnt vmcnt(0) lgkmcnt(0)
	v_cvt_f32_f16_e32 v13, v13
	v_mul_f32_e32 v13, s8, v13
	v_fma_mixlo_f16 v12, s2, v12, v13
	flat_store_short v[2:3], v12 offset:32
	flat_load_ushort v12, v[4:5] offset:64
	s_waitcnt vmcnt(0) lgkmcnt(0)
	v_cvt_f32_f16_e32 v12, v12
	v_mul_f32_e32 v12, s8, v12
	v_fma_mixlo_f16 v11, s2, v11, v12
	flat_store_short v[2:3], v11 offset:64
	flat_load_ushort v4, v[4:5] offset:96
	v_add_co_u32 v5, vcc_lo, v15, s4
	v_add_co_ci_u32_e64 v11, null, s5, v16, vcc_lo
	s_waitcnt vmcnt(0) lgkmcnt(0)
	v_cvt_f32_f16_e32 v4, v4
	v_mul_f32_e32 v4, s8, v4
	v_fma_mixlo_f16 v10, s2, v10, v4
	v_add_co_u32 v4, vcc_lo, v5, v0
	v_add_co_ci_u32_e64 v5, null, v11, v1, vcc_lo
	flat_store_short v[2:3], v10 offset:96
	v_add_co_u32 v3, vcc_lo, v14, s0
	flat_load_ushort v2, v[4:5]
	v_add_co_ci_u32_e64 v10, null, s1, v17, vcc_lo
	v_add_co_u32 v0, vcc_lo, v3, v0
	v_add_co_ci_u32_e64 v1, null, v10, v1, vcc_lo
	s_waitcnt vmcnt(0) lgkmcnt(0)
	v_cvt_f32_f16_e32 v2, v2
	v_mul_f32_e32 v2, s8, v2
	v_fma_mixlo_f16 v2, s2, v9, v2
	flat_store_short v[0:1], v2
	flat_load_ushort v2, v[4:5] offset:32
	s_waitcnt vmcnt(0) lgkmcnt(0)
	v_cvt_f32_f16_e32 v2, v2
	v_mul_f32_e32 v2, s8, v2
	v_fma_mixlo_f16 v2, s2, v8, v2
	flat_store_short v[0:1], v2 offset:32
	flat_load_ushort v2, v[4:5] offset:64
	s_waitcnt vmcnt(0) lgkmcnt(0)
	v_cvt_f32_f16_e32 v2, v2
	v_mul_f32_e32 v2, s8, v2
	v_fma_mixlo_f16 v2, s2, v7, v2
	flat_store_short v[0:1], v2 offset:64
	;; [unrolled: 6-line block ×3, first 2 shown]
.LBB85_6:
	s_endpgm
.LBB85_7:
	s_branch .LBB85_5
	.section	.rodata,"a",@progbits
	.p2align	6, 0x0
	.amdhsa_kernel _ZN12_GLOBAL__N_127rocblas_gemm_batched_kernelIfLi16ELi16ELi64ELi64ELi4ELi64ELi4ELi4ELi64ELc78ELc78EKPKDF16_S3_KPDF16_EEvlllT_PT11_llS8_llS6_PT12_llPT13_lli
		.amdhsa_group_segment_fixed_size 2048
		.amdhsa_private_segment_fixed_size 0
		.amdhsa_kernarg_size 140
		.amdhsa_user_sgpr_count 6
		.amdhsa_user_sgpr_private_segment_buffer 1
		.amdhsa_user_sgpr_dispatch_ptr 0
		.amdhsa_user_sgpr_queue_ptr 0
		.amdhsa_user_sgpr_kernarg_segment_ptr 1
		.amdhsa_user_sgpr_dispatch_id 0
		.amdhsa_user_sgpr_flat_scratch_init 0
		.amdhsa_user_sgpr_private_segment_size 0
		.amdhsa_wavefront_size32 1
		.amdhsa_uses_dynamic_stack 0
		.amdhsa_system_sgpr_private_segment_wavefront_offset 0
		.amdhsa_system_sgpr_workgroup_id_x 1
		.amdhsa_system_sgpr_workgroup_id_y 1
		.amdhsa_system_sgpr_workgroup_id_z 1
		.amdhsa_system_sgpr_workgroup_info 0
		.amdhsa_system_vgpr_workitem_id 1
		.amdhsa_next_free_vgpr 58
		.amdhsa_next_free_sgpr 36
		.amdhsa_reserve_vcc 1
		.amdhsa_reserve_flat_scratch 0
		.amdhsa_float_round_mode_32 0
		.amdhsa_float_round_mode_16_64 0
		.amdhsa_float_denorm_mode_32 3
		.amdhsa_float_denorm_mode_16_64 3
		.amdhsa_dx10_clamp 1
		.amdhsa_ieee_mode 1
		.amdhsa_fp16_overflow 0
		.amdhsa_workgroup_processor_mode 1
		.amdhsa_memory_ordered 1
		.amdhsa_forward_progress 1
		.amdhsa_shared_vgpr_count 0
		.amdhsa_exception_fp_ieee_invalid_op 0
		.amdhsa_exception_fp_denorm_src 0
		.amdhsa_exception_fp_ieee_div_zero 0
		.amdhsa_exception_fp_ieee_overflow 0
		.amdhsa_exception_fp_ieee_underflow 0
		.amdhsa_exception_fp_ieee_inexact 0
		.amdhsa_exception_int_div_zero 0
	.end_amdhsa_kernel
	.section	.text._ZN12_GLOBAL__N_127rocblas_gemm_batched_kernelIfLi16ELi16ELi64ELi64ELi4ELi64ELi4ELi4ELi64ELc78ELc78EKPKDF16_S3_KPDF16_EEvlllT_PT11_llS8_llS6_PT12_llPT13_lli,"axG",@progbits,_ZN12_GLOBAL__N_127rocblas_gemm_batched_kernelIfLi16ELi16ELi64ELi64ELi4ELi64ELi4ELi4ELi64ELc78ELc78EKPKDF16_S3_KPDF16_EEvlllT_PT11_llS8_llS6_PT12_llPT13_lli,comdat
.Lfunc_end85:
	.size	_ZN12_GLOBAL__N_127rocblas_gemm_batched_kernelIfLi16ELi16ELi64ELi64ELi4ELi64ELi4ELi4ELi64ELc78ELc78EKPKDF16_S3_KPDF16_EEvlllT_PT11_llS8_llS6_PT12_llPT13_lli, .Lfunc_end85-_ZN12_GLOBAL__N_127rocblas_gemm_batched_kernelIfLi16ELi16ELi64ELi64ELi4ELi64ELi4ELi4ELi64ELc78ELc78EKPKDF16_S3_KPDF16_EEvlllT_PT11_llS8_llS6_PT12_llPT13_lli
                                        ; -- End function
	.set _ZN12_GLOBAL__N_127rocblas_gemm_batched_kernelIfLi16ELi16ELi64ELi64ELi4ELi64ELi4ELi4ELi64ELc78ELc78EKPKDF16_S3_KPDF16_EEvlllT_PT11_llS8_llS6_PT12_llPT13_lli.num_vgpr, 58
	.set _ZN12_GLOBAL__N_127rocblas_gemm_batched_kernelIfLi16ELi16ELi64ELi64ELi4ELi64ELi4ELi4ELi64ELc78ELc78EKPKDF16_S3_KPDF16_EEvlllT_PT11_llS8_llS6_PT12_llPT13_lli.num_agpr, 0
	.set _ZN12_GLOBAL__N_127rocblas_gemm_batched_kernelIfLi16ELi16ELi64ELi64ELi4ELi64ELi4ELi4ELi64ELc78ELc78EKPKDF16_S3_KPDF16_EEvlllT_PT11_llS8_llS6_PT12_llPT13_lli.numbered_sgpr, 36
	.set _ZN12_GLOBAL__N_127rocblas_gemm_batched_kernelIfLi16ELi16ELi64ELi64ELi4ELi64ELi4ELi4ELi64ELc78ELc78EKPKDF16_S3_KPDF16_EEvlllT_PT11_llS8_llS6_PT12_llPT13_lli.num_named_barrier, 0
	.set _ZN12_GLOBAL__N_127rocblas_gemm_batched_kernelIfLi16ELi16ELi64ELi64ELi4ELi64ELi4ELi4ELi64ELc78ELc78EKPKDF16_S3_KPDF16_EEvlllT_PT11_llS8_llS6_PT12_llPT13_lli.private_seg_size, 0
	.set _ZN12_GLOBAL__N_127rocblas_gemm_batched_kernelIfLi16ELi16ELi64ELi64ELi4ELi64ELi4ELi4ELi64ELc78ELc78EKPKDF16_S3_KPDF16_EEvlllT_PT11_llS8_llS6_PT12_llPT13_lli.uses_vcc, 1
	.set _ZN12_GLOBAL__N_127rocblas_gemm_batched_kernelIfLi16ELi16ELi64ELi64ELi4ELi64ELi4ELi4ELi64ELc78ELc78EKPKDF16_S3_KPDF16_EEvlllT_PT11_llS8_llS6_PT12_llPT13_lli.uses_flat_scratch, 0
	.set _ZN12_GLOBAL__N_127rocblas_gemm_batched_kernelIfLi16ELi16ELi64ELi64ELi4ELi64ELi4ELi4ELi64ELc78ELc78EKPKDF16_S3_KPDF16_EEvlllT_PT11_llS8_llS6_PT12_llPT13_lli.has_dyn_sized_stack, 0
	.set _ZN12_GLOBAL__N_127rocblas_gemm_batched_kernelIfLi16ELi16ELi64ELi64ELi4ELi64ELi4ELi4ELi64ELc78ELc78EKPKDF16_S3_KPDF16_EEvlllT_PT11_llS8_llS6_PT12_llPT13_lli.has_recursion, 0
	.set _ZN12_GLOBAL__N_127rocblas_gemm_batched_kernelIfLi16ELi16ELi64ELi64ELi4ELi64ELi4ELi4ELi64ELc78ELc78EKPKDF16_S3_KPDF16_EEvlllT_PT11_llS8_llS6_PT12_llPT13_lli.has_indirect_call, 0
	.section	.AMDGPU.csdata,"",@progbits
; Kernel info:
; codeLenInByte = 2492
; TotalNumSgprs: 38
; NumVgprs: 58
; ScratchSize: 0
; MemoryBound: 0
; FloatMode: 240
; IeeeMode: 1
; LDSByteSize: 2048 bytes/workgroup (compile time only)
; SGPRBlocks: 0
; VGPRBlocks: 7
; NumSGPRsForWavesPerEU: 38
; NumVGPRsForWavesPerEU: 58
; Occupancy: 16
; WaveLimiterHint : 1
; COMPUTE_PGM_RSRC2:SCRATCH_EN: 0
; COMPUTE_PGM_RSRC2:USER_SGPR: 6
; COMPUTE_PGM_RSRC2:TRAP_HANDLER: 0
; COMPUTE_PGM_RSRC2:TGID_X_EN: 1
; COMPUTE_PGM_RSRC2:TGID_Y_EN: 1
; COMPUTE_PGM_RSRC2:TGID_Z_EN: 1
; COMPUTE_PGM_RSRC2:TIDIG_COMP_CNT: 1
	.section	.text._ZN12_GLOBAL__N_127rocblas_gemm_batched_kernelIfLi16ELi16ELi64ELi64ELi4ELi64ELi4ELi4ELi64ELc84ELc78EKPKDF16_S3_KPDF16_EEvlllT_PT11_llS8_llS6_PT12_llPT13_lli,"axG",@progbits,_ZN12_GLOBAL__N_127rocblas_gemm_batched_kernelIfLi16ELi16ELi64ELi64ELi4ELi64ELi4ELi4ELi64ELc84ELc78EKPKDF16_S3_KPDF16_EEvlllT_PT11_llS8_llS6_PT12_llPT13_lli,comdat
	.globl	_ZN12_GLOBAL__N_127rocblas_gemm_batched_kernelIfLi16ELi16ELi64ELi64ELi4ELi64ELi4ELi4ELi64ELc84ELc78EKPKDF16_S3_KPDF16_EEvlllT_PT11_llS8_llS6_PT12_llPT13_lli ; -- Begin function _ZN12_GLOBAL__N_127rocblas_gemm_batched_kernelIfLi16ELi16ELi64ELi64ELi4ELi64ELi4ELi4ELi64ELc84ELc78EKPKDF16_S3_KPDF16_EEvlllT_PT11_llS8_llS6_PT12_llPT13_lli
	.p2align	8
	.type	_ZN12_GLOBAL__N_127rocblas_gemm_batched_kernelIfLi16ELi16ELi64ELi64ELi4ELi64ELi4ELi4ELi64ELc84ELc78EKPKDF16_S3_KPDF16_EEvlllT_PT11_llS8_llS6_PT12_llPT13_lli,@function
_ZN12_GLOBAL__N_127rocblas_gemm_batched_kernelIfLi16ELi16ELi64ELi64ELi4ELi64ELi4ELi4ELi64ELc84ELc78EKPKDF16_S3_KPDF16_EEvlllT_PT11_llS8_llS6_PT12_llPT13_lli: ; @_ZN12_GLOBAL__N_127rocblas_gemm_batched_kernelIfLi16ELi16ELi64ELi64ELi4ELi64ELi4ELi4ELi64ELc84ELc78EKPKDF16_S3_KPDF16_EEvlllT_PT11_llS8_llS6_PT12_llPT13_lli
; %bb.0:
	s_clause 0x1
	s_load_dwordx8 s[12:19], s[4:5], 0x58
	s_load_dwordx2 s[28:29], s[4:5], 0x10
	s_mov_b32 s9, 0
	s_load_dwordx4 s[0:3], s[4:5], 0x78
	s_lshl_b64 s[34:35], s[8:9], 3
	s_mov_b32 s10, s7
	v_mov_b32_e32 v18, 0
	v_mov_b32_e32 v21, 0
	;; [unrolled: 1-line block ×14, first 2 shown]
	s_waitcnt lgkmcnt(0)
	s_add_u32 s8, s12, s34
	s_addc_u32 s9, s13, s35
	s_add_u32 s18, s18, s34
	s_addc_u32 s19, s19, s35
	s_load_dwordx2 s[12:13], s[8:9], 0x0
	s_load_dwordx2 s[18:19], s[18:19], 0x0
	v_cmp_lt_i64_e64 s20, s[28:29], 1
	v_mov_b32_e32 v7, 0
	v_mov_b32_e32 v6, 0
	s_ashr_i32 s7, s6, 31
	s_ashr_i32 s11, s10, 31
	s_lshl_b64 s[6:7], s[6:7], 6
	s_and_b32 vcc_lo, exec_lo, s20
	s_lshl_b64 s[30:31], s[10:11], 6
	s_cbranch_vccnz .LBB86_3
; %bb.1:
	v_lshlrev_b32_e32 v7, 4, v1
	s_clause 0x1
	s_load_dwordx8 s[20:27], s[4:5], 0x20
	s_load_dwordx4 s[8:11], s[4:5], 0x40
	v_and_b32_e32 v8, 3, v0
	v_lshlrev_b32_e32 v24, 2, v0
	v_mov_b32_e32 v16, 0
	v_add_nc_u32_e32 v2, v7, v0
	v_add_nc_u32_e32 v25, 0x400, v7
	v_lshlrev_b32_e32 v7, 1, v8
	v_lshlrev_b32_e32 v9, 2, v8
	v_mov_b32_e32 v17, 0
	v_lshrrev_b32_e32 v6, 2, v2
	v_and_b32_e32 v10, 63, v2
	v_lshrrev_b32_e32 v11, 6, v2
	v_mov_b32_e32 v19, 0
	v_mov_b32_e32 v20, 0
	v_add_co_u32 v2, s33, v6, s30
	v_add_co_ci_u32_e64 v3, null, 0, s31, s33
	v_add_co_u32 v4, s33, s6, v10
	v_add_co_ci_u32_e64 v5, null, s7, 0, s33
	s_waitcnt lgkmcnt(0)
	v_mul_lo_u32 v12, s9, v2
	v_mul_lo_u32 v13, s8, v3
	v_mad_u64_u32 v[2:3], null, s8, v2, 0
	v_mul_lo_u32 v14, s23, v4
	v_mul_lo_u32 v15, s22, v5
	v_mad_u64_u32 v[4:5], null, s22, v4, 0
	s_add_u32 s20, s20, s34
	s_addc_u32 s21, s21, s35
	s_add_u32 s26, s26, s34
	v_add3_u32 v3, v3, v13, v12
	s_addc_u32 s27, s27, s35
	s_load_dwordx2 s[20:21], s[20:21], 0x0
	s_load_dwordx2 s[8:9], s[26:27], 0x0
	v_add3_u32 v5, v5, v15, v14
	v_lshlrev_b64 v[2:3], 1, v[2:3]
	s_lshl_b64 s[10:11], s[10:11], 1
	v_lshlrev_b32_e32 v8, 1, v11
	v_lshlrev_b32_e32 v10, 2, v10
	v_lshlrev_b64 v[4:5], 1, v[4:5]
	v_lshl_or_b32 v9, v6, 4, v9
	v_add_co_u32 v2, vcc_lo, v2, s10
	v_add_co_ci_u32_e64 v3, null, s11, v3, vcc_lo
	s_lshl_b64 s[10:11], s[24:25], 1
	v_mov_b32_e32 v6, 0
	v_add_co_u32 v4, vcc_lo, v4, s10
	v_add_co_ci_u32_e64 v5, null, s11, v5, vcc_lo
	v_add_co_u32 v2, vcc_lo, v2, v7
	v_add_co_ci_u32_e64 v3, null, 0, v3, vcc_lo
	;; [unrolled: 2-line block ×3, first 2 shown]
	s_waitcnt lgkmcnt(0)
	v_add_co_u32 v2, vcc_lo, s8, v2
	v_add_co_ci_u32_e64 v3, null, s9, v3, vcc_lo
	v_add_co_u32 v4, vcc_lo, s20, v4
	v_lshl_or_b32 v22, v11, 8, v10
	v_add_nc_u32_e32 v23, 0x400, v9
	v_add_co_ci_u32_e64 v5, null, s21, v5, vcc_lo
	v_mov_b32_e32 v7, 0
	v_mov_b32_e32 v8, 0
	;; [unrolled: 1-line block ×11, first 2 shown]
	s_mov_b64 s[8:9], 0
.LBB86_2:                               ; =>This Inner Loop Header: Depth=1
	flat_load_ushort v26, v[4:5]
	flat_load_ushort v27, v[2:3]
	s_add_u32 s8, s8, 4
	s_addc_u32 s9, s9, 0
	v_add_co_u32 v2, vcc_lo, v2, 8
	v_cmp_lt_i64_e64 s10, s[8:9], s[28:29]
	v_add_co_ci_u32_e64 v3, null, 0, v3, vcc_lo
	v_add_co_u32 v4, vcc_lo, v4, 8
	v_add_co_ci_u32_e64 v5, null, 0, v5, vcc_lo
	s_and_b32 vcc_lo, exec_lo, s10
	s_waitcnt vmcnt(1) lgkmcnt(1)
	v_cvt_f32_f16_e32 v26, v26
	s_waitcnt vmcnt(0) lgkmcnt(0)
	v_cvt_f32_f16_e32 v27, v27
	ds_write_b32 v22, v26
	ds_write_b32 v23, v27
	s_waitcnt lgkmcnt(0)
	s_barrier
	buffer_gl0_inv
	ds_read_b128 v[26:29], v25
	ds_read2_b32 v[42:43], v24 offset1:16
	ds_read2_b32 v[44:45], v24 offset0:32 offset1:48
	ds_read_b128 v[30:33], v25 offset:256
	ds_read_b128 v[34:37], v25 offset:512
	;; [unrolled: 1-line block ×3, first 2 shown]
	ds_read2_b32 v[46:47], v24 offset0:64 offset1:80
	ds_read2_b32 v[48:49], v24 offset0:96 offset1:112
	;; [unrolled: 1-line block ×6, first 2 shown]
	s_waitcnt lgkmcnt(0)
	s_barrier
	buffer_gl0_inv
	v_fmac_f32_e32 v18, v42, v26
	v_fmac_f32_e32 v21, v43, v26
	;; [unrolled: 1-line block ×64, first 2 shown]
	s_cbranch_vccnz .LBB86_2
.LBB86_3:
	s_load_dword s8, s[4:5], 0x50
	s_lshl_b64 s[10:11], s[2:3], 1
	s_load_dword s2, s[4:5], 0x18
	v_add_co_u32 v2, s4, s30, v1
	v_add_co_ci_u32_e64 v5, null, s31, 0, s4
	v_add_co_u32 v0, s4, s6, v0
	v_add_co_ci_u32_e64 v1, null, s7, 0, s4
	v_mul_lo_u32 v3, v5, s0
	v_mul_lo_u32 v4, v2, s1
	s_waitcnt lgkmcnt(0)
	s_add_u32 s3, s18, s10
	v_lshlrev_b64 v[0:1], 1, v[0:1]
	s_addc_u32 s4, s19, s11
	v_cmp_neq_f32_e64 s5, s8, 0
	s_and_b32 vcc_lo, exec_lo, s5
	s_mov_b32 s5, 0
	s_cbranch_vccnz .LBB86_7
; %bb.4:
	v_mad_u64_u32 v[22:23], null, v2, s0, 0
	s_lshl_b64 s[6:7], s[0:1], 5
	v_fma_mixlo_f16 v26, s2, v18, 0
	v_fma_mixlo_f16 v27, s2, v21, 0
	;; [unrolled: 1-line block ×5, first 2 shown]
	v_add3_u32 v23, v23, v4, v3
	v_fma_mixlo_f16 v31, s2, v16, 0
	v_fma_mixlo_f16 v32, s2, v15, 0
	v_fma_mixlo_f16 v33, s2, v14, 0
	v_lshlrev_b64 v[22:23], 1, v[22:23]
	v_add_co_u32 v22, vcc_lo, s3, v22
	v_add_co_ci_u32_e64 v23, null, s4, v23, vcc_lo
	v_add_co_u32 v34, vcc_lo, v22, s6
	v_add_co_ci_u32_e64 v35, null, s7, v23, vcc_lo
	;; [unrolled: 2-line block ×4, first 2 shown]
	flat_store_short v[22:23], v26
	flat_store_short v[22:23], v27 offset:32
	flat_store_short v[22:23], v28 offset:64
	;; [unrolled: 1-line block ×3, first 2 shown]
	flat_store_short v[24:25], v30
	flat_store_short v[24:25], v31 offset:32
	v_add_co_u32 v26, vcc_lo, v34, s6
	v_add_co_ci_u32_e64 v27, null, s7, v35, vcc_lo
	v_fma_mixlo_f16 v28, s2, v13, 0
	v_add_co_u32 v22, vcc_lo, v26, v0
	v_add_co_ci_u32_e64 v23, null, v27, v1, vcc_lo
	v_fma_mixlo_f16 v29, s2, v12, 0
	v_fma_mixlo_f16 v30, s2, v11, 0
	flat_store_short v[24:25], v32 offset:64
	flat_store_short v[24:25], v33 offset:96
	flat_store_short v[22:23], v28
	flat_store_short v[22:23], v29 offset:32
	flat_store_short v[22:23], v30 offset:64
	v_add_co_u32 v24, vcc_lo, v26, s6
	v_add_co_ci_u32_e64 v25, null, s7, v27, vcc_lo
	v_fma_mixlo_f16 v28, s2, v10, 0
	v_add_co_u32 v24, vcc_lo, v24, v0
	v_fma_mixlo_f16 v26, s2, v9, 0
	v_add_co_ci_u32_e64 v25, null, v25, v1, vcc_lo
	v_fma_mixlo_f16 v27, s2, v8, 0
	v_fma_mixlo_f16 v29, s2, v7, 0
	v_fma_mixlo_f16 v30, s2, v6, 0
	flat_store_short v[22:23], v28 offset:96
	flat_store_short v[24:25], v26
	flat_store_short v[24:25], v27 offset:32
	flat_store_short v[24:25], v29 offset:64
	;; [unrolled: 1-line block ×3, first 2 shown]
	s_andn2_b32 vcc_lo, exec_lo, s5
	s_cbranch_vccnz .LBB86_6
.LBB86_5:
	v_mul_lo_u32 v5, v5, s14
	v_mul_lo_u32 v24, v2, s15
	v_mad_u64_u32 v[22:23], null, v2, s14, 0
	s_lshl_b64 s[6:7], s[16:17], 1
	s_add_u32 s5, s12, s6
	s_addc_u32 s6, s13, s7
	v_add3_u32 v23, v23, v24, v5
	v_mad_u64_u32 v[24:25], null, v2, s0, 0
	s_lshl_b64 s[0:1], s[0:1], 5
	v_lshlrev_b64 v[22:23], 1, v[22:23]
	v_add3_u32 v25, v25, v4, v3
	v_add_co_u32 v5, vcc_lo, s5, v22
	v_add_co_ci_u32_e64 v26, null, s6, v23, vcc_lo
	v_lshlrev_b64 v[2:3], 1, v[24:25]
	v_add_co_u32 v22, vcc_lo, v5, v0
	v_add_co_ci_u32_e64 v23, null, v26, v1, vcc_lo
	v_add_co_u32 v24, vcc_lo, s3, v2
	flat_load_ushort v27, v[22:23]
	v_add_co_ci_u32_e64 v25, null, s4, v3, vcc_lo
	v_add_co_u32 v2, vcc_lo, v24, v0
	s_lshl_b64 s[4:5], s[14:15], 5
	v_add_co_ci_u32_e64 v3, null, v25, v1, vcc_lo
	s_waitcnt vmcnt(0) lgkmcnt(0)
	v_cvt_f32_f16_e32 v4, v27
	v_mul_f32_e32 v4, s8, v4
	v_fma_mixlo_f16 v4, s2, v18, v4
	v_add_co_u32 v18, vcc_lo, v5, s4
	flat_store_short v[2:3], v4
	flat_load_ushort v4, v[22:23] offset:32
	s_waitcnt vmcnt(0) lgkmcnt(0)
	v_cvt_f32_f16_e32 v4, v4
	v_mul_f32_e32 v4, s8, v4
	v_fma_mixlo_f16 v4, s2, v21, v4
	flat_store_short v[2:3], v4 offset:32
	flat_load_ushort v4, v[22:23] offset:64
	s_waitcnt vmcnt(0) lgkmcnt(0)
	v_cvt_f32_f16_e32 v4, v4
	v_mul_f32_e32 v4, s8, v4
	v_fma_mixlo_f16 v4, s2, v20, v4
	v_add_co_ci_u32_e64 v20, null, s5, v26, vcc_lo
	flat_store_short v[2:3], v4 offset:64
	flat_load_ushort v4, v[22:23] offset:96
	s_waitcnt vmcnt(0) lgkmcnt(0)
	v_cvt_f32_f16_e32 v4, v4
	v_mul_f32_e32 v4, s8, v4
	v_fma_mixlo_f16 v19, s2, v19, v4
	v_add_co_u32 v4, vcc_lo, v18, v0
	v_add_co_ci_u32_e64 v5, null, v20, v1, vcc_lo
	flat_store_short v[2:3], v19 offset:96
	v_add_co_u32 v19, vcc_lo, v24, s0
	flat_load_ushort v2, v[4:5]
	v_add_co_ci_u32_e64 v21, null, s1, v25, vcc_lo
	s_waitcnt vmcnt(0) lgkmcnt(0)
	v_cvt_f32_f16_e32 v2, v2
	v_mul_f32_e32 v22, s8, v2
	v_add_co_u32 v2, vcc_lo, v19, v0
	v_add_co_ci_u32_e64 v3, null, v21, v1, vcc_lo
	v_fma_mixlo_f16 v17, s2, v17, v22
	flat_store_short v[2:3], v17
	flat_load_ushort v17, v[4:5] offset:32
	s_waitcnt vmcnt(0) lgkmcnt(0)
	v_cvt_f32_f16_e32 v17, v17
	v_mul_f32_e32 v17, s8, v17
	v_fma_mixlo_f16 v16, s2, v16, v17
	flat_store_short v[2:3], v16 offset:32
	flat_load_ushort v16, v[4:5] offset:64
	s_waitcnt vmcnt(0) lgkmcnt(0)
	v_cvt_f32_f16_e32 v16, v16
	v_mul_f32_e32 v16, s8, v16
	v_fma_mixlo_f16 v15, s2, v15, v16
	flat_store_short v[2:3], v15 offset:64
	flat_load_ushort v4, v[4:5] offset:96
	v_add_co_u32 v15, vcc_lo, v18, s4
	v_add_co_ci_u32_e64 v16, null, s5, v20, vcc_lo
	s_waitcnt vmcnt(0) lgkmcnt(0)
	v_cvt_f32_f16_e32 v4, v4
	v_mul_f32_e32 v4, s8, v4
	v_fma_mixlo_f16 v14, s2, v14, v4
	v_add_co_u32 v4, vcc_lo, v15, v0
	v_add_co_ci_u32_e64 v5, null, v16, v1, vcc_lo
	flat_store_short v[2:3], v14 offset:96
	v_add_co_u32 v14, vcc_lo, v19, s0
	flat_load_ushort v2, v[4:5]
	v_add_co_ci_u32_e64 v17, null, s1, v21, vcc_lo
	s_waitcnt vmcnt(0) lgkmcnt(0)
	v_cvt_f32_f16_e32 v2, v2
	v_mul_f32_e32 v18, s8, v2
	v_add_co_u32 v2, vcc_lo, v14, v0
	v_add_co_ci_u32_e64 v3, null, v17, v1, vcc_lo
	v_fma_mixlo_f16 v13, s2, v13, v18
	flat_store_short v[2:3], v13
	flat_load_ushort v13, v[4:5] offset:32
	s_waitcnt vmcnt(0) lgkmcnt(0)
	v_cvt_f32_f16_e32 v13, v13
	v_mul_f32_e32 v13, s8, v13
	v_fma_mixlo_f16 v12, s2, v12, v13
	flat_store_short v[2:3], v12 offset:32
	flat_load_ushort v12, v[4:5] offset:64
	s_waitcnt vmcnt(0) lgkmcnt(0)
	v_cvt_f32_f16_e32 v12, v12
	v_mul_f32_e32 v12, s8, v12
	v_fma_mixlo_f16 v11, s2, v11, v12
	flat_store_short v[2:3], v11 offset:64
	flat_load_ushort v4, v[4:5] offset:96
	v_add_co_u32 v5, vcc_lo, v15, s4
	v_add_co_ci_u32_e64 v11, null, s5, v16, vcc_lo
	s_waitcnt vmcnt(0) lgkmcnt(0)
	v_cvt_f32_f16_e32 v4, v4
	v_mul_f32_e32 v4, s8, v4
	v_fma_mixlo_f16 v10, s2, v10, v4
	v_add_co_u32 v4, vcc_lo, v5, v0
	v_add_co_ci_u32_e64 v5, null, v11, v1, vcc_lo
	flat_store_short v[2:3], v10 offset:96
	v_add_co_u32 v3, vcc_lo, v14, s0
	flat_load_ushort v2, v[4:5]
	v_add_co_ci_u32_e64 v10, null, s1, v17, vcc_lo
	v_add_co_u32 v0, vcc_lo, v3, v0
	v_add_co_ci_u32_e64 v1, null, v10, v1, vcc_lo
	s_waitcnt vmcnt(0) lgkmcnt(0)
	v_cvt_f32_f16_e32 v2, v2
	v_mul_f32_e32 v2, s8, v2
	v_fma_mixlo_f16 v2, s2, v9, v2
	flat_store_short v[0:1], v2
	flat_load_ushort v2, v[4:5] offset:32
	s_waitcnt vmcnt(0) lgkmcnt(0)
	v_cvt_f32_f16_e32 v2, v2
	v_mul_f32_e32 v2, s8, v2
	v_fma_mixlo_f16 v2, s2, v8, v2
	flat_store_short v[0:1], v2 offset:32
	flat_load_ushort v2, v[4:5] offset:64
	s_waitcnt vmcnt(0) lgkmcnt(0)
	v_cvt_f32_f16_e32 v2, v2
	v_mul_f32_e32 v2, s8, v2
	v_fma_mixlo_f16 v2, s2, v7, v2
	flat_store_short v[0:1], v2 offset:64
	;; [unrolled: 6-line block ×3, first 2 shown]
.LBB86_6:
	s_endpgm
.LBB86_7:
	s_branch .LBB86_5
	.section	.rodata,"a",@progbits
	.p2align	6, 0x0
	.amdhsa_kernel _ZN12_GLOBAL__N_127rocblas_gemm_batched_kernelIfLi16ELi16ELi64ELi64ELi4ELi64ELi4ELi4ELi64ELc84ELc78EKPKDF16_S3_KPDF16_EEvlllT_PT11_llS8_llS6_PT12_llPT13_lli
		.amdhsa_group_segment_fixed_size 2048
		.amdhsa_private_segment_fixed_size 0
		.amdhsa_kernarg_size 140
		.amdhsa_user_sgpr_count 6
		.amdhsa_user_sgpr_private_segment_buffer 1
		.amdhsa_user_sgpr_dispatch_ptr 0
		.amdhsa_user_sgpr_queue_ptr 0
		.amdhsa_user_sgpr_kernarg_segment_ptr 1
		.amdhsa_user_sgpr_dispatch_id 0
		.amdhsa_user_sgpr_flat_scratch_init 0
		.amdhsa_user_sgpr_private_segment_size 0
		.amdhsa_wavefront_size32 1
		.amdhsa_uses_dynamic_stack 0
		.amdhsa_system_sgpr_private_segment_wavefront_offset 0
		.amdhsa_system_sgpr_workgroup_id_x 1
		.amdhsa_system_sgpr_workgroup_id_y 1
		.amdhsa_system_sgpr_workgroup_id_z 1
		.amdhsa_system_sgpr_workgroup_info 0
		.amdhsa_system_vgpr_workitem_id 1
		.amdhsa_next_free_vgpr 58
		.amdhsa_next_free_sgpr 36
		.amdhsa_reserve_vcc 1
		.amdhsa_reserve_flat_scratch 0
		.amdhsa_float_round_mode_32 0
		.amdhsa_float_round_mode_16_64 0
		.amdhsa_float_denorm_mode_32 3
		.amdhsa_float_denorm_mode_16_64 3
		.amdhsa_dx10_clamp 1
		.amdhsa_ieee_mode 1
		.amdhsa_fp16_overflow 0
		.amdhsa_workgroup_processor_mode 1
		.amdhsa_memory_ordered 1
		.amdhsa_forward_progress 1
		.amdhsa_shared_vgpr_count 0
		.amdhsa_exception_fp_ieee_invalid_op 0
		.amdhsa_exception_fp_denorm_src 0
		.amdhsa_exception_fp_ieee_div_zero 0
		.amdhsa_exception_fp_ieee_overflow 0
		.amdhsa_exception_fp_ieee_underflow 0
		.amdhsa_exception_fp_ieee_inexact 0
		.amdhsa_exception_int_div_zero 0
	.end_amdhsa_kernel
	.section	.text._ZN12_GLOBAL__N_127rocblas_gemm_batched_kernelIfLi16ELi16ELi64ELi64ELi4ELi64ELi4ELi4ELi64ELc84ELc78EKPKDF16_S3_KPDF16_EEvlllT_PT11_llS8_llS6_PT12_llPT13_lli,"axG",@progbits,_ZN12_GLOBAL__N_127rocblas_gemm_batched_kernelIfLi16ELi16ELi64ELi64ELi4ELi64ELi4ELi4ELi64ELc84ELc78EKPKDF16_S3_KPDF16_EEvlllT_PT11_llS8_llS6_PT12_llPT13_lli,comdat
.Lfunc_end86:
	.size	_ZN12_GLOBAL__N_127rocblas_gemm_batched_kernelIfLi16ELi16ELi64ELi64ELi4ELi64ELi4ELi4ELi64ELc84ELc78EKPKDF16_S3_KPDF16_EEvlllT_PT11_llS8_llS6_PT12_llPT13_lli, .Lfunc_end86-_ZN12_GLOBAL__N_127rocblas_gemm_batched_kernelIfLi16ELi16ELi64ELi64ELi4ELi64ELi4ELi4ELi64ELc84ELc78EKPKDF16_S3_KPDF16_EEvlllT_PT11_llS8_llS6_PT12_llPT13_lli
                                        ; -- End function
	.set _ZN12_GLOBAL__N_127rocblas_gemm_batched_kernelIfLi16ELi16ELi64ELi64ELi4ELi64ELi4ELi4ELi64ELc84ELc78EKPKDF16_S3_KPDF16_EEvlllT_PT11_llS8_llS6_PT12_llPT13_lli.num_vgpr, 58
	.set _ZN12_GLOBAL__N_127rocblas_gemm_batched_kernelIfLi16ELi16ELi64ELi64ELi4ELi64ELi4ELi4ELi64ELc84ELc78EKPKDF16_S3_KPDF16_EEvlllT_PT11_llS8_llS6_PT12_llPT13_lli.num_agpr, 0
	.set _ZN12_GLOBAL__N_127rocblas_gemm_batched_kernelIfLi16ELi16ELi64ELi64ELi4ELi64ELi4ELi4ELi64ELc84ELc78EKPKDF16_S3_KPDF16_EEvlllT_PT11_llS8_llS6_PT12_llPT13_lli.numbered_sgpr, 36
	.set _ZN12_GLOBAL__N_127rocblas_gemm_batched_kernelIfLi16ELi16ELi64ELi64ELi4ELi64ELi4ELi4ELi64ELc84ELc78EKPKDF16_S3_KPDF16_EEvlllT_PT11_llS8_llS6_PT12_llPT13_lli.num_named_barrier, 0
	.set _ZN12_GLOBAL__N_127rocblas_gemm_batched_kernelIfLi16ELi16ELi64ELi64ELi4ELi64ELi4ELi4ELi64ELc84ELc78EKPKDF16_S3_KPDF16_EEvlllT_PT11_llS8_llS6_PT12_llPT13_lli.private_seg_size, 0
	.set _ZN12_GLOBAL__N_127rocblas_gemm_batched_kernelIfLi16ELi16ELi64ELi64ELi4ELi64ELi4ELi4ELi64ELc84ELc78EKPKDF16_S3_KPDF16_EEvlllT_PT11_llS8_llS6_PT12_llPT13_lli.uses_vcc, 1
	.set _ZN12_GLOBAL__N_127rocblas_gemm_batched_kernelIfLi16ELi16ELi64ELi64ELi4ELi64ELi4ELi4ELi64ELc84ELc78EKPKDF16_S3_KPDF16_EEvlllT_PT11_llS8_llS6_PT12_llPT13_lli.uses_flat_scratch, 0
	.set _ZN12_GLOBAL__N_127rocblas_gemm_batched_kernelIfLi16ELi16ELi64ELi64ELi4ELi64ELi4ELi4ELi64ELc84ELc78EKPKDF16_S3_KPDF16_EEvlllT_PT11_llS8_llS6_PT12_llPT13_lli.has_dyn_sized_stack, 0
	.set _ZN12_GLOBAL__N_127rocblas_gemm_batched_kernelIfLi16ELi16ELi64ELi64ELi4ELi64ELi4ELi4ELi64ELc84ELc78EKPKDF16_S3_KPDF16_EEvlllT_PT11_llS8_llS6_PT12_llPT13_lli.has_recursion, 0
	.set _ZN12_GLOBAL__N_127rocblas_gemm_batched_kernelIfLi16ELi16ELi64ELi64ELi4ELi64ELi4ELi4ELi64ELc84ELc78EKPKDF16_S3_KPDF16_EEvlllT_PT11_llS8_llS6_PT12_llPT13_lli.has_indirect_call, 0
	.section	.AMDGPU.csdata,"",@progbits
; Kernel info:
; codeLenInByte = 2532
; TotalNumSgprs: 38
; NumVgprs: 58
; ScratchSize: 0
; MemoryBound: 0
; FloatMode: 240
; IeeeMode: 1
; LDSByteSize: 2048 bytes/workgroup (compile time only)
; SGPRBlocks: 0
; VGPRBlocks: 7
; NumSGPRsForWavesPerEU: 38
; NumVGPRsForWavesPerEU: 58
; Occupancy: 16
; WaveLimiterHint : 1
; COMPUTE_PGM_RSRC2:SCRATCH_EN: 0
; COMPUTE_PGM_RSRC2:USER_SGPR: 6
; COMPUTE_PGM_RSRC2:TRAP_HANDLER: 0
; COMPUTE_PGM_RSRC2:TGID_X_EN: 1
; COMPUTE_PGM_RSRC2:TGID_Y_EN: 1
; COMPUTE_PGM_RSRC2:TGID_Z_EN: 1
; COMPUTE_PGM_RSRC2:TIDIG_COMP_CNT: 1
	.section	.text._ZN12_GLOBAL__N_127rocblas_gemm_batched_kernelIfLi16ELi16ELi64ELi64ELi4ELi64ELi4ELi4ELi64ELc78ELc84EKPKDF16_S3_KPDF16_EEvlllT_PT11_llS8_llS6_PT12_llPT13_lli,"axG",@progbits,_ZN12_GLOBAL__N_127rocblas_gemm_batched_kernelIfLi16ELi16ELi64ELi64ELi4ELi64ELi4ELi4ELi64ELc78ELc84EKPKDF16_S3_KPDF16_EEvlllT_PT11_llS8_llS6_PT12_llPT13_lli,comdat
	.globl	_ZN12_GLOBAL__N_127rocblas_gemm_batched_kernelIfLi16ELi16ELi64ELi64ELi4ELi64ELi4ELi4ELi64ELc78ELc84EKPKDF16_S3_KPDF16_EEvlllT_PT11_llS8_llS6_PT12_llPT13_lli ; -- Begin function _ZN12_GLOBAL__N_127rocblas_gemm_batched_kernelIfLi16ELi16ELi64ELi64ELi4ELi64ELi4ELi4ELi64ELc78ELc84EKPKDF16_S3_KPDF16_EEvlllT_PT11_llS8_llS6_PT12_llPT13_lli
	.p2align	8
	.type	_ZN12_GLOBAL__N_127rocblas_gemm_batched_kernelIfLi16ELi16ELi64ELi64ELi4ELi64ELi4ELi4ELi64ELc78ELc84EKPKDF16_S3_KPDF16_EEvlllT_PT11_llS8_llS6_PT12_llPT13_lli,@function
_ZN12_GLOBAL__N_127rocblas_gemm_batched_kernelIfLi16ELi16ELi64ELi64ELi4ELi64ELi4ELi4ELi64ELc78ELc84EKPKDF16_S3_KPDF16_EEvlllT_PT11_llS8_llS6_PT12_llPT13_lli: ; @_ZN12_GLOBAL__N_127rocblas_gemm_batched_kernelIfLi16ELi16ELi64ELi64ELi4ELi64ELi4ELi4ELi64ELc78ELc84EKPKDF16_S3_KPDF16_EEvlllT_PT11_llS8_llS6_PT12_llPT13_lli
; %bb.0:
	s_clause 0x1
	s_load_dwordx8 s[12:19], s[4:5], 0x58
	s_load_dwordx2 s[28:29], s[4:5], 0x10
	s_mov_b32 s9, 0
	s_load_dwordx4 s[0:3], s[4:5], 0x78
	s_lshl_b64 s[34:35], s[8:9], 3
	s_mov_b32 s10, s7
	v_mov_b32_e32 v18, 0
	v_mov_b32_e32 v21, 0
	v_mov_b32_e32 v20, 0
	v_mov_b32_e32 v19, 0
	v_mov_b32_e32 v17, 0
	v_mov_b32_e32 v16, 0
	v_mov_b32_e32 v15, 0
	v_mov_b32_e32 v14, 0
	v_mov_b32_e32 v13, 0
	v_mov_b32_e32 v12, 0
	v_mov_b32_e32 v11, 0
	v_mov_b32_e32 v10, 0
	v_mov_b32_e32 v9, 0
	v_mov_b32_e32 v8, 0
	s_waitcnt lgkmcnt(0)
	s_add_u32 s8, s12, s34
	s_addc_u32 s9, s13, s35
	s_add_u32 s18, s18, s34
	s_addc_u32 s19, s19, s35
	s_load_dwordx2 s[12:13], s[8:9], 0x0
	s_load_dwordx2 s[18:19], s[18:19], 0x0
	v_cmp_lt_i64_e64 s20, s[28:29], 1
	v_mov_b32_e32 v2, 0
	v_mov_b32_e32 v3, 0
	s_ashr_i32 s7, s6, 31
	s_ashr_i32 s11, s10, 31
	s_lshl_b64 s[6:7], s[6:7], 6
	s_and_b32 vcc_lo, exec_lo, s20
	s_lshl_b64 s[30:31], s[10:11], 6
	s_cbranch_vccnz .LBB87_3
; %bb.1:
	s_clause 0x1
	s_load_dwordx8 s[20:27], s[4:5], 0x20
	s_load_dwordx4 s[8:11], s[4:5], 0x40
	v_lshlrev_b32_e32 v8, 4, v1
	v_and_b32_e32 v9, 3, v0
	v_mov_b32_e32 v3, 0
	v_lshlrev_b32_e32 v22, 2, v0
	v_add_nc_u32_e32 v4, v8, v0
	v_lshlrev_b32_e32 v11, 2, v9
	v_add_nc_u32_e32 v23, 0x400, v8
	v_mov_b32_e32 v14, v3
	v_mov_b32_e32 v15, v3
	v_lshrrev_b32_e32 v2, 2, v4
	v_lshrrev_b32_e32 v12, 6, v4
	v_and_b32_e32 v10, 63, v4
	v_mov_b32_e32 v16, v3
	v_mov_b32_e32 v17, v3
	v_lshl_or_b32 v11, v2, 4, v11
	v_mov_b32_e32 v19, v3
	v_lshlrev_b32_e32 v13, 2, v10
	s_waitcnt lgkmcnt(0)
	v_mad_u64_u32 v[6:7], null, s22, v12, s[6:7]
	v_mad_u64_u32 v[4:5], null, s8, v9, v[2:3]
	s_add_u32 s20, s20, s34
	s_addc_u32 s21, s21, s35
	s_add_u32 s26, s26, s34
	s_addc_u32 s27, s27, s35
	s_load_dwordx2 s[20:21], s[20:21], 0x0
	s_load_dwordx2 s[26:27], s[26:27], 0x0
	v_mov_b32_e32 v2, v5
	v_mov_b32_e32 v5, v7
	v_add_co_u32 v4, vcc_lo, v4, s30
	s_lshl_b64 s[10:11], s[10:11], 1
	v_mad_u64_u32 v[7:8], null, s9, v9, v[2:3]
	v_mad_u64_u32 v[8:9], null, s23, v12, v[5:6]
	v_lshl_or_b32 v24, v12, 8, v13
	v_add_nc_u32_e32 v25, 0x400, v11
	v_mov_b32_e32 v2, v3
	v_mov_b32_e32 v9, v3
	v_add_co_ci_u32_e64 v5, null, s31, v7, vcc_lo
	v_add_co_u32 v6, vcc_lo, v6, v10
	v_add_co_ci_u32_e64 v7, null, 0, v8, vcc_lo
	v_lshlrev_b64 v[4:5], 1, v[4:5]
	s_waitcnt lgkmcnt(0)
	s_add_u32 s26, s26, s10
	s_addc_u32 s27, s27, s11
	v_lshlrev_b64 v[6:7], 1, v[6:7]
	s_lshl_b64 s[10:11], s[24:25], 1
	s_lshl_b64 s[8:9], s[8:9], 3
	s_add_u32 s10, s20, s10
	v_add_co_u32 v4, vcc_lo, s26, v4
	s_addc_u32 s11, s21, s11
	v_add_co_ci_u32_e64 v5, null, s27, v5, vcc_lo
	v_add_co_u32 v6, vcc_lo, s10, v6
	v_add_co_ci_u32_e64 v7, null, s11, v7, vcc_lo
	v_mov_b32_e32 v8, v3
	v_mov_b32_e32 v10, v3
	;; [unrolled: 1-line block ×8, first 2 shown]
	s_lshl_b64 s[10:11], s[22:23], 3
	s_mov_b64 s[20:21], 0
.LBB87_2:                               ; =>This Inner Loop Header: Depth=1
	flat_load_ushort v26, v[6:7]
	flat_load_ushort v27, v[4:5]
	s_add_u32 s20, s20, 4
	s_addc_u32 s21, s21, 0
	v_add_co_u32 v4, vcc_lo, v4, s8
	v_cmp_lt_i64_e64 s22, s[20:21], s[28:29]
	v_add_co_ci_u32_e64 v5, null, s9, v5, vcc_lo
	v_add_co_u32 v6, vcc_lo, v6, s10
	v_add_co_ci_u32_e64 v7, null, s11, v7, vcc_lo
	s_and_b32 vcc_lo, exec_lo, s22
	s_waitcnt vmcnt(1) lgkmcnt(1)
	v_cvt_f32_f16_e32 v26, v26
	s_waitcnt vmcnt(0) lgkmcnt(0)
	v_cvt_f32_f16_e32 v27, v27
	ds_write_b32 v24, v26
	ds_write_b32 v25, v27
	s_waitcnt lgkmcnt(0)
	s_barrier
	buffer_gl0_inv
	ds_read_b128 v[26:29], v23
	ds_read2_b32 v[42:43], v22 offset1:16
	ds_read2_b32 v[44:45], v22 offset0:32 offset1:48
	ds_read_b128 v[30:33], v23 offset:256
	ds_read_b128 v[34:37], v23 offset:512
	;; [unrolled: 1-line block ×3, first 2 shown]
	ds_read2_b32 v[46:47], v22 offset0:64 offset1:80
	ds_read2_b32 v[48:49], v22 offset0:96 offset1:112
	;; [unrolled: 1-line block ×6, first 2 shown]
	s_waitcnt lgkmcnt(0)
	s_barrier
	buffer_gl0_inv
	v_fmac_f32_e32 v18, v42, v26
	v_fmac_f32_e32 v21, v43, v26
	;; [unrolled: 1-line block ×64, first 2 shown]
	s_cbranch_vccnz .LBB87_2
.LBB87_3:
	s_load_dword s8, s[4:5], 0x50
	s_lshl_b64 s[10:11], s[2:3], 1
	s_load_dword s2, s[4:5], 0x18
	v_add_co_u32 v4, s4, s30, v1
	v_add_co_ci_u32_e64 v7, null, s31, 0, s4
	v_add_co_u32 v0, s4, s6, v0
	v_add_co_ci_u32_e64 v1, null, s7, 0, s4
	v_mul_lo_u32 v5, v7, s0
	v_mul_lo_u32 v6, v4, s1
	s_waitcnt lgkmcnt(0)
	s_add_u32 s3, s18, s10
	v_lshlrev_b64 v[0:1], 1, v[0:1]
	s_addc_u32 s4, s19, s11
	v_cmp_neq_f32_e64 s5, s8, 0
	s_and_b32 vcc_lo, exec_lo, s5
	s_mov_b32 s5, 0
	s_cbranch_vccnz .LBB87_7
; %bb.4:
	v_mad_u64_u32 v[22:23], null, v4, s0, 0
	s_lshl_b64 s[6:7], s[0:1], 5
	v_fma_mixlo_f16 v26, s2, v18, 0
	v_fma_mixlo_f16 v27, s2, v21, 0
	;; [unrolled: 1-line block ×5, first 2 shown]
	v_add3_u32 v23, v23, v6, v5
	v_fma_mixlo_f16 v31, s2, v16, 0
	v_fma_mixlo_f16 v32, s2, v15, 0
	;; [unrolled: 1-line block ×3, first 2 shown]
	v_lshlrev_b64 v[22:23], 1, v[22:23]
	v_add_co_u32 v22, vcc_lo, s3, v22
	v_add_co_ci_u32_e64 v23, null, s4, v23, vcc_lo
	v_add_co_u32 v34, vcc_lo, v22, s6
	v_add_co_ci_u32_e64 v35, null, s7, v23, vcc_lo
	;; [unrolled: 2-line block ×4, first 2 shown]
	flat_store_short v[22:23], v26
	flat_store_short v[22:23], v27 offset:32
	flat_store_short v[22:23], v28 offset:64
	;; [unrolled: 1-line block ×3, first 2 shown]
	flat_store_short v[24:25], v30
	flat_store_short v[24:25], v31 offset:32
	v_add_co_u32 v26, vcc_lo, v34, s6
	v_add_co_ci_u32_e64 v27, null, s7, v35, vcc_lo
	v_fma_mixlo_f16 v28, s2, v13, 0
	v_add_co_u32 v22, vcc_lo, v26, v0
	v_add_co_ci_u32_e64 v23, null, v27, v1, vcc_lo
	v_fma_mixlo_f16 v29, s2, v12, 0
	v_fma_mixlo_f16 v30, s2, v11, 0
	flat_store_short v[24:25], v32 offset:64
	flat_store_short v[24:25], v33 offset:96
	flat_store_short v[22:23], v28
	flat_store_short v[22:23], v29 offset:32
	flat_store_short v[22:23], v30 offset:64
	v_add_co_u32 v24, vcc_lo, v26, s6
	v_add_co_ci_u32_e64 v25, null, s7, v27, vcc_lo
	v_fma_mixlo_f16 v28, s2, v10, 0
	v_add_co_u32 v24, vcc_lo, v24, v0
	v_fma_mixlo_f16 v26, s2, v9, 0
	v_add_co_ci_u32_e64 v25, null, v25, v1, vcc_lo
	v_fma_mixlo_f16 v27, s2, v8, 0
	v_fma_mixlo_f16 v29, s2, v2, 0
	;; [unrolled: 1-line block ×3, first 2 shown]
	flat_store_short v[22:23], v28 offset:96
	flat_store_short v[24:25], v26
	flat_store_short v[24:25], v27 offset:32
	flat_store_short v[24:25], v29 offset:64
	;; [unrolled: 1-line block ×3, first 2 shown]
	s_andn2_b32 vcc_lo, exec_lo, s5
	s_cbranch_vccnz .LBB87_6
.LBB87_5:
	v_mul_lo_u32 v7, v7, s14
	v_mul_lo_u32 v24, v4, s15
	v_mad_u64_u32 v[22:23], null, v4, s14, 0
	s_lshl_b64 s[6:7], s[16:17], 1
	s_add_u32 s5, s12, s6
	s_addc_u32 s6, s13, s7
	v_add3_u32 v23, v23, v24, v7
	v_mad_u64_u32 v[24:25], null, v4, s0, 0
	s_lshl_b64 s[0:1], s[0:1], 5
	v_lshlrev_b64 v[22:23], 1, v[22:23]
	v_add3_u32 v25, v25, v6, v5
	v_add_co_u32 v7, vcc_lo, s5, v22
	v_add_co_ci_u32_e64 v26, null, s6, v23, vcc_lo
	v_lshlrev_b64 v[4:5], 1, v[24:25]
	v_add_co_u32 v22, vcc_lo, v7, v0
	v_add_co_ci_u32_e64 v23, null, v26, v1, vcc_lo
	v_add_co_u32 v24, vcc_lo, s3, v4
	flat_load_ushort v27, v[22:23]
	v_add_co_ci_u32_e64 v25, null, s4, v5, vcc_lo
	v_add_co_u32 v4, vcc_lo, v24, v0
	s_lshl_b64 s[4:5], s[14:15], 5
	v_add_co_ci_u32_e64 v5, null, v25, v1, vcc_lo
	s_waitcnt vmcnt(0) lgkmcnt(0)
	v_cvt_f32_f16_e32 v6, v27
	v_mul_f32_e32 v6, s8, v6
	v_fma_mixlo_f16 v6, s2, v18, v6
	v_add_co_u32 v18, vcc_lo, v7, s4
	flat_store_short v[4:5], v6
	flat_load_ushort v6, v[22:23] offset:32
	s_waitcnt vmcnt(0) lgkmcnt(0)
	v_cvt_f32_f16_e32 v6, v6
	v_mul_f32_e32 v6, s8, v6
	v_fma_mixlo_f16 v6, s2, v21, v6
	flat_store_short v[4:5], v6 offset:32
	flat_load_ushort v6, v[22:23] offset:64
	s_waitcnt vmcnt(0) lgkmcnt(0)
	v_cvt_f32_f16_e32 v6, v6
	v_mul_f32_e32 v6, s8, v6
	v_fma_mixlo_f16 v6, s2, v20, v6
	v_add_co_ci_u32_e64 v20, null, s5, v26, vcc_lo
	flat_store_short v[4:5], v6 offset:64
	flat_load_ushort v6, v[22:23] offset:96
	s_waitcnt vmcnt(0) lgkmcnt(0)
	v_cvt_f32_f16_e32 v6, v6
	v_mul_f32_e32 v6, s8, v6
	v_fma_mixlo_f16 v19, s2, v19, v6
	v_add_co_u32 v6, vcc_lo, v18, v0
	v_add_co_ci_u32_e64 v7, null, v20, v1, vcc_lo
	flat_store_short v[4:5], v19 offset:96
	v_add_co_u32 v19, vcc_lo, v24, s0
	flat_load_ushort v4, v[6:7]
	v_add_co_ci_u32_e64 v21, null, s1, v25, vcc_lo
	s_waitcnt vmcnt(0) lgkmcnt(0)
	v_cvt_f32_f16_e32 v4, v4
	v_mul_f32_e32 v22, s8, v4
	v_add_co_u32 v4, vcc_lo, v19, v0
	v_add_co_ci_u32_e64 v5, null, v21, v1, vcc_lo
	v_fma_mixlo_f16 v17, s2, v17, v22
	flat_store_short v[4:5], v17
	flat_load_ushort v17, v[6:7] offset:32
	s_waitcnt vmcnt(0) lgkmcnt(0)
	v_cvt_f32_f16_e32 v17, v17
	v_mul_f32_e32 v17, s8, v17
	v_fma_mixlo_f16 v16, s2, v16, v17
	flat_store_short v[4:5], v16 offset:32
	flat_load_ushort v16, v[6:7] offset:64
	s_waitcnt vmcnt(0) lgkmcnt(0)
	v_cvt_f32_f16_e32 v16, v16
	v_mul_f32_e32 v16, s8, v16
	v_fma_mixlo_f16 v15, s2, v15, v16
	flat_store_short v[4:5], v15 offset:64
	flat_load_ushort v6, v[6:7] offset:96
	v_add_co_u32 v15, vcc_lo, v18, s4
	v_add_co_ci_u32_e64 v16, null, s5, v20, vcc_lo
	s_waitcnt vmcnt(0) lgkmcnt(0)
	v_cvt_f32_f16_e32 v6, v6
	v_mul_f32_e32 v6, s8, v6
	v_fma_mixlo_f16 v14, s2, v14, v6
	v_add_co_u32 v6, vcc_lo, v15, v0
	v_add_co_ci_u32_e64 v7, null, v16, v1, vcc_lo
	flat_store_short v[4:5], v14 offset:96
	v_add_co_u32 v14, vcc_lo, v19, s0
	flat_load_ushort v4, v[6:7]
	v_add_co_ci_u32_e64 v17, null, s1, v21, vcc_lo
	s_waitcnt vmcnt(0) lgkmcnt(0)
	v_cvt_f32_f16_e32 v4, v4
	v_mul_f32_e32 v18, s8, v4
	v_add_co_u32 v4, vcc_lo, v14, v0
	v_add_co_ci_u32_e64 v5, null, v17, v1, vcc_lo
	v_fma_mixlo_f16 v13, s2, v13, v18
	flat_store_short v[4:5], v13
	flat_load_ushort v13, v[6:7] offset:32
	s_waitcnt vmcnt(0) lgkmcnt(0)
	v_cvt_f32_f16_e32 v13, v13
	v_mul_f32_e32 v13, s8, v13
	v_fma_mixlo_f16 v12, s2, v12, v13
	flat_store_short v[4:5], v12 offset:32
	flat_load_ushort v12, v[6:7] offset:64
	s_waitcnt vmcnt(0) lgkmcnt(0)
	v_cvt_f32_f16_e32 v12, v12
	v_mul_f32_e32 v12, s8, v12
	v_fma_mixlo_f16 v11, s2, v11, v12
	flat_store_short v[4:5], v11 offset:64
	flat_load_ushort v6, v[6:7] offset:96
	v_add_co_u32 v7, vcc_lo, v15, s4
	v_add_co_ci_u32_e64 v11, null, s5, v16, vcc_lo
	s_waitcnt vmcnt(0) lgkmcnt(0)
	v_cvt_f32_f16_e32 v6, v6
	v_mul_f32_e32 v6, s8, v6
	v_fma_mixlo_f16 v10, s2, v10, v6
	v_add_co_u32 v6, vcc_lo, v7, v0
	v_add_co_ci_u32_e64 v7, null, v11, v1, vcc_lo
	flat_store_short v[4:5], v10 offset:96
	v_add_co_u32 v5, vcc_lo, v14, s0
	flat_load_ushort v4, v[6:7]
	v_add_co_ci_u32_e64 v10, null, s1, v17, vcc_lo
	v_add_co_u32 v0, vcc_lo, v5, v0
	v_add_co_ci_u32_e64 v1, null, v10, v1, vcc_lo
	s_waitcnt vmcnt(0) lgkmcnt(0)
	v_cvt_f32_f16_e32 v4, v4
	v_mul_f32_e32 v4, s8, v4
	v_fma_mixlo_f16 v4, s2, v9, v4
	flat_store_short v[0:1], v4
	flat_load_ushort v4, v[6:7] offset:32
	s_waitcnt vmcnt(0) lgkmcnt(0)
	v_cvt_f32_f16_e32 v4, v4
	v_mul_f32_e32 v4, s8, v4
	v_fma_mixlo_f16 v4, s2, v8, v4
	flat_store_short v[0:1], v4 offset:32
	flat_load_ushort v4, v[6:7] offset:64
	s_waitcnt vmcnt(0) lgkmcnt(0)
	v_cvt_f32_f16_e32 v4, v4
	v_mul_f32_e32 v4, s8, v4
	v_fma_mixlo_f16 v2, s2, v2, v4
	flat_store_short v[0:1], v2 offset:64
	flat_load_ushort v2, v[6:7] offset:96
	s_waitcnt vmcnt(0) lgkmcnt(0)
	v_cvt_f32_f16_e32 v2, v2
	v_mul_f32_e32 v2, s8, v2
	v_fma_mixlo_f16 v2, s2, v3, v2
	flat_store_short v[0:1], v2 offset:96
.LBB87_6:
	s_endpgm
.LBB87_7:
	s_branch .LBB87_5
	.section	.rodata,"a",@progbits
	.p2align	6, 0x0
	.amdhsa_kernel _ZN12_GLOBAL__N_127rocblas_gemm_batched_kernelIfLi16ELi16ELi64ELi64ELi4ELi64ELi4ELi4ELi64ELc78ELc84EKPKDF16_S3_KPDF16_EEvlllT_PT11_llS8_llS6_PT12_llPT13_lli
		.amdhsa_group_segment_fixed_size 2048
		.amdhsa_private_segment_fixed_size 0
		.amdhsa_kernarg_size 140
		.amdhsa_user_sgpr_count 6
		.amdhsa_user_sgpr_private_segment_buffer 1
		.amdhsa_user_sgpr_dispatch_ptr 0
		.amdhsa_user_sgpr_queue_ptr 0
		.amdhsa_user_sgpr_kernarg_segment_ptr 1
		.amdhsa_user_sgpr_dispatch_id 0
		.amdhsa_user_sgpr_flat_scratch_init 0
		.amdhsa_user_sgpr_private_segment_size 0
		.amdhsa_wavefront_size32 1
		.amdhsa_uses_dynamic_stack 0
		.amdhsa_system_sgpr_private_segment_wavefront_offset 0
		.amdhsa_system_sgpr_workgroup_id_x 1
		.amdhsa_system_sgpr_workgroup_id_y 1
		.amdhsa_system_sgpr_workgroup_id_z 1
		.amdhsa_system_sgpr_workgroup_info 0
		.amdhsa_system_vgpr_workitem_id 1
		.amdhsa_next_free_vgpr 58
		.amdhsa_next_free_sgpr 36
		.amdhsa_reserve_vcc 1
		.amdhsa_reserve_flat_scratch 0
		.amdhsa_float_round_mode_32 0
		.amdhsa_float_round_mode_16_64 0
		.amdhsa_float_denorm_mode_32 3
		.amdhsa_float_denorm_mode_16_64 3
		.amdhsa_dx10_clamp 1
		.amdhsa_ieee_mode 1
		.amdhsa_fp16_overflow 0
		.amdhsa_workgroup_processor_mode 1
		.amdhsa_memory_ordered 1
		.amdhsa_forward_progress 1
		.amdhsa_shared_vgpr_count 0
		.amdhsa_exception_fp_ieee_invalid_op 0
		.amdhsa_exception_fp_denorm_src 0
		.amdhsa_exception_fp_ieee_div_zero 0
		.amdhsa_exception_fp_ieee_overflow 0
		.amdhsa_exception_fp_ieee_underflow 0
		.amdhsa_exception_fp_ieee_inexact 0
		.amdhsa_exception_int_div_zero 0
	.end_amdhsa_kernel
	.section	.text._ZN12_GLOBAL__N_127rocblas_gemm_batched_kernelIfLi16ELi16ELi64ELi64ELi4ELi64ELi4ELi4ELi64ELc78ELc84EKPKDF16_S3_KPDF16_EEvlllT_PT11_llS8_llS6_PT12_llPT13_lli,"axG",@progbits,_ZN12_GLOBAL__N_127rocblas_gemm_batched_kernelIfLi16ELi16ELi64ELi64ELi4ELi64ELi4ELi4ELi64ELc78ELc84EKPKDF16_S3_KPDF16_EEvlllT_PT11_llS8_llS6_PT12_llPT13_lli,comdat
.Lfunc_end87:
	.size	_ZN12_GLOBAL__N_127rocblas_gemm_batched_kernelIfLi16ELi16ELi64ELi64ELi4ELi64ELi4ELi4ELi64ELc78ELc84EKPKDF16_S3_KPDF16_EEvlllT_PT11_llS8_llS6_PT12_llPT13_lli, .Lfunc_end87-_ZN12_GLOBAL__N_127rocblas_gemm_batched_kernelIfLi16ELi16ELi64ELi64ELi4ELi64ELi4ELi4ELi64ELc78ELc84EKPKDF16_S3_KPDF16_EEvlllT_PT11_llS8_llS6_PT12_llPT13_lli
                                        ; -- End function
	.set _ZN12_GLOBAL__N_127rocblas_gemm_batched_kernelIfLi16ELi16ELi64ELi64ELi4ELi64ELi4ELi4ELi64ELc78ELc84EKPKDF16_S3_KPDF16_EEvlllT_PT11_llS8_llS6_PT12_llPT13_lli.num_vgpr, 58
	.set _ZN12_GLOBAL__N_127rocblas_gemm_batched_kernelIfLi16ELi16ELi64ELi64ELi4ELi64ELi4ELi4ELi64ELc78ELc84EKPKDF16_S3_KPDF16_EEvlllT_PT11_llS8_llS6_PT12_llPT13_lli.num_agpr, 0
	.set _ZN12_GLOBAL__N_127rocblas_gemm_batched_kernelIfLi16ELi16ELi64ELi64ELi4ELi64ELi4ELi4ELi64ELc78ELc84EKPKDF16_S3_KPDF16_EEvlllT_PT11_llS8_llS6_PT12_llPT13_lli.numbered_sgpr, 36
	.set _ZN12_GLOBAL__N_127rocblas_gemm_batched_kernelIfLi16ELi16ELi64ELi64ELi4ELi64ELi4ELi4ELi64ELc78ELc84EKPKDF16_S3_KPDF16_EEvlllT_PT11_llS8_llS6_PT12_llPT13_lli.num_named_barrier, 0
	.set _ZN12_GLOBAL__N_127rocblas_gemm_batched_kernelIfLi16ELi16ELi64ELi64ELi4ELi64ELi4ELi4ELi64ELc78ELc84EKPKDF16_S3_KPDF16_EEvlllT_PT11_llS8_llS6_PT12_llPT13_lli.private_seg_size, 0
	.set _ZN12_GLOBAL__N_127rocblas_gemm_batched_kernelIfLi16ELi16ELi64ELi64ELi4ELi64ELi4ELi4ELi64ELc78ELc84EKPKDF16_S3_KPDF16_EEvlllT_PT11_llS8_llS6_PT12_llPT13_lli.uses_vcc, 1
	.set _ZN12_GLOBAL__N_127rocblas_gemm_batched_kernelIfLi16ELi16ELi64ELi64ELi4ELi64ELi4ELi4ELi64ELc78ELc84EKPKDF16_S3_KPDF16_EEvlllT_PT11_llS8_llS6_PT12_llPT13_lli.uses_flat_scratch, 0
	.set _ZN12_GLOBAL__N_127rocblas_gemm_batched_kernelIfLi16ELi16ELi64ELi64ELi4ELi64ELi4ELi4ELi64ELc78ELc84EKPKDF16_S3_KPDF16_EEvlllT_PT11_llS8_llS6_PT12_llPT13_lli.has_dyn_sized_stack, 0
	.set _ZN12_GLOBAL__N_127rocblas_gemm_batched_kernelIfLi16ELi16ELi64ELi64ELi4ELi64ELi4ELi4ELi64ELc78ELc84EKPKDF16_S3_KPDF16_EEvlllT_PT11_llS8_llS6_PT12_llPT13_lli.has_recursion, 0
	.set _ZN12_GLOBAL__N_127rocblas_gemm_batched_kernelIfLi16ELi16ELi64ELi64ELi4ELi64ELi4ELi4ELi64ELc78ELc84EKPKDF16_S3_KPDF16_EEvlllT_PT11_llS8_llS6_PT12_llPT13_lli.has_indirect_call, 0
	.section	.AMDGPU.csdata,"",@progbits
; Kernel info:
; codeLenInByte = 2460
; TotalNumSgprs: 38
; NumVgprs: 58
; ScratchSize: 0
; MemoryBound: 0
; FloatMode: 240
; IeeeMode: 1
; LDSByteSize: 2048 bytes/workgroup (compile time only)
; SGPRBlocks: 0
; VGPRBlocks: 7
; NumSGPRsForWavesPerEU: 38
; NumVGPRsForWavesPerEU: 58
; Occupancy: 16
; WaveLimiterHint : 1
; COMPUTE_PGM_RSRC2:SCRATCH_EN: 0
; COMPUTE_PGM_RSRC2:USER_SGPR: 6
; COMPUTE_PGM_RSRC2:TRAP_HANDLER: 0
; COMPUTE_PGM_RSRC2:TGID_X_EN: 1
; COMPUTE_PGM_RSRC2:TGID_Y_EN: 1
; COMPUTE_PGM_RSRC2:TGID_Z_EN: 1
; COMPUTE_PGM_RSRC2:TIDIG_COMP_CNT: 1
	.section	.text._ZN12_GLOBAL__N_127rocblas_gemm_batched_kernelIfLi16ELi16ELi64ELi64ELi4ELi64ELi4ELi4ELi64ELc84ELc84EKPKDF16_S3_KPDF16_EEvlllT_PT11_llS8_llS6_PT12_llPT13_lli,"axG",@progbits,_ZN12_GLOBAL__N_127rocblas_gemm_batched_kernelIfLi16ELi16ELi64ELi64ELi4ELi64ELi4ELi4ELi64ELc84ELc84EKPKDF16_S3_KPDF16_EEvlllT_PT11_llS8_llS6_PT12_llPT13_lli,comdat
	.globl	_ZN12_GLOBAL__N_127rocblas_gemm_batched_kernelIfLi16ELi16ELi64ELi64ELi4ELi64ELi4ELi4ELi64ELc84ELc84EKPKDF16_S3_KPDF16_EEvlllT_PT11_llS8_llS6_PT12_llPT13_lli ; -- Begin function _ZN12_GLOBAL__N_127rocblas_gemm_batched_kernelIfLi16ELi16ELi64ELi64ELi4ELi64ELi4ELi4ELi64ELc84ELc84EKPKDF16_S3_KPDF16_EEvlllT_PT11_llS8_llS6_PT12_llPT13_lli
	.p2align	8
	.type	_ZN12_GLOBAL__N_127rocblas_gemm_batched_kernelIfLi16ELi16ELi64ELi64ELi4ELi64ELi4ELi4ELi64ELc84ELc84EKPKDF16_S3_KPDF16_EEvlllT_PT11_llS8_llS6_PT12_llPT13_lli,@function
_ZN12_GLOBAL__N_127rocblas_gemm_batched_kernelIfLi16ELi16ELi64ELi64ELi4ELi64ELi4ELi4ELi64ELc84ELc84EKPKDF16_S3_KPDF16_EEvlllT_PT11_llS8_llS6_PT12_llPT13_lli: ; @_ZN12_GLOBAL__N_127rocblas_gemm_batched_kernelIfLi16ELi16ELi64ELi64ELi4ELi64ELi4ELi4ELi64ELc84ELc84EKPKDF16_S3_KPDF16_EEvlllT_PT11_llS8_llS6_PT12_llPT13_lli
; %bb.0:
	s_clause 0x1
	s_load_dwordx8 s[12:19], s[4:5], 0x58
	s_load_dwordx2 s[28:29], s[4:5], 0x10
	s_mov_b32 s9, 0
	s_load_dwordx4 s[0:3], s[4:5], 0x78
	s_lshl_b64 s[34:35], s[8:9], 3
	s_mov_b32 s10, s7
	v_mov_b32_e32 v18, 0
	v_mov_b32_e32 v21, 0
	;; [unrolled: 1-line block ×14, first 2 shown]
	s_waitcnt lgkmcnt(0)
	s_add_u32 s8, s12, s34
	s_addc_u32 s9, s13, s35
	s_add_u32 s18, s18, s34
	s_addc_u32 s19, s19, s35
	s_load_dwordx2 s[12:13], s[8:9], 0x0
	s_load_dwordx2 s[18:19], s[18:19], 0x0
	v_cmp_lt_i64_e64 s20, s[28:29], 1
	v_mov_b32_e32 v2, 0
	v_mov_b32_e32 v3, 0
	s_ashr_i32 s7, s6, 31
	s_ashr_i32 s11, s10, 31
	s_lshl_b64 s[6:7], s[6:7], 6
	s_and_b32 vcc_lo, exec_lo, s20
	s_lshl_b64 s[30:31], s[10:11], 6
	s_cbranch_vccnz .LBB88_3
; %bb.1:
	s_clause 0x1
	s_load_dwordx8 s[20:27], s[4:5], 0x20
	s_load_dwordx4 s[8:11], s[4:5], 0x40
	v_lshlrev_b32_e32 v8, 4, v1
	v_and_b32_e32 v10, 3, v0
	v_mov_b32_e32 v3, 0
	v_lshlrev_b32_e32 v22, 2, v0
	v_add_nc_u32_e32 v9, v8, v0
	v_lshlrev_b32_e32 v12, 2, v10
	v_add_nc_u32_e32 v23, 0x400, v8
	v_mov_b32_e32 v16, v3
	v_mov_b32_e32 v17, v3
	v_and_b32_e32 v11, 63, v9
	v_lshrrev_b32_e32 v2, 2, v9
	v_lshrrev_b32_e32 v9, 6, v9
	v_mov_b32_e32 v19, v3
	v_mov_b32_e32 v20, v3
	v_add_co_u32 v6, s33, s6, v11
	v_add_co_ci_u32_e64 v7, null, s7, 0, s33
	s_waitcnt lgkmcnt(0)
	s_add_u32 s20, s20, s34
	s_addc_u32 s21, s21, s35
	s_add_u32 s26, s26, s34
	s_addc_u32 s27, s27, s35
	v_mad_u64_u32 v[4:5], null, s8, v10, v[2:3]
	s_load_dwordx2 s[26:27], s[26:27], 0x0
	v_mul_lo_u32 v13, s23, v6
	v_mul_lo_u32 v14, s22, v7
	v_mad_u64_u32 v[6:7], null, s22, v6, 0
	v_lshlrev_b32_e32 v11, 2, v11
	v_lshl_or_b32 v12, v2, 4, v12
	v_mov_b32_e32 v2, v5
	v_lshlrev_b32_e32 v15, 1, v9
	s_load_dwordx2 s[20:21], s[20:21], 0x0
	v_lshl_or_b32 v24, v9, 8, v11
	v_add3_u32 v7, v7, v14, v13
	v_mad_u64_u32 v[8:9], null, s9, v10, v[2:3]
	s_lshl_b64 s[10:11], s[10:11], 1
	v_add_nc_u32_e32 v25, 0x400, v12
	v_lshlrev_b64 v[5:6], 1, v[6:7]
	v_add_co_u32 v7, vcc_lo, v4, s30
	v_mov_b32_e32 v9, v3
	v_add_co_ci_u32_e64 v8, null, s31, v8, vcc_lo
	s_waitcnt lgkmcnt(0)
	s_add_u32 s22, s26, s10
	s_addc_u32 s23, s27, s11
	s_lshl_b64 s[10:11], s[24:25], 1
	v_mov_b32_e32 v10, v3
	v_add_co_u32 v2, vcc_lo, v5, s10
	v_add_co_ci_u32_e64 v6, null, s11, v6, vcc_lo
	v_lshlrev_b64 v[4:5], 1, v[7:8]
	v_add_co_u32 v2, vcc_lo, v2, v15
	v_add_co_ci_u32_e64 v7, null, 0, v6, vcc_lo
	v_mov_b32_e32 v8, v3
	v_add_co_u32 v4, vcc_lo, s22, v4
	v_add_co_ci_u32_e64 v5, null, s23, v5, vcc_lo
	v_add_co_u32 v6, vcc_lo, s20, v2
	v_add_co_ci_u32_e64 v7, null, s21, v7, vcc_lo
	v_mov_b32_e32 v2, v3
	v_mov_b32_e32 v11, v3
	;; [unrolled: 1-line block ×8, first 2 shown]
	s_lshl_b64 s[8:9], s[8:9], 3
	s_mov_b64 s[10:11], 0
.LBB88_2:                               ; =>This Inner Loop Header: Depth=1
	flat_load_ushort v26, v[6:7]
	flat_load_ushort v27, v[4:5]
	s_add_u32 s10, s10, 4
	s_addc_u32 s11, s11, 0
	v_add_co_u32 v4, vcc_lo, v4, s8
	v_cmp_lt_i64_e64 s20, s[10:11], s[28:29]
	v_add_co_ci_u32_e64 v5, null, s9, v5, vcc_lo
	v_add_co_u32 v6, vcc_lo, v6, 8
	v_add_co_ci_u32_e64 v7, null, 0, v7, vcc_lo
	s_and_b32 vcc_lo, exec_lo, s20
	s_waitcnt vmcnt(1) lgkmcnt(1)
	v_cvt_f32_f16_e32 v26, v26
	s_waitcnt vmcnt(0) lgkmcnt(0)
	v_cvt_f32_f16_e32 v27, v27
	ds_write_b32 v24, v26
	ds_write_b32 v25, v27
	s_waitcnt lgkmcnt(0)
	s_barrier
	buffer_gl0_inv
	ds_read_b128 v[26:29], v23
	ds_read2_b32 v[42:43], v22 offset1:16
	ds_read2_b32 v[44:45], v22 offset0:32 offset1:48
	ds_read_b128 v[30:33], v23 offset:256
	ds_read_b128 v[34:37], v23 offset:512
	;; [unrolled: 1-line block ×3, first 2 shown]
	ds_read2_b32 v[46:47], v22 offset0:64 offset1:80
	ds_read2_b32 v[48:49], v22 offset0:96 offset1:112
	;; [unrolled: 1-line block ×6, first 2 shown]
	s_waitcnt lgkmcnt(0)
	s_barrier
	buffer_gl0_inv
	v_fmac_f32_e32 v18, v42, v26
	v_fmac_f32_e32 v21, v43, v26
	;; [unrolled: 1-line block ×64, first 2 shown]
	s_cbranch_vccnz .LBB88_2
.LBB88_3:
	s_load_dword s8, s[4:5], 0x50
	s_lshl_b64 s[10:11], s[2:3], 1
	s_load_dword s2, s[4:5], 0x18
	v_add_co_u32 v4, s4, s30, v1
	v_add_co_ci_u32_e64 v7, null, s31, 0, s4
	v_add_co_u32 v0, s4, s6, v0
	v_add_co_ci_u32_e64 v1, null, s7, 0, s4
	v_mul_lo_u32 v5, v7, s0
	v_mul_lo_u32 v6, v4, s1
	s_waitcnt lgkmcnt(0)
	s_add_u32 s3, s18, s10
	v_lshlrev_b64 v[0:1], 1, v[0:1]
	s_addc_u32 s4, s19, s11
	v_cmp_neq_f32_e64 s5, s8, 0
	s_and_b32 vcc_lo, exec_lo, s5
	s_mov_b32 s5, 0
	s_cbranch_vccnz .LBB88_7
; %bb.4:
	v_mad_u64_u32 v[22:23], null, v4, s0, 0
	s_lshl_b64 s[6:7], s[0:1], 5
	v_fma_mixlo_f16 v26, s2, v18, 0
	v_fma_mixlo_f16 v27, s2, v21, 0
	;; [unrolled: 1-line block ×5, first 2 shown]
	v_add3_u32 v23, v23, v6, v5
	v_fma_mixlo_f16 v31, s2, v16, 0
	v_fma_mixlo_f16 v32, s2, v15, 0
	;; [unrolled: 1-line block ×3, first 2 shown]
	v_lshlrev_b64 v[22:23], 1, v[22:23]
	v_add_co_u32 v22, vcc_lo, s3, v22
	v_add_co_ci_u32_e64 v23, null, s4, v23, vcc_lo
	v_add_co_u32 v34, vcc_lo, v22, s6
	v_add_co_ci_u32_e64 v35, null, s7, v23, vcc_lo
	;; [unrolled: 2-line block ×4, first 2 shown]
	flat_store_short v[22:23], v26
	flat_store_short v[22:23], v27 offset:32
	flat_store_short v[22:23], v28 offset:64
	;; [unrolled: 1-line block ×3, first 2 shown]
	flat_store_short v[24:25], v30
	flat_store_short v[24:25], v31 offset:32
	v_add_co_u32 v26, vcc_lo, v34, s6
	v_add_co_ci_u32_e64 v27, null, s7, v35, vcc_lo
	v_fma_mixlo_f16 v28, s2, v13, 0
	v_add_co_u32 v22, vcc_lo, v26, v0
	v_add_co_ci_u32_e64 v23, null, v27, v1, vcc_lo
	v_fma_mixlo_f16 v29, s2, v12, 0
	v_fma_mixlo_f16 v30, s2, v11, 0
	flat_store_short v[24:25], v32 offset:64
	flat_store_short v[24:25], v33 offset:96
	flat_store_short v[22:23], v28
	flat_store_short v[22:23], v29 offset:32
	flat_store_short v[22:23], v30 offset:64
	v_add_co_u32 v24, vcc_lo, v26, s6
	v_add_co_ci_u32_e64 v25, null, s7, v27, vcc_lo
	v_fma_mixlo_f16 v28, s2, v10, 0
	v_add_co_u32 v24, vcc_lo, v24, v0
	v_fma_mixlo_f16 v26, s2, v9, 0
	v_add_co_ci_u32_e64 v25, null, v25, v1, vcc_lo
	v_fma_mixlo_f16 v27, s2, v8, 0
	v_fma_mixlo_f16 v29, s2, v2, 0
	;; [unrolled: 1-line block ×3, first 2 shown]
	flat_store_short v[22:23], v28 offset:96
	flat_store_short v[24:25], v26
	flat_store_short v[24:25], v27 offset:32
	flat_store_short v[24:25], v29 offset:64
	;; [unrolled: 1-line block ×3, first 2 shown]
	s_andn2_b32 vcc_lo, exec_lo, s5
	s_cbranch_vccnz .LBB88_6
.LBB88_5:
	v_mul_lo_u32 v7, v7, s14
	v_mul_lo_u32 v24, v4, s15
	v_mad_u64_u32 v[22:23], null, v4, s14, 0
	s_lshl_b64 s[6:7], s[16:17], 1
	s_add_u32 s5, s12, s6
	s_addc_u32 s6, s13, s7
	v_add3_u32 v23, v23, v24, v7
	v_mad_u64_u32 v[24:25], null, v4, s0, 0
	s_lshl_b64 s[0:1], s[0:1], 5
	v_lshlrev_b64 v[22:23], 1, v[22:23]
	v_add3_u32 v25, v25, v6, v5
	v_add_co_u32 v7, vcc_lo, s5, v22
	v_add_co_ci_u32_e64 v26, null, s6, v23, vcc_lo
	v_lshlrev_b64 v[4:5], 1, v[24:25]
	v_add_co_u32 v22, vcc_lo, v7, v0
	v_add_co_ci_u32_e64 v23, null, v26, v1, vcc_lo
	v_add_co_u32 v24, vcc_lo, s3, v4
	flat_load_ushort v27, v[22:23]
	v_add_co_ci_u32_e64 v25, null, s4, v5, vcc_lo
	v_add_co_u32 v4, vcc_lo, v24, v0
	s_lshl_b64 s[4:5], s[14:15], 5
	v_add_co_ci_u32_e64 v5, null, v25, v1, vcc_lo
	s_waitcnt vmcnt(0) lgkmcnt(0)
	v_cvt_f32_f16_e32 v6, v27
	v_mul_f32_e32 v6, s8, v6
	v_fma_mixlo_f16 v6, s2, v18, v6
	v_add_co_u32 v18, vcc_lo, v7, s4
	flat_store_short v[4:5], v6
	flat_load_ushort v6, v[22:23] offset:32
	s_waitcnt vmcnt(0) lgkmcnt(0)
	v_cvt_f32_f16_e32 v6, v6
	v_mul_f32_e32 v6, s8, v6
	v_fma_mixlo_f16 v6, s2, v21, v6
	flat_store_short v[4:5], v6 offset:32
	flat_load_ushort v6, v[22:23] offset:64
	s_waitcnt vmcnt(0) lgkmcnt(0)
	v_cvt_f32_f16_e32 v6, v6
	v_mul_f32_e32 v6, s8, v6
	v_fma_mixlo_f16 v6, s2, v20, v6
	v_add_co_ci_u32_e64 v20, null, s5, v26, vcc_lo
	flat_store_short v[4:5], v6 offset:64
	flat_load_ushort v6, v[22:23] offset:96
	s_waitcnt vmcnt(0) lgkmcnt(0)
	v_cvt_f32_f16_e32 v6, v6
	v_mul_f32_e32 v6, s8, v6
	v_fma_mixlo_f16 v19, s2, v19, v6
	v_add_co_u32 v6, vcc_lo, v18, v0
	v_add_co_ci_u32_e64 v7, null, v20, v1, vcc_lo
	flat_store_short v[4:5], v19 offset:96
	v_add_co_u32 v19, vcc_lo, v24, s0
	flat_load_ushort v4, v[6:7]
	v_add_co_ci_u32_e64 v21, null, s1, v25, vcc_lo
	s_waitcnt vmcnt(0) lgkmcnt(0)
	v_cvt_f32_f16_e32 v4, v4
	v_mul_f32_e32 v22, s8, v4
	v_add_co_u32 v4, vcc_lo, v19, v0
	v_add_co_ci_u32_e64 v5, null, v21, v1, vcc_lo
	v_fma_mixlo_f16 v17, s2, v17, v22
	flat_store_short v[4:5], v17
	flat_load_ushort v17, v[6:7] offset:32
	s_waitcnt vmcnt(0) lgkmcnt(0)
	v_cvt_f32_f16_e32 v17, v17
	v_mul_f32_e32 v17, s8, v17
	v_fma_mixlo_f16 v16, s2, v16, v17
	flat_store_short v[4:5], v16 offset:32
	flat_load_ushort v16, v[6:7] offset:64
	s_waitcnt vmcnt(0) lgkmcnt(0)
	v_cvt_f32_f16_e32 v16, v16
	v_mul_f32_e32 v16, s8, v16
	v_fma_mixlo_f16 v15, s2, v15, v16
	flat_store_short v[4:5], v15 offset:64
	flat_load_ushort v6, v[6:7] offset:96
	v_add_co_u32 v15, vcc_lo, v18, s4
	v_add_co_ci_u32_e64 v16, null, s5, v20, vcc_lo
	s_waitcnt vmcnt(0) lgkmcnt(0)
	v_cvt_f32_f16_e32 v6, v6
	v_mul_f32_e32 v6, s8, v6
	v_fma_mixlo_f16 v14, s2, v14, v6
	v_add_co_u32 v6, vcc_lo, v15, v0
	v_add_co_ci_u32_e64 v7, null, v16, v1, vcc_lo
	flat_store_short v[4:5], v14 offset:96
	v_add_co_u32 v14, vcc_lo, v19, s0
	flat_load_ushort v4, v[6:7]
	v_add_co_ci_u32_e64 v17, null, s1, v21, vcc_lo
	s_waitcnt vmcnt(0) lgkmcnt(0)
	v_cvt_f32_f16_e32 v4, v4
	v_mul_f32_e32 v18, s8, v4
	v_add_co_u32 v4, vcc_lo, v14, v0
	v_add_co_ci_u32_e64 v5, null, v17, v1, vcc_lo
	v_fma_mixlo_f16 v13, s2, v13, v18
	flat_store_short v[4:5], v13
	flat_load_ushort v13, v[6:7] offset:32
	s_waitcnt vmcnt(0) lgkmcnt(0)
	v_cvt_f32_f16_e32 v13, v13
	v_mul_f32_e32 v13, s8, v13
	v_fma_mixlo_f16 v12, s2, v12, v13
	flat_store_short v[4:5], v12 offset:32
	flat_load_ushort v12, v[6:7] offset:64
	s_waitcnt vmcnt(0) lgkmcnt(0)
	v_cvt_f32_f16_e32 v12, v12
	v_mul_f32_e32 v12, s8, v12
	v_fma_mixlo_f16 v11, s2, v11, v12
	flat_store_short v[4:5], v11 offset:64
	flat_load_ushort v6, v[6:7] offset:96
	v_add_co_u32 v7, vcc_lo, v15, s4
	v_add_co_ci_u32_e64 v11, null, s5, v16, vcc_lo
	s_waitcnt vmcnt(0) lgkmcnt(0)
	v_cvt_f32_f16_e32 v6, v6
	v_mul_f32_e32 v6, s8, v6
	v_fma_mixlo_f16 v10, s2, v10, v6
	v_add_co_u32 v6, vcc_lo, v7, v0
	v_add_co_ci_u32_e64 v7, null, v11, v1, vcc_lo
	flat_store_short v[4:5], v10 offset:96
	v_add_co_u32 v5, vcc_lo, v14, s0
	flat_load_ushort v4, v[6:7]
	v_add_co_ci_u32_e64 v10, null, s1, v17, vcc_lo
	v_add_co_u32 v0, vcc_lo, v5, v0
	v_add_co_ci_u32_e64 v1, null, v10, v1, vcc_lo
	s_waitcnt vmcnt(0) lgkmcnt(0)
	v_cvt_f32_f16_e32 v4, v4
	v_mul_f32_e32 v4, s8, v4
	v_fma_mixlo_f16 v4, s2, v9, v4
	flat_store_short v[0:1], v4
	flat_load_ushort v4, v[6:7] offset:32
	s_waitcnt vmcnt(0) lgkmcnt(0)
	v_cvt_f32_f16_e32 v4, v4
	v_mul_f32_e32 v4, s8, v4
	v_fma_mixlo_f16 v4, s2, v8, v4
	flat_store_short v[0:1], v4 offset:32
	flat_load_ushort v4, v[6:7] offset:64
	s_waitcnt vmcnt(0) lgkmcnt(0)
	v_cvt_f32_f16_e32 v4, v4
	v_mul_f32_e32 v4, s8, v4
	v_fma_mixlo_f16 v2, s2, v2, v4
	flat_store_short v[0:1], v2 offset:64
	flat_load_ushort v2, v[6:7] offset:96
	s_waitcnt vmcnt(0) lgkmcnt(0)
	v_cvt_f32_f16_e32 v2, v2
	v_mul_f32_e32 v2, s8, v2
	v_fma_mixlo_f16 v2, s2, v3, v2
	flat_store_short v[0:1], v2 offset:96
.LBB88_6:
	s_endpgm
.LBB88_7:
	s_branch .LBB88_5
	.section	.rodata,"a",@progbits
	.p2align	6, 0x0
	.amdhsa_kernel _ZN12_GLOBAL__N_127rocblas_gemm_batched_kernelIfLi16ELi16ELi64ELi64ELi4ELi64ELi4ELi4ELi64ELc84ELc84EKPKDF16_S3_KPDF16_EEvlllT_PT11_llS8_llS6_PT12_llPT13_lli
		.amdhsa_group_segment_fixed_size 2048
		.amdhsa_private_segment_fixed_size 0
		.amdhsa_kernarg_size 140
		.amdhsa_user_sgpr_count 6
		.amdhsa_user_sgpr_private_segment_buffer 1
		.amdhsa_user_sgpr_dispatch_ptr 0
		.amdhsa_user_sgpr_queue_ptr 0
		.amdhsa_user_sgpr_kernarg_segment_ptr 1
		.amdhsa_user_sgpr_dispatch_id 0
		.amdhsa_user_sgpr_flat_scratch_init 0
		.amdhsa_user_sgpr_private_segment_size 0
		.amdhsa_wavefront_size32 1
		.amdhsa_uses_dynamic_stack 0
		.amdhsa_system_sgpr_private_segment_wavefront_offset 0
		.amdhsa_system_sgpr_workgroup_id_x 1
		.amdhsa_system_sgpr_workgroup_id_y 1
		.amdhsa_system_sgpr_workgroup_id_z 1
		.amdhsa_system_sgpr_workgroup_info 0
		.amdhsa_system_vgpr_workitem_id 1
		.amdhsa_next_free_vgpr 58
		.amdhsa_next_free_sgpr 36
		.amdhsa_reserve_vcc 1
		.amdhsa_reserve_flat_scratch 0
		.amdhsa_float_round_mode_32 0
		.amdhsa_float_round_mode_16_64 0
		.amdhsa_float_denorm_mode_32 3
		.amdhsa_float_denorm_mode_16_64 3
		.amdhsa_dx10_clamp 1
		.amdhsa_ieee_mode 1
		.amdhsa_fp16_overflow 0
		.amdhsa_workgroup_processor_mode 1
		.amdhsa_memory_ordered 1
		.amdhsa_forward_progress 1
		.amdhsa_shared_vgpr_count 0
		.amdhsa_exception_fp_ieee_invalid_op 0
		.amdhsa_exception_fp_denorm_src 0
		.amdhsa_exception_fp_ieee_div_zero 0
		.amdhsa_exception_fp_ieee_overflow 0
		.amdhsa_exception_fp_ieee_underflow 0
		.amdhsa_exception_fp_ieee_inexact 0
		.amdhsa_exception_int_div_zero 0
	.end_amdhsa_kernel
	.section	.text._ZN12_GLOBAL__N_127rocblas_gemm_batched_kernelIfLi16ELi16ELi64ELi64ELi4ELi64ELi4ELi4ELi64ELc84ELc84EKPKDF16_S3_KPDF16_EEvlllT_PT11_llS8_llS6_PT12_llPT13_lli,"axG",@progbits,_ZN12_GLOBAL__N_127rocblas_gemm_batched_kernelIfLi16ELi16ELi64ELi64ELi4ELi64ELi4ELi4ELi64ELc84ELc84EKPKDF16_S3_KPDF16_EEvlllT_PT11_llS8_llS6_PT12_llPT13_lli,comdat
.Lfunc_end88:
	.size	_ZN12_GLOBAL__N_127rocblas_gemm_batched_kernelIfLi16ELi16ELi64ELi64ELi4ELi64ELi4ELi4ELi64ELc84ELc84EKPKDF16_S3_KPDF16_EEvlllT_PT11_llS8_llS6_PT12_llPT13_lli, .Lfunc_end88-_ZN12_GLOBAL__N_127rocblas_gemm_batched_kernelIfLi16ELi16ELi64ELi64ELi4ELi64ELi4ELi4ELi64ELc84ELc84EKPKDF16_S3_KPDF16_EEvlllT_PT11_llS8_llS6_PT12_llPT13_lli
                                        ; -- End function
	.set _ZN12_GLOBAL__N_127rocblas_gemm_batched_kernelIfLi16ELi16ELi64ELi64ELi4ELi64ELi4ELi4ELi64ELc84ELc84EKPKDF16_S3_KPDF16_EEvlllT_PT11_llS8_llS6_PT12_llPT13_lli.num_vgpr, 58
	.set _ZN12_GLOBAL__N_127rocblas_gemm_batched_kernelIfLi16ELi16ELi64ELi64ELi4ELi64ELi4ELi4ELi64ELc84ELc84EKPKDF16_S3_KPDF16_EEvlllT_PT11_llS8_llS6_PT12_llPT13_lli.num_agpr, 0
	.set _ZN12_GLOBAL__N_127rocblas_gemm_batched_kernelIfLi16ELi16ELi64ELi64ELi4ELi64ELi4ELi4ELi64ELc84ELc84EKPKDF16_S3_KPDF16_EEvlllT_PT11_llS8_llS6_PT12_llPT13_lli.numbered_sgpr, 36
	.set _ZN12_GLOBAL__N_127rocblas_gemm_batched_kernelIfLi16ELi16ELi64ELi64ELi4ELi64ELi4ELi4ELi64ELc84ELc84EKPKDF16_S3_KPDF16_EEvlllT_PT11_llS8_llS6_PT12_llPT13_lli.num_named_barrier, 0
	.set _ZN12_GLOBAL__N_127rocblas_gemm_batched_kernelIfLi16ELi16ELi64ELi64ELi4ELi64ELi4ELi4ELi64ELc84ELc84EKPKDF16_S3_KPDF16_EEvlllT_PT11_llS8_llS6_PT12_llPT13_lli.private_seg_size, 0
	.set _ZN12_GLOBAL__N_127rocblas_gemm_batched_kernelIfLi16ELi16ELi64ELi64ELi4ELi64ELi4ELi4ELi64ELc84ELc84EKPKDF16_S3_KPDF16_EEvlllT_PT11_llS8_llS6_PT12_llPT13_lli.uses_vcc, 1
	.set _ZN12_GLOBAL__N_127rocblas_gemm_batched_kernelIfLi16ELi16ELi64ELi64ELi4ELi64ELi4ELi4ELi64ELc84ELc84EKPKDF16_S3_KPDF16_EEvlllT_PT11_llS8_llS6_PT12_llPT13_lli.uses_flat_scratch, 0
	.set _ZN12_GLOBAL__N_127rocblas_gemm_batched_kernelIfLi16ELi16ELi64ELi64ELi4ELi64ELi4ELi4ELi64ELc84ELc84EKPKDF16_S3_KPDF16_EEvlllT_PT11_llS8_llS6_PT12_llPT13_lli.has_dyn_sized_stack, 0
	.set _ZN12_GLOBAL__N_127rocblas_gemm_batched_kernelIfLi16ELi16ELi64ELi64ELi4ELi64ELi4ELi4ELi64ELc84ELc84EKPKDF16_S3_KPDF16_EEvlllT_PT11_llS8_llS6_PT12_llPT13_lli.has_recursion, 0
	.set _ZN12_GLOBAL__N_127rocblas_gemm_batched_kernelIfLi16ELi16ELi64ELi64ELi4ELi64ELi4ELi4ELi64ELc84ELc84EKPKDF16_S3_KPDF16_EEvlllT_PT11_llS8_llS6_PT12_llPT13_lli.has_indirect_call, 0
	.section	.AMDGPU.csdata,"",@progbits
; Kernel info:
; codeLenInByte = 2496
; TotalNumSgprs: 38
; NumVgprs: 58
; ScratchSize: 0
; MemoryBound: 0
; FloatMode: 240
; IeeeMode: 1
; LDSByteSize: 2048 bytes/workgroup (compile time only)
; SGPRBlocks: 0
; VGPRBlocks: 7
; NumSGPRsForWavesPerEU: 38
; NumVGPRsForWavesPerEU: 58
; Occupancy: 16
; WaveLimiterHint : 1
; COMPUTE_PGM_RSRC2:SCRATCH_EN: 0
; COMPUTE_PGM_RSRC2:USER_SGPR: 6
; COMPUTE_PGM_RSRC2:TRAP_HANDLER: 0
; COMPUTE_PGM_RSRC2:TGID_X_EN: 1
; COMPUTE_PGM_RSRC2:TGID_Y_EN: 1
; COMPUTE_PGM_RSRC2:TGID_Z_EN: 1
; COMPUTE_PGM_RSRC2:TIDIG_COMP_CNT: 1
	.section	.text._ZN12_GLOBAL__N_127rocblas_gemm_batched_kernelIfLi16ELi16ELi64ELi64ELi4ELi64ELi4ELi4ELi64ELc67ELc67EKPKDF16_S3_KPDF16_EEvlllT_PT11_llS8_llS6_PT12_llPT13_lli,"axG",@progbits,_ZN12_GLOBAL__N_127rocblas_gemm_batched_kernelIfLi16ELi16ELi64ELi64ELi4ELi64ELi4ELi4ELi64ELc67ELc67EKPKDF16_S3_KPDF16_EEvlllT_PT11_llS8_llS6_PT12_llPT13_lli,comdat
	.globl	_ZN12_GLOBAL__N_127rocblas_gemm_batched_kernelIfLi16ELi16ELi64ELi64ELi4ELi64ELi4ELi4ELi64ELc67ELc67EKPKDF16_S3_KPDF16_EEvlllT_PT11_llS8_llS6_PT12_llPT13_lli ; -- Begin function _ZN12_GLOBAL__N_127rocblas_gemm_batched_kernelIfLi16ELi16ELi64ELi64ELi4ELi64ELi4ELi4ELi64ELc67ELc67EKPKDF16_S3_KPDF16_EEvlllT_PT11_llS8_llS6_PT12_llPT13_lli
	.p2align	8
	.type	_ZN12_GLOBAL__N_127rocblas_gemm_batched_kernelIfLi16ELi16ELi64ELi64ELi4ELi64ELi4ELi4ELi64ELc67ELc67EKPKDF16_S3_KPDF16_EEvlllT_PT11_llS8_llS6_PT12_llPT13_lli,@function
_ZN12_GLOBAL__N_127rocblas_gemm_batched_kernelIfLi16ELi16ELi64ELi64ELi4ELi64ELi4ELi4ELi64ELc67ELc67EKPKDF16_S3_KPDF16_EEvlllT_PT11_llS8_llS6_PT12_llPT13_lli: ; @_ZN12_GLOBAL__N_127rocblas_gemm_batched_kernelIfLi16ELi16ELi64ELi64ELi4ELi64ELi4ELi4ELi64ELc67ELc67EKPKDF16_S3_KPDF16_EEvlllT_PT11_llS8_llS6_PT12_llPT13_lli
; %bb.0:
	s_clause 0x1
	s_load_dwordx8 s[12:19], s[4:5], 0x58
	s_load_dwordx2 s[28:29], s[4:5], 0x10
	s_mov_b32 s9, 0
	s_load_dwordx4 s[0:3], s[4:5], 0x78
	s_lshl_b64 s[34:35], s[8:9], 3
	s_mov_b32 s10, s7
	v_mov_b32_e32 v18, 0
	v_mov_b32_e32 v21, 0
	;; [unrolled: 1-line block ×14, first 2 shown]
	s_waitcnt lgkmcnt(0)
	s_add_u32 s8, s12, s34
	s_addc_u32 s9, s13, s35
	s_add_u32 s18, s18, s34
	s_addc_u32 s19, s19, s35
	s_load_dwordx2 s[12:13], s[8:9], 0x0
	s_load_dwordx2 s[18:19], s[18:19], 0x0
	v_cmp_lt_i64_e64 s20, s[28:29], 1
	v_mov_b32_e32 v2, 0
	v_mov_b32_e32 v3, 0
	s_ashr_i32 s7, s6, 31
	s_ashr_i32 s11, s10, 31
	s_lshl_b64 s[6:7], s[6:7], 6
	s_and_b32 vcc_lo, exec_lo, s20
	s_lshl_b64 s[30:31], s[10:11], 6
	s_cbranch_vccnz .LBB89_3
; %bb.1:
	s_clause 0x1
	s_load_dwordx8 s[20:27], s[4:5], 0x20
	s_load_dwordx4 s[8:11], s[4:5], 0x40
	v_lshlrev_b32_e32 v8, 4, v1
	v_and_b32_e32 v10, 3, v0
	v_mov_b32_e32 v3, 0
	v_lshlrev_b32_e32 v22, 2, v0
	v_add_nc_u32_e32 v9, v8, v0
	v_lshlrev_b32_e32 v12, 2, v10
	v_add_nc_u32_e32 v23, 0x400, v8
	v_mov_b32_e32 v16, v3
	v_mov_b32_e32 v17, v3
	v_and_b32_e32 v11, 63, v9
	v_lshrrev_b32_e32 v2, 2, v9
	v_lshrrev_b32_e32 v9, 6, v9
	v_mov_b32_e32 v19, v3
	v_mov_b32_e32 v20, v3
	v_add_co_u32 v6, s33, s6, v11
	v_add_co_ci_u32_e64 v7, null, s7, 0, s33
	s_waitcnt lgkmcnt(0)
	s_add_u32 s20, s20, s34
	s_addc_u32 s21, s21, s35
	s_add_u32 s26, s26, s34
	s_addc_u32 s27, s27, s35
	v_mad_u64_u32 v[4:5], null, s8, v10, v[2:3]
	s_load_dwordx2 s[26:27], s[26:27], 0x0
	v_mul_lo_u32 v13, s23, v6
	v_mul_lo_u32 v14, s22, v7
	v_mad_u64_u32 v[6:7], null, s22, v6, 0
	v_lshlrev_b32_e32 v11, 2, v11
	v_lshl_or_b32 v12, v2, 4, v12
	v_mov_b32_e32 v2, v5
	v_lshlrev_b32_e32 v15, 1, v9
	s_load_dwordx2 s[20:21], s[20:21], 0x0
	v_lshl_or_b32 v24, v9, 8, v11
	v_add3_u32 v7, v7, v14, v13
	v_mad_u64_u32 v[8:9], null, s9, v10, v[2:3]
	s_lshl_b64 s[10:11], s[10:11], 1
	v_add_nc_u32_e32 v25, 0x400, v12
	v_lshlrev_b64 v[5:6], 1, v[6:7]
	v_add_co_u32 v7, vcc_lo, v4, s30
	v_mov_b32_e32 v9, v3
	v_add_co_ci_u32_e64 v8, null, s31, v8, vcc_lo
	s_waitcnt lgkmcnt(0)
	s_add_u32 s22, s26, s10
	s_addc_u32 s23, s27, s11
	s_lshl_b64 s[10:11], s[24:25], 1
	v_mov_b32_e32 v10, v3
	v_add_co_u32 v2, vcc_lo, v5, s10
	v_add_co_ci_u32_e64 v6, null, s11, v6, vcc_lo
	v_lshlrev_b64 v[4:5], 1, v[7:8]
	v_add_co_u32 v2, vcc_lo, v2, v15
	v_add_co_ci_u32_e64 v7, null, 0, v6, vcc_lo
	v_mov_b32_e32 v8, v3
	v_add_co_u32 v4, vcc_lo, s22, v4
	v_add_co_ci_u32_e64 v5, null, s23, v5, vcc_lo
	v_add_co_u32 v6, vcc_lo, s20, v2
	v_add_co_ci_u32_e64 v7, null, s21, v7, vcc_lo
	v_mov_b32_e32 v2, v3
	v_mov_b32_e32 v11, v3
	;; [unrolled: 1-line block ×8, first 2 shown]
	s_lshl_b64 s[8:9], s[8:9], 3
	s_mov_b64 s[10:11], 0
.LBB89_2:                               ; =>This Inner Loop Header: Depth=1
	flat_load_ushort v26, v[6:7]
	flat_load_ushort v27, v[4:5]
	s_add_u32 s10, s10, 4
	s_addc_u32 s11, s11, 0
	v_add_co_u32 v4, vcc_lo, v4, s8
	v_cmp_lt_i64_e64 s20, s[10:11], s[28:29]
	v_add_co_ci_u32_e64 v5, null, s9, v5, vcc_lo
	v_add_co_u32 v6, vcc_lo, v6, 8
	v_add_co_ci_u32_e64 v7, null, 0, v7, vcc_lo
	s_and_b32 vcc_lo, exec_lo, s20
	s_waitcnt vmcnt(1) lgkmcnt(1)
	v_cvt_f32_f16_e32 v26, v26
	s_waitcnt vmcnt(0) lgkmcnt(0)
	v_cvt_f32_f16_e32 v27, v27
	ds_write_b32 v24, v26
	ds_write_b32 v25, v27
	s_waitcnt lgkmcnt(0)
	s_barrier
	buffer_gl0_inv
	ds_read_b128 v[26:29], v23
	ds_read2_b32 v[42:43], v22 offset1:16
	ds_read2_b32 v[44:45], v22 offset0:32 offset1:48
	ds_read_b128 v[30:33], v23 offset:256
	ds_read_b128 v[34:37], v23 offset:512
	;; [unrolled: 1-line block ×3, first 2 shown]
	ds_read2_b32 v[46:47], v22 offset0:64 offset1:80
	ds_read2_b32 v[48:49], v22 offset0:96 offset1:112
	;; [unrolled: 1-line block ×6, first 2 shown]
	s_waitcnt lgkmcnt(0)
	s_barrier
	buffer_gl0_inv
	v_fmac_f32_e32 v18, v42, v26
	v_fmac_f32_e32 v21, v43, v26
	;; [unrolled: 1-line block ×64, first 2 shown]
	s_cbranch_vccnz .LBB89_2
.LBB89_3:
	s_load_dword s8, s[4:5], 0x50
	s_lshl_b64 s[10:11], s[2:3], 1
	s_load_dword s2, s[4:5], 0x18
	v_add_co_u32 v4, s4, s30, v1
	v_add_co_ci_u32_e64 v7, null, s31, 0, s4
	v_add_co_u32 v0, s4, s6, v0
	v_add_co_ci_u32_e64 v1, null, s7, 0, s4
	v_mul_lo_u32 v5, v7, s0
	v_mul_lo_u32 v6, v4, s1
	s_waitcnt lgkmcnt(0)
	s_add_u32 s3, s18, s10
	v_lshlrev_b64 v[0:1], 1, v[0:1]
	s_addc_u32 s4, s19, s11
	v_cmp_neq_f32_e64 s5, s8, 0
	s_and_b32 vcc_lo, exec_lo, s5
	s_mov_b32 s5, 0
	s_cbranch_vccnz .LBB89_7
; %bb.4:
	v_mad_u64_u32 v[22:23], null, v4, s0, 0
	s_lshl_b64 s[6:7], s[0:1], 5
	v_fma_mixlo_f16 v26, s2, v18, 0
	v_fma_mixlo_f16 v27, s2, v21, 0
	;; [unrolled: 1-line block ×5, first 2 shown]
	v_add3_u32 v23, v23, v6, v5
	v_fma_mixlo_f16 v31, s2, v16, 0
	v_fma_mixlo_f16 v32, s2, v15, 0
	v_fma_mixlo_f16 v33, s2, v14, 0
	v_lshlrev_b64 v[22:23], 1, v[22:23]
	v_add_co_u32 v22, vcc_lo, s3, v22
	v_add_co_ci_u32_e64 v23, null, s4, v23, vcc_lo
	v_add_co_u32 v34, vcc_lo, v22, s6
	v_add_co_ci_u32_e64 v35, null, s7, v23, vcc_lo
	;; [unrolled: 2-line block ×4, first 2 shown]
	flat_store_short v[22:23], v26
	flat_store_short v[22:23], v27 offset:32
	flat_store_short v[22:23], v28 offset:64
	;; [unrolled: 1-line block ×3, first 2 shown]
	flat_store_short v[24:25], v30
	flat_store_short v[24:25], v31 offset:32
	v_add_co_u32 v26, vcc_lo, v34, s6
	v_add_co_ci_u32_e64 v27, null, s7, v35, vcc_lo
	v_fma_mixlo_f16 v28, s2, v13, 0
	v_add_co_u32 v22, vcc_lo, v26, v0
	v_add_co_ci_u32_e64 v23, null, v27, v1, vcc_lo
	v_fma_mixlo_f16 v29, s2, v12, 0
	v_fma_mixlo_f16 v30, s2, v11, 0
	flat_store_short v[24:25], v32 offset:64
	flat_store_short v[24:25], v33 offset:96
	flat_store_short v[22:23], v28
	flat_store_short v[22:23], v29 offset:32
	flat_store_short v[22:23], v30 offset:64
	v_add_co_u32 v24, vcc_lo, v26, s6
	v_add_co_ci_u32_e64 v25, null, s7, v27, vcc_lo
	v_fma_mixlo_f16 v28, s2, v10, 0
	v_add_co_u32 v24, vcc_lo, v24, v0
	v_fma_mixlo_f16 v26, s2, v9, 0
	v_add_co_ci_u32_e64 v25, null, v25, v1, vcc_lo
	v_fma_mixlo_f16 v27, s2, v8, 0
	v_fma_mixlo_f16 v29, s2, v2, 0
	;; [unrolled: 1-line block ×3, first 2 shown]
	flat_store_short v[22:23], v28 offset:96
	flat_store_short v[24:25], v26
	flat_store_short v[24:25], v27 offset:32
	flat_store_short v[24:25], v29 offset:64
	;; [unrolled: 1-line block ×3, first 2 shown]
	s_andn2_b32 vcc_lo, exec_lo, s5
	s_cbranch_vccnz .LBB89_6
.LBB89_5:
	v_mul_lo_u32 v7, v7, s14
	v_mul_lo_u32 v24, v4, s15
	v_mad_u64_u32 v[22:23], null, v4, s14, 0
	s_lshl_b64 s[6:7], s[16:17], 1
	s_add_u32 s5, s12, s6
	s_addc_u32 s6, s13, s7
	v_add3_u32 v23, v23, v24, v7
	v_mad_u64_u32 v[24:25], null, v4, s0, 0
	s_lshl_b64 s[0:1], s[0:1], 5
	v_lshlrev_b64 v[22:23], 1, v[22:23]
	v_add3_u32 v25, v25, v6, v5
	v_add_co_u32 v7, vcc_lo, s5, v22
	v_add_co_ci_u32_e64 v26, null, s6, v23, vcc_lo
	v_lshlrev_b64 v[4:5], 1, v[24:25]
	v_add_co_u32 v22, vcc_lo, v7, v0
	v_add_co_ci_u32_e64 v23, null, v26, v1, vcc_lo
	v_add_co_u32 v24, vcc_lo, s3, v4
	flat_load_ushort v27, v[22:23]
	v_add_co_ci_u32_e64 v25, null, s4, v5, vcc_lo
	v_add_co_u32 v4, vcc_lo, v24, v0
	s_lshl_b64 s[4:5], s[14:15], 5
	v_add_co_ci_u32_e64 v5, null, v25, v1, vcc_lo
	s_waitcnt vmcnt(0) lgkmcnt(0)
	v_cvt_f32_f16_e32 v6, v27
	v_mul_f32_e32 v6, s8, v6
	v_fma_mixlo_f16 v6, s2, v18, v6
	v_add_co_u32 v18, vcc_lo, v7, s4
	flat_store_short v[4:5], v6
	flat_load_ushort v6, v[22:23] offset:32
	s_waitcnt vmcnt(0) lgkmcnt(0)
	v_cvt_f32_f16_e32 v6, v6
	v_mul_f32_e32 v6, s8, v6
	v_fma_mixlo_f16 v6, s2, v21, v6
	flat_store_short v[4:5], v6 offset:32
	flat_load_ushort v6, v[22:23] offset:64
	s_waitcnt vmcnt(0) lgkmcnt(0)
	v_cvt_f32_f16_e32 v6, v6
	v_mul_f32_e32 v6, s8, v6
	v_fma_mixlo_f16 v6, s2, v20, v6
	v_add_co_ci_u32_e64 v20, null, s5, v26, vcc_lo
	flat_store_short v[4:5], v6 offset:64
	flat_load_ushort v6, v[22:23] offset:96
	s_waitcnt vmcnt(0) lgkmcnt(0)
	v_cvt_f32_f16_e32 v6, v6
	v_mul_f32_e32 v6, s8, v6
	v_fma_mixlo_f16 v19, s2, v19, v6
	v_add_co_u32 v6, vcc_lo, v18, v0
	v_add_co_ci_u32_e64 v7, null, v20, v1, vcc_lo
	flat_store_short v[4:5], v19 offset:96
	v_add_co_u32 v19, vcc_lo, v24, s0
	flat_load_ushort v4, v[6:7]
	v_add_co_ci_u32_e64 v21, null, s1, v25, vcc_lo
	s_waitcnt vmcnt(0) lgkmcnt(0)
	v_cvt_f32_f16_e32 v4, v4
	v_mul_f32_e32 v22, s8, v4
	v_add_co_u32 v4, vcc_lo, v19, v0
	v_add_co_ci_u32_e64 v5, null, v21, v1, vcc_lo
	v_fma_mixlo_f16 v17, s2, v17, v22
	flat_store_short v[4:5], v17
	flat_load_ushort v17, v[6:7] offset:32
	s_waitcnt vmcnt(0) lgkmcnt(0)
	v_cvt_f32_f16_e32 v17, v17
	v_mul_f32_e32 v17, s8, v17
	v_fma_mixlo_f16 v16, s2, v16, v17
	flat_store_short v[4:5], v16 offset:32
	flat_load_ushort v16, v[6:7] offset:64
	s_waitcnt vmcnt(0) lgkmcnt(0)
	v_cvt_f32_f16_e32 v16, v16
	v_mul_f32_e32 v16, s8, v16
	v_fma_mixlo_f16 v15, s2, v15, v16
	flat_store_short v[4:5], v15 offset:64
	flat_load_ushort v6, v[6:7] offset:96
	v_add_co_u32 v15, vcc_lo, v18, s4
	v_add_co_ci_u32_e64 v16, null, s5, v20, vcc_lo
	s_waitcnt vmcnt(0) lgkmcnt(0)
	v_cvt_f32_f16_e32 v6, v6
	v_mul_f32_e32 v6, s8, v6
	v_fma_mixlo_f16 v14, s2, v14, v6
	v_add_co_u32 v6, vcc_lo, v15, v0
	v_add_co_ci_u32_e64 v7, null, v16, v1, vcc_lo
	flat_store_short v[4:5], v14 offset:96
	v_add_co_u32 v14, vcc_lo, v19, s0
	flat_load_ushort v4, v[6:7]
	v_add_co_ci_u32_e64 v17, null, s1, v21, vcc_lo
	s_waitcnt vmcnt(0) lgkmcnt(0)
	v_cvt_f32_f16_e32 v4, v4
	v_mul_f32_e32 v18, s8, v4
	v_add_co_u32 v4, vcc_lo, v14, v0
	v_add_co_ci_u32_e64 v5, null, v17, v1, vcc_lo
	v_fma_mixlo_f16 v13, s2, v13, v18
	flat_store_short v[4:5], v13
	flat_load_ushort v13, v[6:7] offset:32
	s_waitcnt vmcnt(0) lgkmcnt(0)
	v_cvt_f32_f16_e32 v13, v13
	v_mul_f32_e32 v13, s8, v13
	v_fma_mixlo_f16 v12, s2, v12, v13
	flat_store_short v[4:5], v12 offset:32
	flat_load_ushort v12, v[6:7] offset:64
	s_waitcnt vmcnt(0) lgkmcnt(0)
	v_cvt_f32_f16_e32 v12, v12
	v_mul_f32_e32 v12, s8, v12
	v_fma_mixlo_f16 v11, s2, v11, v12
	flat_store_short v[4:5], v11 offset:64
	flat_load_ushort v6, v[6:7] offset:96
	v_add_co_u32 v7, vcc_lo, v15, s4
	v_add_co_ci_u32_e64 v11, null, s5, v16, vcc_lo
	s_waitcnt vmcnt(0) lgkmcnt(0)
	v_cvt_f32_f16_e32 v6, v6
	v_mul_f32_e32 v6, s8, v6
	v_fma_mixlo_f16 v10, s2, v10, v6
	v_add_co_u32 v6, vcc_lo, v7, v0
	v_add_co_ci_u32_e64 v7, null, v11, v1, vcc_lo
	flat_store_short v[4:5], v10 offset:96
	v_add_co_u32 v5, vcc_lo, v14, s0
	flat_load_ushort v4, v[6:7]
	v_add_co_ci_u32_e64 v10, null, s1, v17, vcc_lo
	v_add_co_u32 v0, vcc_lo, v5, v0
	v_add_co_ci_u32_e64 v1, null, v10, v1, vcc_lo
	s_waitcnt vmcnt(0) lgkmcnt(0)
	v_cvt_f32_f16_e32 v4, v4
	v_mul_f32_e32 v4, s8, v4
	v_fma_mixlo_f16 v4, s2, v9, v4
	flat_store_short v[0:1], v4
	flat_load_ushort v4, v[6:7] offset:32
	s_waitcnt vmcnt(0) lgkmcnt(0)
	v_cvt_f32_f16_e32 v4, v4
	v_mul_f32_e32 v4, s8, v4
	v_fma_mixlo_f16 v4, s2, v8, v4
	flat_store_short v[0:1], v4 offset:32
	flat_load_ushort v4, v[6:7] offset:64
	s_waitcnt vmcnt(0) lgkmcnt(0)
	v_cvt_f32_f16_e32 v4, v4
	v_mul_f32_e32 v4, s8, v4
	v_fma_mixlo_f16 v2, s2, v2, v4
	flat_store_short v[0:1], v2 offset:64
	;; [unrolled: 6-line block ×3, first 2 shown]
.LBB89_6:
	s_endpgm
.LBB89_7:
	s_branch .LBB89_5
	.section	.rodata,"a",@progbits
	.p2align	6, 0x0
	.amdhsa_kernel _ZN12_GLOBAL__N_127rocblas_gemm_batched_kernelIfLi16ELi16ELi64ELi64ELi4ELi64ELi4ELi4ELi64ELc67ELc67EKPKDF16_S3_KPDF16_EEvlllT_PT11_llS8_llS6_PT12_llPT13_lli
		.amdhsa_group_segment_fixed_size 2048
		.amdhsa_private_segment_fixed_size 0
		.amdhsa_kernarg_size 140
		.amdhsa_user_sgpr_count 6
		.amdhsa_user_sgpr_private_segment_buffer 1
		.amdhsa_user_sgpr_dispatch_ptr 0
		.amdhsa_user_sgpr_queue_ptr 0
		.amdhsa_user_sgpr_kernarg_segment_ptr 1
		.amdhsa_user_sgpr_dispatch_id 0
		.amdhsa_user_sgpr_flat_scratch_init 0
		.amdhsa_user_sgpr_private_segment_size 0
		.amdhsa_wavefront_size32 1
		.amdhsa_uses_dynamic_stack 0
		.amdhsa_system_sgpr_private_segment_wavefront_offset 0
		.amdhsa_system_sgpr_workgroup_id_x 1
		.amdhsa_system_sgpr_workgroup_id_y 1
		.amdhsa_system_sgpr_workgroup_id_z 1
		.amdhsa_system_sgpr_workgroup_info 0
		.amdhsa_system_vgpr_workitem_id 1
		.amdhsa_next_free_vgpr 58
		.amdhsa_next_free_sgpr 36
		.amdhsa_reserve_vcc 1
		.amdhsa_reserve_flat_scratch 0
		.amdhsa_float_round_mode_32 0
		.amdhsa_float_round_mode_16_64 0
		.amdhsa_float_denorm_mode_32 3
		.amdhsa_float_denorm_mode_16_64 3
		.amdhsa_dx10_clamp 1
		.amdhsa_ieee_mode 1
		.amdhsa_fp16_overflow 0
		.amdhsa_workgroup_processor_mode 1
		.amdhsa_memory_ordered 1
		.amdhsa_forward_progress 1
		.amdhsa_shared_vgpr_count 0
		.amdhsa_exception_fp_ieee_invalid_op 0
		.amdhsa_exception_fp_denorm_src 0
		.amdhsa_exception_fp_ieee_div_zero 0
		.amdhsa_exception_fp_ieee_overflow 0
		.amdhsa_exception_fp_ieee_underflow 0
		.amdhsa_exception_fp_ieee_inexact 0
		.amdhsa_exception_int_div_zero 0
	.end_amdhsa_kernel
	.section	.text._ZN12_GLOBAL__N_127rocblas_gemm_batched_kernelIfLi16ELi16ELi64ELi64ELi4ELi64ELi4ELi4ELi64ELc67ELc67EKPKDF16_S3_KPDF16_EEvlllT_PT11_llS8_llS6_PT12_llPT13_lli,"axG",@progbits,_ZN12_GLOBAL__N_127rocblas_gemm_batched_kernelIfLi16ELi16ELi64ELi64ELi4ELi64ELi4ELi4ELi64ELc67ELc67EKPKDF16_S3_KPDF16_EEvlllT_PT11_llS8_llS6_PT12_llPT13_lli,comdat
.Lfunc_end89:
	.size	_ZN12_GLOBAL__N_127rocblas_gemm_batched_kernelIfLi16ELi16ELi64ELi64ELi4ELi64ELi4ELi4ELi64ELc67ELc67EKPKDF16_S3_KPDF16_EEvlllT_PT11_llS8_llS6_PT12_llPT13_lli, .Lfunc_end89-_ZN12_GLOBAL__N_127rocblas_gemm_batched_kernelIfLi16ELi16ELi64ELi64ELi4ELi64ELi4ELi4ELi64ELc67ELc67EKPKDF16_S3_KPDF16_EEvlllT_PT11_llS8_llS6_PT12_llPT13_lli
                                        ; -- End function
	.set _ZN12_GLOBAL__N_127rocblas_gemm_batched_kernelIfLi16ELi16ELi64ELi64ELi4ELi64ELi4ELi4ELi64ELc67ELc67EKPKDF16_S3_KPDF16_EEvlllT_PT11_llS8_llS6_PT12_llPT13_lli.num_vgpr, 58
	.set _ZN12_GLOBAL__N_127rocblas_gemm_batched_kernelIfLi16ELi16ELi64ELi64ELi4ELi64ELi4ELi4ELi64ELc67ELc67EKPKDF16_S3_KPDF16_EEvlllT_PT11_llS8_llS6_PT12_llPT13_lli.num_agpr, 0
	.set _ZN12_GLOBAL__N_127rocblas_gemm_batched_kernelIfLi16ELi16ELi64ELi64ELi4ELi64ELi4ELi4ELi64ELc67ELc67EKPKDF16_S3_KPDF16_EEvlllT_PT11_llS8_llS6_PT12_llPT13_lli.numbered_sgpr, 36
	.set _ZN12_GLOBAL__N_127rocblas_gemm_batched_kernelIfLi16ELi16ELi64ELi64ELi4ELi64ELi4ELi4ELi64ELc67ELc67EKPKDF16_S3_KPDF16_EEvlllT_PT11_llS8_llS6_PT12_llPT13_lli.num_named_barrier, 0
	.set _ZN12_GLOBAL__N_127rocblas_gemm_batched_kernelIfLi16ELi16ELi64ELi64ELi4ELi64ELi4ELi4ELi64ELc67ELc67EKPKDF16_S3_KPDF16_EEvlllT_PT11_llS8_llS6_PT12_llPT13_lli.private_seg_size, 0
	.set _ZN12_GLOBAL__N_127rocblas_gemm_batched_kernelIfLi16ELi16ELi64ELi64ELi4ELi64ELi4ELi4ELi64ELc67ELc67EKPKDF16_S3_KPDF16_EEvlllT_PT11_llS8_llS6_PT12_llPT13_lli.uses_vcc, 1
	.set _ZN12_GLOBAL__N_127rocblas_gemm_batched_kernelIfLi16ELi16ELi64ELi64ELi4ELi64ELi4ELi4ELi64ELc67ELc67EKPKDF16_S3_KPDF16_EEvlllT_PT11_llS8_llS6_PT12_llPT13_lli.uses_flat_scratch, 0
	.set _ZN12_GLOBAL__N_127rocblas_gemm_batched_kernelIfLi16ELi16ELi64ELi64ELi4ELi64ELi4ELi4ELi64ELc67ELc67EKPKDF16_S3_KPDF16_EEvlllT_PT11_llS8_llS6_PT12_llPT13_lli.has_dyn_sized_stack, 0
	.set _ZN12_GLOBAL__N_127rocblas_gemm_batched_kernelIfLi16ELi16ELi64ELi64ELi4ELi64ELi4ELi4ELi64ELc67ELc67EKPKDF16_S3_KPDF16_EEvlllT_PT11_llS8_llS6_PT12_llPT13_lli.has_recursion, 0
	.set _ZN12_GLOBAL__N_127rocblas_gemm_batched_kernelIfLi16ELi16ELi64ELi64ELi4ELi64ELi4ELi4ELi64ELc67ELc67EKPKDF16_S3_KPDF16_EEvlllT_PT11_llS8_llS6_PT12_llPT13_lli.has_indirect_call, 0
	.section	.AMDGPU.csdata,"",@progbits
; Kernel info:
; codeLenInByte = 2496
; TotalNumSgprs: 38
; NumVgprs: 58
; ScratchSize: 0
; MemoryBound: 0
; FloatMode: 240
; IeeeMode: 1
; LDSByteSize: 2048 bytes/workgroup (compile time only)
; SGPRBlocks: 0
; VGPRBlocks: 7
; NumSGPRsForWavesPerEU: 38
; NumVGPRsForWavesPerEU: 58
; Occupancy: 16
; WaveLimiterHint : 1
; COMPUTE_PGM_RSRC2:SCRATCH_EN: 0
; COMPUTE_PGM_RSRC2:USER_SGPR: 6
; COMPUTE_PGM_RSRC2:TRAP_HANDLER: 0
; COMPUTE_PGM_RSRC2:TGID_X_EN: 1
; COMPUTE_PGM_RSRC2:TGID_Y_EN: 1
; COMPUTE_PGM_RSRC2:TGID_Z_EN: 1
; COMPUTE_PGM_RSRC2:TIDIG_COMP_CNT: 1
	.section	.text._ZN12_GLOBAL__N_127rocblas_gemm_batched_kernelIfLi16ELi16ELi64ELi64ELi4ELi64ELi4ELi4ELi64ELc67ELc78EKPKDF16_S3_KPDF16_EEvlllT_PT11_llS8_llS6_PT12_llPT13_lli,"axG",@progbits,_ZN12_GLOBAL__N_127rocblas_gemm_batched_kernelIfLi16ELi16ELi64ELi64ELi4ELi64ELi4ELi4ELi64ELc67ELc78EKPKDF16_S3_KPDF16_EEvlllT_PT11_llS8_llS6_PT12_llPT13_lli,comdat
	.globl	_ZN12_GLOBAL__N_127rocblas_gemm_batched_kernelIfLi16ELi16ELi64ELi64ELi4ELi64ELi4ELi4ELi64ELc67ELc78EKPKDF16_S3_KPDF16_EEvlllT_PT11_llS8_llS6_PT12_llPT13_lli ; -- Begin function _ZN12_GLOBAL__N_127rocblas_gemm_batched_kernelIfLi16ELi16ELi64ELi64ELi4ELi64ELi4ELi4ELi64ELc67ELc78EKPKDF16_S3_KPDF16_EEvlllT_PT11_llS8_llS6_PT12_llPT13_lli
	.p2align	8
	.type	_ZN12_GLOBAL__N_127rocblas_gemm_batched_kernelIfLi16ELi16ELi64ELi64ELi4ELi64ELi4ELi4ELi64ELc67ELc78EKPKDF16_S3_KPDF16_EEvlllT_PT11_llS8_llS6_PT12_llPT13_lli,@function
_ZN12_GLOBAL__N_127rocblas_gemm_batched_kernelIfLi16ELi16ELi64ELi64ELi4ELi64ELi4ELi4ELi64ELc67ELc78EKPKDF16_S3_KPDF16_EEvlllT_PT11_llS8_llS6_PT12_llPT13_lli: ; @_ZN12_GLOBAL__N_127rocblas_gemm_batched_kernelIfLi16ELi16ELi64ELi64ELi4ELi64ELi4ELi4ELi64ELc67ELc78EKPKDF16_S3_KPDF16_EEvlllT_PT11_llS8_llS6_PT12_llPT13_lli
; %bb.0:
	s_clause 0x1
	s_load_dwordx8 s[12:19], s[4:5], 0x58
	s_load_dwordx2 s[28:29], s[4:5], 0x10
	s_mov_b32 s9, 0
	s_load_dwordx4 s[0:3], s[4:5], 0x78
	s_lshl_b64 s[34:35], s[8:9], 3
	s_mov_b32 s10, s7
	v_mov_b32_e32 v18, 0
	v_mov_b32_e32 v21, 0
	;; [unrolled: 1-line block ×14, first 2 shown]
	s_waitcnt lgkmcnt(0)
	s_add_u32 s8, s12, s34
	s_addc_u32 s9, s13, s35
	s_add_u32 s18, s18, s34
	s_addc_u32 s19, s19, s35
	s_load_dwordx2 s[12:13], s[8:9], 0x0
	s_load_dwordx2 s[18:19], s[18:19], 0x0
	v_cmp_lt_i64_e64 s20, s[28:29], 1
	v_mov_b32_e32 v7, 0
	v_mov_b32_e32 v6, 0
	s_ashr_i32 s7, s6, 31
	s_ashr_i32 s11, s10, 31
	s_lshl_b64 s[6:7], s[6:7], 6
	s_and_b32 vcc_lo, exec_lo, s20
	s_lshl_b64 s[30:31], s[10:11], 6
	s_cbranch_vccnz .LBB90_3
; %bb.1:
	v_lshlrev_b32_e32 v7, 4, v1
	s_clause 0x1
	s_load_dwordx8 s[20:27], s[4:5], 0x20
	s_load_dwordx4 s[8:11], s[4:5], 0x40
	v_and_b32_e32 v8, 3, v0
	v_lshlrev_b32_e32 v24, 2, v0
	v_mov_b32_e32 v16, 0
	v_add_nc_u32_e32 v2, v7, v0
	v_add_nc_u32_e32 v25, 0x400, v7
	v_lshlrev_b32_e32 v7, 1, v8
	v_lshlrev_b32_e32 v9, 2, v8
	v_mov_b32_e32 v17, 0
	v_lshrrev_b32_e32 v6, 2, v2
	v_and_b32_e32 v10, 63, v2
	v_lshrrev_b32_e32 v11, 6, v2
	v_mov_b32_e32 v19, 0
	v_mov_b32_e32 v20, 0
	v_add_co_u32 v2, s33, v6, s30
	v_add_co_ci_u32_e64 v3, null, 0, s31, s33
	v_add_co_u32 v4, s33, s6, v10
	v_add_co_ci_u32_e64 v5, null, s7, 0, s33
	s_waitcnt lgkmcnt(0)
	v_mul_lo_u32 v12, s9, v2
	v_mul_lo_u32 v13, s8, v3
	v_mad_u64_u32 v[2:3], null, s8, v2, 0
	v_mul_lo_u32 v14, s23, v4
	v_mul_lo_u32 v15, s22, v5
	v_mad_u64_u32 v[4:5], null, s22, v4, 0
	s_add_u32 s20, s20, s34
	s_addc_u32 s21, s21, s35
	s_add_u32 s26, s26, s34
	v_add3_u32 v3, v3, v13, v12
	s_addc_u32 s27, s27, s35
	s_load_dwordx2 s[20:21], s[20:21], 0x0
	s_load_dwordx2 s[8:9], s[26:27], 0x0
	v_add3_u32 v5, v5, v15, v14
	v_lshlrev_b64 v[2:3], 1, v[2:3]
	s_lshl_b64 s[10:11], s[10:11], 1
	v_lshlrev_b32_e32 v8, 1, v11
	v_lshlrev_b32_e32 v10, 2, v10
	v_lshlrev_b64 v[4:5], 1, v[4:5]
	v_lshl_or_b32 v9, v6, 4, v9
	v_add_co_u32 v2, vcc_lo, v2, s10
	v_add_co_ci_u32_e64 v3, null, s11, v3, vcc_lo
	s_lshl_b64 s[10:11], s[24:25], 1
	v_mov_b32_e32 v6, 0
	v_add_co_u32 v4, vcc_lo, v4, s10
	v_add_co_ci_u32_e64 v5, null, s11, v5, vcc_lo
	v_add_co_u32 v2, vcc_lo, v2, v7
	v_add_co_ci_u32_e64 v3, null, 0, v3, vcc_lo
	;; [unrolled: 2-line block ×3, first 2 shown]
	s_waitcnt lgkmcnt(0)
	v_add_co_u32 v2, vcc_lo, s8, v2
	v_add_co_ci_u32_e64 v3, null, s9, v3, vcc_lo
	v_add_co_u32 v4, vcc_lo, s20, v4
	v_lshl_or_b32 v22, v11, 8, v10
	v_add_nc_u32_e32 v23, 0x400, v9
	v_add_co_ci_u32_e64 v5, null, s21, v5, vcc_lo
	v_mov_b32_e32 v7, 0
	v_mov_b32_e32 v8, 0
	;; [unrolled: 1-line block ×11, first 2 shown]
	s_mov_b64 s[8:9], 0
.LBB90_2:                               ; =>This Inner Loop Header: Depth=1
	flat_load_ushort v26, v[4:5]
	flat_load_ushort v27, v[2:3]
	s_add_u32 s8, s8, 4
	s_addc_u32 s9, s9, 0
	v_add_co_u32 v2, vcc_lo, v2, 8
	v_cmp_lt_i64_e64 s10, s[8:9], s[28:29]
	v_add_co_ci_u32_e64 v3, null, 0, v3, vcc_lo
	v_add_co_u32 v4, vcc_lo, v4, 8
	v_add_co_ci_u32_e64 v5, null, 0, v5, vcc_lo
	s_and_b32 vcc_lo, exec_lo, s10
	s_waitcnt vmcnt(1) lgkmcnt(1)
	v_cvt_f32_f16_e32 v26, v26
	s_waitcnt vmcnt(0) lgkmcnt(0)
	v_cvt_f32_f16_e32 v27, v27
	ds_write_b32 v22, v26
	ds_write_b32 v23, v27
	s_waitcnt lgkmcnt(0)
	s_barrier
	buffer_gl0_inv
	ds_read_b128 v[26:29], v25
	ds_read2_b32 v[42:43], v24 offset1:16
	ds_read2_b32 v[44:45], v24 offset0:32 offset1:48
	ds_read_b128 v[30:33], v25 offset:256
	ds_read_b128 v[34:37], v25 offset:512
	ds_read_b128 v[38:41], v25 offset:768
	ds_read2_b32 v[46:47], v24 offset0:64 offset1:80
	ds_read2_b32 v[48:49], v24 offset0:96 offset1:112
	;; [unrolled: 1-line block ×6, first 2 shown]
	s_waitcnt lgkmcnt(0)
	s_barrier
	buffer_gl0_inv
	v_fmac_f32_e32 v18, v42, v26
	v_fmac_f32_e32 v21, v43, v26
	v_fmac_f32_e32 v20, v44, v26
	v_fmac_f32_e32 v19, v45, v26
	v_fmac_f32_e32 v17, v42, v30
	v_fmac_f32_e32 v16, v43, v30
	v_fmac_f32_e32 v15, v44, v30
	v_fmac_f32_e32 v14, v45, v30
	v_fmac_f32_e32 v13, v42, v34
	v_fmac_f32_e32 v12, v43, v34
	v_fmac_f32_e32 v11, v44, v34
	v_fmac_f32_e32 v10, v45, v34
	v_fmac_f32_e32 v9, v42, v38
	v_fmac_f32_e32 v8, v43, v38
	v_fmac_f32_e32 v7, v44, v38
	v_fmac_f32_e32 v6, v45, v38
	v_fmac_f32_e32 v18, v46, v27
	v_fmac_f32_e32 v21, v47, v27
	v_fmac_f32_e32 v20, v48, v27
	v_fmac_f32_e32 v19, v49, v27
	v_fmac_f32_e32 v17, v46, v31
	v_fmac_f32_e32 v16, v47, v31
	v_fmac_f32_e32 v15, v48, v31
	v_fmac_f32_e32 v14, v49, v31
	v_fmac_f32_e32 v13, v46, v35
	v_fmac_f32_e32 v12, v47, v35
	v_fmac_f32_e32 v11, v48, v35
	v_fmac_f32_e32 v10, v49, v35
	v_fmac_f32_e32 v9, v46, v39
	v_fmac_f32_e32 v8, v47, v39
	v_fmac_f32_e32 v7, v48, v39
	v_fmac_f32_e32 v6, v49, v39
	v_fmac_f32_e32 v18, v50, v28
	v_fmac_f32_e32 v21, v51, v28
	v_fmac_f32_e32 v20, v52, v28
	v_fmac_f32_e32 v19, v53, v28
	v_fmac_f32_e32 v17, v50, v32
	v_fmac_f32_e32 v16, v51, v32
	v_fmac_f32_e32 v15, v52, v32
	v_fmac_f32_e32 v14, v53, v32
	v_fmac_f32_e32 v13, v50, v36
	v_fmac_f32_e32 v12, v51, v36
	v_fmac_f32_e32 v11, v52, v36
	v_fmac_f32_e32 v10, v53, v36
	v_fmac_f32_e32 v9, v50, v40
	v_fmac_f32_e32 v8, v51, v40
	v_fmac_f32_e32 v7, v52, v40
	v_fmac_f32_e32 v6, v53, v40
	v_fmac_f32_e32 v18, v54, v29
	v_fmac_f32_e32 v21, v55, v29
	v_fmac_f32_e32 v20, v56, v29
	v_fmac_f32_e32 v19, v57, v29
	v_fmac_f32_e32 v17, v54, v33
	v_fmac_f32_e32 v16, v55, v33
	v_fmac_f32_e32 v15, v56, v33
	v_fmac_f32_e32 v14, v57, v33
	v_fmac_f32_e32 v13, v54, v37
	v_fmac_f32_e32 v12, v55, v37
	v_fmac_f32_e32 v11, v56, v37
	v_fmac_f32_e32 v10, v57, v37
	v_fmac_f32_e32 v9, v54, v41
	v_fmac_f32_e32 v8, v55, v41
	v_fmac_f32_e32 v7, v56, v41
	v_fmac_f32_e32 v6, v57, v41
	s_cbranch_vccnz .LBB90_2
.LBB90_3:
	s_load_dword s8, s[4:5], 0x50
	s_lshl_b64 s[10:11], s[2:3], 1
	s_load_dword s2, s[4:5], 0x18
	v_add_co_u32 v2, s4, s30, v1
	v_add_co_ci_u32_e64 v5, null, s31, 0, s4
	v_add_co_u32 v0, s4, s6, v0
	v_add_co_ci_u32_e64 v1, null, s7, 0, s4
	v_mul_lo_u32 v3, v5, s0
	v_mul_lo_u32 v4, v2, s1
	s_waitcnt lgkmcnt(0)
	s_add_u32 s3, s18, s10
	v_lshlrev_b64 v[0:1], 1, v[0:1]
	s_addc_u32 s4, s19, s11
	v_cmp_neq_f32_e64 s5, s8, 0
	s_and_b32 vcc_lo, exec_lo, s5
	s_mov_b32 s5, 0
	s_cbranch_vccnz .LBB90_7
; %bb.4:
	v_mad_u64_u32 v[22:23], null, v2, s0, 0
	s_lshl_b64 s[6:7], s[0:1], 5
	v_fma_mixlo_f16 v26, s2, v18, 0
	v_fma_mixlo_f16 v27, s2, v21, 0
	;; [unrolled: 1-line block ×5, first 2 shown]
	v_add3_u32 v23, v23, v4, v3
	v_fma_mixlo_f16 v31, s2, v16, 0
	v_fma_mixlo_f16 v32, s2, v15, 0
	;; [unrolled: 1-line block ×3, first 2 shown]
	v_lshlrev_b64 v[22:23], 1, v[22:23]
	v_add_co_u32 v22, vcc_lo, s3, v22
	v_add_co_ci_u32_e64 v23, null, s4, v23, vcc_lo
	v_add_co_u32 v34, vcc_lo, v22, s6
	v_add_co_ci_u32_e64 v35, null, s7, v23, vcc_lo
	v_add_co_u32 v22, vcc_lo, v22, v0
	v_add_co_ci_u32_e64 v23, null, v23, v1, vcc_lo
	v_add_co_u32 v24, vcc_lo, v34, v0
	v_add_co_ci_u32_e64 v25, null, v35, v1, vcc_lo
	flat_store_short v[22:23], v26
	flat_store_short v[22:23], v27 offset:32
	flat_store_short v[22:23], v28 offset:64
	;; [unrolled: 1-line block ×3, first 2 shown]
	flat_store_short v[24:25], v30
	flat_store_short v[24:25], v31 offset:32
	v_add_co_u32 v26, vcc_lo, v34, s6
	v_add_co_ci_u32_e64 v27, null, s7, v35, vcc_lo
	v_fma_mixlo_f16 v28, s2, v13, 0
	v_add_co_u32 v22, vcc_lo, v26, v0
	v_add_co_ci_u32_e64 v23, null, v27, v1, vcc_lo
	v_fma_mixlo_f16 v29, s2, v12, 0
	v_fma_mixlo_f16 v30, s2, v11, 0
	flat_store_short v[24:25], v32 offset:64
	flat_store_short v[24:25], v33 offset:96
	flat_store_short v[22:23], v28
	flat_store_short v[22:23], v29 offset:32
	flat_store_short v[22:23], v30 offset:64
	v_add_co_u32 v24, vcc_lo, v26, s6
	v_add_co_ci_u32_e64 v25, null, s7, v27, vcc_lo
	v_fma_mixlo_f16 v28, s2, v10, 0
	v_add_co_u32 v24, vcc_lo, v24, v0
	v_fma_mixlo_f16 v26, s2, v9, 0
	v_add_co_ci_u32_e64 v25, null, v25, v1, vcc_lo
	v_fma_mixlo_f16 v27, s2, v8, 0
	v_fma_mixlo_f16 v29, s2, v7, 0
	;; [unrolled: 1-line block ×3, first 2 shown]
	flat_store_short v[22:23], v28 offset:96
	flat_store_short v[24:25], v26
	flat_store_short v[24:25], v27 offset:32
	flat_store_short v[24:25], v29 offset:64
	;; [unrolled: 1-line block ×3, first 2 shown]
	s_andn2_b32 vcc_lo, exec_lo, s5
	s_cbranch_vccnz .LBB90_6
.LBB90_5:
	v_mul_lo_u32 v5, v5, s14
	v_mul_lo_u32 v24, v2, s15
	v_mad_u64_u32 v[22:23], null, v2, s14, 0
	s_lshl_b64 s[6:7], s[16:17], 1
	s_add_u32 s5, s12, s6
	s_addc_u32 s6, s13, s7
	v_add3_u32 v23, v23, v24, v5
	v_mad_u64_u32 v[24:25], null, v2, s0, 0
	s_lshl_b64 s[0:1], s[0:1], 5
	v_lshlrev_b64 v[22:23], 1, v[22:23]
	v_add3_u32 v25, v25, v4, v3
	v_add_co_u32 v5, vcc_lo, s5, v22
	v_add_co_ci_u32_e64 v26, null, s6, v23, vcc_lo
	v_lshlrev_b64 v[2:3], 1, v[24:25]
	v_add_co_u32 v22, vcc_lo, v5, v0
	v_add_co_ci_u32_e64 v23, null, v26, v1, vcc_lo
	v_add_co_u32 v24, vcc_lo, s3, v2
	flat_load_ushort v27, v[22:23]
	v_add_co_ci_u32_e64 v25, null, s4, v3, vcc_lo
	v_add_co_u32 v2, vcc_lo, v24, v0
	s_lshl_b64 s[4:5], s[14:15], 5
	v_add_co_ci_u32_e64 v3, null, v25, v1, vcc_lo
	s_waitcnt vmcnt(0) lgkmcnt(0)
	v_cvt_f32_f16_e32 v4, v27
	v_mul_f32_e32 v4, s8, v4
	v_fma_mixlo_f16 v4, s2, v18, v4
	v_add_co_u32 v18, vcc_lo, v5, s4
	flat_store_short v[2:3], v4
	flat_load_ushort v4, v[22:23] offset:32
	s_waitcnt vmcnt(0) lgkmcnt(0)
	v_cvt_f32_f16_e32 v4, v4
	v_mul_f32_e32 v4, s8, v4
	v_fma_mixlo_f16 v4, s2, v21, v4
	flat_store_short v[2:3], v4 offset:32
	flat_load_ushort v4, v[22:23] offset:64
	s_waitcnt vmcnt(0) lgkmcnt(0)
	v_cvt_f32_f16_e32 v4, v4
	v_mul_f32_e32 v4, s8, v4
	v_fma_mixlo_f16 v4, s2, v20, v4
	v_add_co_ci_u32_e64 v20, null, s5, v26, vcc_lo
	flat_store_short v[2:3], v4 offset:64
	flat_load_ushort v4, v[22:23] offset:96
	s_waitcnt vmcnt(0) lgkmcnt(0)
	v_cvt_f32_f16_e32 v4, v4
	v_mul_f32_e32 v4, s8, v4
	v_fma_mixlo_f16 v19, s2, v19, v4
	v_add_co_u32 v4, vcc_lo, v18, v0
	v_add_co_ci_u32_e64 v5, null, v20, v1, vcc_lo
	flat_store_short v[2:3], v19 offset:96
	v_add_co_u32 v19, vcc_lo, v24, s0
	flat_load_ushort v2, v[4:5]
	v_add_co_ci_u32_e64 v21, null, s1, v25, vcc_lo
	s_waitcnt vmcnt(0) lgkmcnt(0)
	v_cvt_f32_f16_e32 v2, v2
	v_mul_f32_e32 v22, s8, v2
	v_add_co_u32 v2, vcc_lo, v19, v0
	v_add_co_ci_u32_e64 v3, null, v21, v1, vcc_lo
	v_fma_mixlo_f16 v17, s2, v17, v22
	flat_store_short v[2:3], v17
	flat_load_ushort v17, v[4:5] offset:32
	s_waitcnt vmcnt(0) lgkmcnt(0)
	v_cvt_f32_f16_e32 v17, v17
	v_mul_f32_e32 v17, s8, v17
	v_fma_mixlo_f16 v16, s2, v16, v17
	flat_store_short v[2:3], v16 offset:32
	flat_load_ushort v16, v[4:5] offset:64
	s_waitcnt vmcnt(0) lgkmcnt(0)
	v_cvt_f32_f16_e32 v16, v16
	v_mul_f32_e32 v16, s8, v16
	v_fma_mixlo_f16 v15, s2, v15, v16
	flat_store_short v[2:3], v15 offset:64
	flat_load_ushort v4, v[4:5] offset:96
	v_add_co_u32 v15, vcc_lo, v18, s4
	v_add_co_ci_u32_e64 v16, null, s5, v20, vcc_lo
	s_waitcnt vmcnt(0) lgkmcnt(0)
	v_cvt_f32_f16_e32 v4, v4
	v_mul_f32_e32 v4, s8, v4
	v_fma_mixlo_f16 v14, s2, v14, v4
	v_add_co_u32 v4, vcc_lo, v15, v0
	v_add_co_ci_u32_e64 v5, null, v16, v1, vcc_lo
	flat_store_short v[2:3], v14 offset:96
	v_add_co_u32 v14, vcc_lo, v19, s0
	flat_load_ushort v2, v[4:5]
	v_add_co_ci_u32_e64 v17, null, s1, v21, vcc_lo
	s_waitcnt vmcnt(0) lgkmcnt(0)
	v_cvt_f32_f16_e32 v2, v2
	v_mul_f32_e32 v18, s8, v2
	v_add_co_u32 v2, vcc_lo, v14, v0
	v_add_co_ci_u32_e64 v3, null, v17, v1, vcc_lo
	v_fma_mixlo_f16 v13, s2, v13, v18
	flat_store_short v[2:3], v13
	flat_load_ushort v13, v[4:5] offset:32
	s_waitcnt vmcnt(0) lgkmcnt(0)
	v_cvt_f32_f16_e32 v13, v13
	v_mul_f32_e32 v13, s8, v13
	v_fma_mixlo_f16 v12, s2, v12, v13
	flat_store_short v[2:3], v12 offset:32
	flat_load_ushort v12, v[4:5] offset:64
	s_waitcnt vmcnt(0) lgkmcnt(0)
	v_cvt_f32_f16_e32 v12, v12
	v_mul_f32_e32 v12, s8, v12
	v_fma_mixlo_f16 v11, s2, v11, v12
	flat_store_short v[2:3], v11 offset:64
	flat_load_ushort v4, v[4:5] offset:96
	v_add_co_u32 v5, vcc_lo, v15, s4
	v_add_co_ci_u32_e64 v11, null, s5, v16, vcc_lo
	s_waitcnt vmcnt(0) lgkmcnt(0)
	v_cvt_f32_f16_e32 v4, v4
	v_mul_f32_e32 v4, s8, v4
	v_fma_mixlo_f16 v10, s2, v10, v4
	v_add_co_u32 v4, vcc_lo, v5, v0
	v_add_co_ci_u32_e64 v5, null, v11, v1, vcc_lo
	flat_store_short v[2:3], v10 offset:96
	v_add_co_u32 v3, vcc_lo, v14, s0
	flat_load_ushort v2, v[4:5]
	v_add_co_ci_u32_e64 v10, null, s1, v17, vcc_lo
	v_add_co_u32 v0, vcc_lo, v3, v0
	v_add_co_ci_u32_e64 v1, null, v10, v1, vcc_lo
	s_waitcnt vmcnt(0) lgkmcnt(0)
	v_cvt_f32_f16_e32 v2, v2
	v_mul_f32_e32 v2, s8, v2
	v_fma_mixlo_f16 v2, s2, v9, v2
	flat_store_short v[0:1], v2
	flat_load_ushort v2, v[4:5] offset:32
	s_waitcnt vmcnt(0) lgkmcnt(0)
	v_cvt_f32_f16_e32 v2, v2
	v_mul_f32_e32 v2, s8, v2
	v_fma_mixlo_f16 v2, s2, v8, v2
	flat_store_short v[0:1], v2 offset:32
	flat_load_ushort v2, v[4:5] offset:64
	s_waitcnt vmcnt(0) lgkmcnt(0)
	v_cvt_f32_f16_e32 v2, v2
	v_mul_f32_e32 v2, s8, v2
	v_fma_mixlo_f16 v2, s2, v7, v2
	flat_store_short v[0:1], v2 offset:64
	;; [unrolled: 6-line block ×3, first 2 shown]
.LBB90_6:
	s_endpgm
.LBB90_7:
	s_branch .LBB90_5
	.section	.rodata,"a",@progbits
	.p2align	6, 0x0
	.amdhsa_kernel _ZN12_GLOBAL__N_127rocblas_gemm_batched_kernelIfLi16ELi16ELi64ELi64ELi4ELi64ELi4ELi4ELi64ELc67ELc78EKPKDF16_S3_KPDF16_EEvlllT_PT11_llS8_llS6_PT12_llPT13_lli
		.amdhsa_group_segment_fixed_size 2048
		.amdhsa_private_segment_fixed_size 0
		.amdhsa_kernarg_size 140
		.amdhsa_user_sgpr_count 6
		.amdhsa_user_sgpr_private_segment_buffer 1
		.amdhsa_user_sgpr_dispatch_ptr 0
		.amdhsa_user_sgpr_queue_ptr 0
		.amdhsa_user_sgpr_kernarg_segment_ptr 1
		.amdhsa_user_sgpr_dispatch_id 0
		.amdhsa_user_sgpr_flat_scratch_init 0
		.amdhsa_user_sgpr_private_segment_size 0
		.amdhsa_wavefront_size32 1
		.amdhsa_uses_dynamic_stack 0
		.amdhsa_system_sgpr_private_segment_wavefront_offset 0
		.amdhsa_system_sgpr_workgroup_id_x 1
		.amdhsa_system_sgpr_workgroup_id_y 1
		.amdhsa_system_sgpr_workgroup_id_z 1
		.amdhsa_system_sgpr_workgroup_info 0
		.amdhsa_system_vgpr_workitem_id 1
		.amdhsa_next_free_vgpr 58
		.amdhsa_next_free_sgpr 36
		.amdhsa_reserve_vcc 1
		.amdhsa_reserve_flat_scratch 0
		.amdhsa_float_round_mode_32 0
		.amdhsa_float_round_mode_16_64 0
		.amdhsa_float_denorm_mode_32 3
		.amdhsa_float_denorm_mode_16_64 3
		.amdhsa_dx10_clamp 1
		.amdhsa_ieee_mode 1
		.amdhsa_fp16_overflow 0
		.amdhsa_workgroup_processor_mode 1
		.amdhsa_memory_ordered 1
		.amdhsa_forward_progress 1
		.amdhsa_shared_vgpr_count 0
		.amdhsa_exception_fp_ieee_invalid_op 0
		.amdhsa_exception_fp_denorm_src 0
		.amdhsa_exception_fp_ieee_div_zero 0
		.amdhsa_exception_fp_ieee_overflow 0
		.amdhsa_exception_fp_ieee_underflow 0
		.amdhsa_exception_fp_ieee_inexact 0
		.amdhsa_exception_int_div_zero 0
	.end_amdhsa_kernel
	.section	.text._ZN12_GLOBAL__N_127rocblas_gemm_batched_kernelIfLi16ELi16ELi64ELi64ELi4ELi64ELi4ELi4ELi64ELc67ELc78EKPKDF16_S3_KPDF16_EEvlllT_PT11_llS8_llS6_PT12_llPT13_lli,"axG",@progbits,_ZN12_GLOBAL__N_127rocblas_gemm_batched_kernelIfLi16ELi16ELi64ELi64ELi4ELi64ELi4ELi4ELi64ELc67ELc78EKPKDF16_S3_KPDF16_EEvlllT_PT11_llS8_llS6_PT12_llPT13_lli,comdat
.Lfunc_end90:
	.size	_ZN12_GLOBAL__N_127rocblas_gemm_batched_kernelIfLi16ELi16ELi64ELi64ELi4ELi64ELi4ELi4ELi64ELc67ELc78EKPKDF16_S3_KPDF16_EEvlllT_PT11_llS8_llS6_PT12_llPT13_lli, .Lfunc_end90-_ZN12_GLOBAL__N_127rocblas_gemm_batched_kernelIfLi16ELi16ELi64ELi64ELi4ELi64ELi4ELi4ELi64ELc67ELc78EKPKDF16_S3_KPDF16_EEvlllT_PT11_llS8_llS6_PT12_llPT13_lli
                                        ; -- End function
	.set _ZN12_GLOBAL__N_127rocblas_gemm_batched_kernelIfLi16ELi16ELi64ELi64ELi4ELi64ELi4ELi4ELi64ELc67ELc78EKPKDF16_S3_KPDF16_EEvlllT_PT11_llS8_llS6_PT12_llPT13_lli.num_vgpr, 58
	.set _ZN12_GLOBAL__N_127rocblas_gemm_batched_kernelIfLi16ELi16ELi64ELi64ELi4ELi64ELi4ELi4ELi64ELc67ELc78EKPKDF16_S3_KPDF16_EEvlllT_PT11_llS8_llS6_PT12_llPT13_lli.num_agpr, 0
	.set _ZN12_GLOBAL__N_127rocblas_gemm_batched_kernelIfLi16ELi16ELi64ELi64ELi4ELi64ELi4ELi4ELi64ELc67ELc78EKPKDF16_S3_KPDF16_EEvlllT_PT11_llS8_llS6_PT12_llPT13_lli.numbered_sgpr, 36
	.set _ZN12_GLOBAL__N_127rocblas_gemm_batched_kernelIfLi16ELi16ELi64ELi64ELi4ELi64ELi4ELi4ELi64ELc67ELc78EKPKDF16_S3_KPDF16_EEvlllT_PT11_llS8_llS6_PT12_llPT13_lli.num_named_barrier, 0
	.set _ZN12_GLOBAL__N_127rocblas_gemm_batched_kernelIfLi16ELi16ELi64ELi64ELi4ELi64ELi4ELi4ELi64ELc67ELc78EKPKDF16_S3_KPDF16_EEvlllT_PT11_llS8_llS6_PT12_llPT13_lli.private_seg_size, 0
	.set _ZN12_GLOBAL__N_127rocblas_gemm_batched_kernelIfLi16ELi16ELi64ELi64ELi4ELi64ELi4ELi4ELi64ELc67ELc78EKPKDF16_S3_KPDF16_EEvlllT_PT11_llS8_llS6_PT12_llPT13_lli.uses_vcc, 1
	.set _ZN12_GLOBAL__N_127rocblas_gemm_batched_kernelIfLi16ELi16ELi64ELi64ELi4ELi64ELi4ELi4ELi64ELc67ELc78EKPKDF16_S3_KPDF16_EEvlllT_PT11_llS8_llS6_PT12_llPT13_lli.uses_flat_scratch, 0
	.set _ZN12_GLOBAL__N_127rocblas_gemm_batched_kernelIfLi16ELi16ELi64ELi64ELi4ELi64ELi4ELi4ELi64ELc67ELc78EKPKDF16_S3_KPDF16_EEvlllT_PT11_llS8_llS6_PT12_llPT13_lli.has_dyn_sized_stack, 0
	.set _ZN12_GLOBAL__N_127rocblas_gemm_batched_kernelIfLi16ELi16ELi64ELi64ELi4ELi64ELi4ELi4ELi64ELc67ELc78EKPKDF16_S3_KPDF16_EEvlllT_PT11_llS8_llS6_PT12_llPT13_lli.has_recursion, 0
	.set _ZN12_GLOBAL__N_127rocblas_gemm_batched_kernelIfLi16ELi16ELi64ELi64ELi4ELi64ELi4ELi4ELi64ELc67ELc78EKPKDF16_S3_KPDF16_EEvlllT_PT11_llS8_llS6_PT12_llPT13_lli.has_indirect_call, 0
	.section	.AMDGPU.csdata,"",@progbits
; Kernel info:
; codeLenInByte = 2532
; TotalNumSgprs: 38
; NumVgprs: 58
; ScratchSize: 0
; MemoryBound: 0
; FloatMode: 240
; IeeeMode: 1
; LDSByteSize: 2048 bytes/workgroup (compile time only)
; SGPRBlocks: 0
; VGPRBlocks: 7
; NumSGPRsForWavesPerEU: 38
; NumVGPRsForWavesPerEU: 58
; Occupancy: 16
; WaveLimiterHint : 1
; COMPUTE_PGM_RSRC2:SCRATCH_EN: 0
; COMPUTE_PGM_RSRC2:USER_SGPR: 6
; COMPUTE_PGM_RSRC2:TRAP_HANDLER: 0
; COMPUTE_PGM_RSRC2:TGID_X_EN: 1
; COMPUTE_PGM_RSRC2:TGID_Y_EN: 1
; COMPUTE_PGM_RSRC2:TGID_Z_EN: 1
; COMPUTE_PGM_RSRC2:TIDIG_COMP_CNT: 1
	.section	.text._ZN12_GLOBAL__N_127rocblas_gemm_batched_kernelIfLi16ELi16ELi64ELi64ELi4ELi64ELi4ELi4ELi64ELc67ELc84EKPKDF16_S3_KPDF16_EEvlllT_PT11_llS8_llS6_PT12_llPT13_lli,"axG",@progbits,_ZN12_GLOBAL__N_127rocblas_gemm_batched_kernelIfLi16ELi16ELi64ELi64ELi4ELi64ELi4ELi4ELi64ELc67ELc84EKPKDF16_S3_KPDF16_EEvlllT_PT11_llS8_llS6_PT12_llPT13_lli,comdat
	.globl	_ZN12_GLOBAL__N_127rocblas_gemm_batched_kernelIfLi16ELi16ELi64ELi64ELi4ELi64ELi4ELi4ELi64ELc67ELc84EKPKDF16_S3_KPDF16_EEvlllT_PT11_llS8_llS6_PT12_llPT13_lli ; -- Begin function _ZN12_GLOBAL__N_127rocblas_gemm_batched_kernelIfLi16ELi16ELi64ELi64ELi4ELi64ELi4ELi4ELi64ELc67ELc84EKPKDF16_S3_KPDF16_EEvlllT_PT11_llS8_llS6_PT12_llPT13_lli
	.p2align	8
	.type	_ZN12_GLOBAL__N_127rocblas_gemm_batched_kernelIfLi16ELi16ELi64ELi64ELi4ELi64ELi4ELi4ELi64ELc67ELc84EKPKDF16_S3_KPDF16_EEvlllT_PT11_llS8_llS6_PT12_llPT13_lli,@function
_ZN12_GLOBAL__N_127rocblas_gemm_batched_kernelIfLi16ELi16ELi64ELi64ELi4ELi64ELi4ELi4ELi64ELc67ELc84EKPKDF16_S3_KPDF16_EEvlllT_PT11_llS8_llS6_PT12_llPT13_lli: ; @_ZN12_GLOBAL__N_127rocblas_gemm_batched_kernelIfLi16ELi16ELi64ELi64ELi4ELi64ELi4ELi4ELi64ELc67ELc84EKPKDF16_S3_KPDF16_EEvlllT_PT11_llS8_llS6_PT12_llPT13_lli
; %bb.0:
	s_clause 0x1
	s_load_dwordx8 s[12:19], s[4:5], 0x58
	s_load_dwordx2 s[28:29], s[4:5], 0x10
	s_mov_b32 s9, 0
	s_load_dwordx4 s[0:3], s[4:5], 0x78
	s_lshl_b64 s[34:35], s[8:9], 3
	s_mov_b32 s10, s7
	v_mov_b32_e32 v18, 0
	v_mov_b32_e32 v21, 0
	;; [unrolled: 1-line block ×14, first 2 shown]
	s_waitcnt lgkmcnt(0)
	s_add_u32 s8, s12, s34
	s_addc_u32 s9, s13, s35
	s_add_u32 s18, s18, s34
	s_addc_u32 s19, s19, s35
	s_load_dwordx2 s[12:13], s[8:9], 0x0
	s_load_dwordx2 s[18:19], s[18:19], 0x0
	v_cmp_lt_i64_e64 s20, s[28:29], 1
	v_mov_b32_e32 v2, 0
	v_mov_b32_e32 v3, 0
	s_ashr_i32 s7, s6, 31
	s_ashr_i32 s11, s10, 31
	s_lshl_b64 s[6:7], s[6:7], 6
	s_and_b32 vcc_lo, exec_lo, s20
	s_lshl_b64 s[30:31], s[10:11], 6
	s_cbranch_vccnz .LBB91_3
; %bb.1:
	s_clause 0x1
	s_load_dwordx8 s[20:27], s[4:5], 0x20
	s_load_dwordx4 s[8:11], s[4:5], 0x40
	v_lshlrev_b32_e32 v8, 4, v1
	v_and_b32_e32 v10, 3, v0
	v_mov_b32_e32 v3, 0
	v_lshlrev_b32_e32 v22, 2, v0
	v_add_nc_u32_e32 v9, v8, v0
	v_lshlrev_b32_e32 v12, 2, v10
	v_add_nc_u32_e32 v23, 0x400, v8
	v_mov_b32_e32 v16, v3
	v_mov_b32_e32 v17, v3
	v_and_b32_e32 v11, 63, v9
	v_lshrrev_b32_e32 v2, 2, v9
	v_lshrrev_b32_e32 v9, 6, v9
	v_mov_b32_e32 v19, v3
	v_mov_b32_e32 v20, v3
	v_add_co_u32 v6, s33, s6, v11
	v_add_co_ci_u32_e64 v7, null, s7, 0, s33
	s_waitcnt lgkmcnt(0)
	s_add_u32 s20, s20, s34
	s_addc_u32 s21, s21, s35
	s_add_u32 s26, s26, s34
	s_addc_u32 s27, s27, s35
	v_mad_u64_u32 v[4:5], null, s8, v10, v[2:3]
	s_load_dwordx2 s[26:27], s[26:27], 0x0
	v_mul_lo_u32 v13, s23, v6
	v_mul_lo_u32 v14, s22, v7
	v_mad_u64_u32 v[6:7], null, s22, v6, 0
	v_lshlrev_b32_e32 v11, 2, v11
	v_lshl_or_b32 v12, v2, 4, v12
	v_mov_b32_e32 v2, v5
	v_lshlrev_b32_e32 v15, 1, v9
	s_load_dwordx2 s[20:21], s[20:21], 0x0
	v_lshl_or_b32 v24, v9, 8, v11
	v_add3_u32 v7, v7, v14, v13
	v_mad_u64_u32 v[8:9], null, s9, v10, v[2:3]
	s_lshl_b64 s[10:11], s[10:11], 1
	v_add_nc_u32_e32 v25, 0x400, v12
	v_lshlrev_b64 v[5:6], 1, v[6:7]
	v_add_co_u32 v7, vcc_lo, v4, s30
	v_mov_b32_e32 v9, v3
	v_add_co_ci_u32_e64 v8, null, s31, v8, vcc_lo
	s_waitcnt lgkmcnt(0)
	s_add_u32 s22, s26, s10
	s_addc_u32 s23, s27, s11
	s_lshl_b64 s[10:11], s[24:25], 1
	v_mov_b32_e32 v10, v3
	v_add_co_u32 v2, vcc_lo, v5, s10
	v_add_co_ci_u32_e64 v6, null, s11, v6, vcc_lo
	v_lshlrev_b64 v[4:5], 1, v[7:8]
	v_add_co_u32 v2, vcc_lo, v2, v15
	v_add_co_ci_u32_e64 v7, null, 0, v6, vcc_lo
	v_mov_b32_e32 v8, v3
	v_add_co_u32 v4, vcc_lo, s22, v4
	v_add_co_ci_u32_e64 v5, null, s23, v5, vcc_lo
	v_add_co_u32 v6, vcc_lo, s20, v2
	v_add_co_ci_u32_e64 v7, null, s21, v7, vcc_lo
	v_mov_b32_e32 v2, v3
	v_mov_b32_e32 v11, v3
	;; [unrolled: 1-line block ×8, first 2 shown]
	s_lshl_b64 s[8:9], s[8:9], 3
	s_mov_b64 s[10:11], 0
.LBB91_2:                               ; =>This Inner Loop Header: Depth=1
	flat_load_ushort v26, v[6:7]
	flat_load_ushort v27, v[4:5]
	s_add_u32 s10, s10, 4
	s_addc_u32 s11, s11, 0
	v_add_co_u32 v4, vcc_lo, v4, s8
	v_cmp_lt_i64_e64 s20, s[10:11], s[28:29]
	v_add_co_ci_u32_e64 v5, null, s9, v5, vcc_lo
	v_add_co_u32 v6, vcc_lo, v6, 8
	v_add_co_ci_u32_e64 v7, null, 0, v7, vcc_lo
	s_and_b32 vcc_lo, exec_lo, s20
	s_waitcnt vmcnt(1) lgkmcnt(1)
	v_cvt_f32_f16_e32 v26, v26
	s_waitcnt vmcnt(0) lgkmcnt(0)
	v_cvt_f32_f16_e32 v27, v27
	ds_write_b32 v24, v26
	ds_write_b32 v25, v27
	s_waitcnt lgkmcnt(0)
	s_barrier
	buffer_gl0_inv
	ds_read_b128 v[26:29], v23
	ds_read2_b32 v[42:43], v22 offset1:16
	ds_read2_b32 v[44:45], v22 offset0:32 offset1:48
	ds_read_b128 v[30:33], v23 offset:256
	ds_read_b128 v[34:37], v23 offset:512
	;; [unrolled: 1-line block ×3, first 2 shown]
	ds_read2_b32 v[46:47], v22 offset0:64 offset1:80
	ds_read2_b32 v[48:49], v22 offset0:96 offset1:112
	;; [unrolled: 1-line block ×6, first 2 shown]
	s_waitcnt lgkmcnt(0)
	s_barrier
	buffer_gl0_inv
	v_fmac_f32_e32 v18, v42, v26
	v_fmac_f32_e32 v21, v43, v26
	v_fmac_f32_e32 v20, v44, v26
	v_fmac_f32_e32 v19, v45, v26
	v_fmac_f32_e32 v17, v42, v30
	v_fmac_f32_e32 v16, v43, v30
	v_fmac_f32_e32 v15, v44, v30
	v_fmac_f32_e32 v14, v45, v30
	v_fmac_f32_e32 v13, v42, v34
	v_fmac_f32_e32 v12, v43, v34
	v_fmac_f32_e32 v11, v44, v34
	v_fmac_f32_e32 v10, v45, v34
	v_fmac_f32_e32 v9, v42, v38
	v_fmac_f32_e32 v8, v43, v38
	v_fmac_f32_e32 v2, v44, v38
	v_fmac_f32_e32 v3, v45, v38
	v_fmac_f32_e32 v18, v46, v27
	v_fmac_f32_e32 v21, v47, v27
	v_fmac_f32_e32 v20, v48, v27
	v_fmac_f32_e32 v19, v49, v27
	v_fmac_f32_e32 v17, v46, v31
	v_fmac_f32_e32 v16, v47, v31
	v_fmac_f32_e32 v15, v48, v31
	v_fmac_f32_e32 v14, v49, v31
	v_fmac_f32_e32 v13, v46, v35
	v_fmac_f32_e32 v12, v47, v35
	v_fmac_f32_e32 v11, v48, v35
	v_fmac_f32_e32 v10, v49, v35
	v_fmac_f32_e32 v9, v46, v39
	v_fmac_f32_e32 v8, v47, v39
	v_fmac_f32_e32 v2, v48, v39
	v_fmac_f32_e32 v3, v49, v39
	v_fmac_f32_e32 v18, v50, v28
	v_fmac_f32_e32 v21, v51, v28
	v_fmac_f32_e32 v20, v52, v28
	v_fmac_f32_e32 v19, v53, v28
	v_fmac_f32_e32 v17, v50, v32
	v_fmac_f32_e32 v16, v51, v32
	v_fmac_f32_e32 v15, v52, v32
	v_fmac_f32_e32 v14, v53, v32
	v_fmac_f32_e32 v13, v50, v36
	v_fmac_f32_e32 v12, v51, v36
	v_fmac_f32_e32 v11, v52, v36
	v_fmac_f32_e32 v10, v53, v36
	v_fmac_f32_e32 v9, v50, v40
	v_fmac_f32_e32 v8, v51, v40
	v_fmac_f32_e32 v2, v52, v40
	v_fmac_f32_e32 v3, v53, v40
	v_fmac_f32_e32 v18, v54, v29
	v_fmac_f32_e32 v21, v55, v29
	v_fmac_f32_e32 v20, v56, v29
	v_fmac_f32_e32 v19, v57, v29
	v_fmac_f32_e32 v17, v54, v33
	v_fmac_f32_e32 v16, v55, v33
	v_fmac_f32_e32 v15, v56, v33
	v_fmac_f32_e32 v14, v57, v33
	v_fmac_f32_e32 v13, v54, v37
	v_fmac_f32_e32 v12, v55, v37
	v_fmac_f32_e32 v11, v56, v37
	v_fmac_f32_e32 v10, v57, v37
	v_fmac_f32_e32 v9, v54, v41
	v_fmac_f32_e32 v8, v55, v41
	v_fmac_f32_e32 v2, v56, v41
	v_fmac_f32_e32 v3, v57, v41
	s_cbranch_vccnz .LBB91_2
.LBB91_3:
	s_load_dword s8, s[4:5], 0x50
	s_lshl_b64 s[10:11], s[2:3], 1
	s_load_dword s2, s[4:5], 0x18
	v_add_co_u32 v4, s4, s30, v1
	v_add_co_ci_u32_e64 v7, null, s31, 0, s4
	v_add_co_u32 v0, s4, s6, v0
	v_add_co_ci_u32_e64 v1, null, s7, 0, s4
	v_mul_lo_u32 v5, v7, s0
	v_mul_lo_u32 v6, v4, s1
	s_waitcnt lgkmcnt(0)
	s_add_u32 s3, s18, s10
	v_lshlrev_b64 v[0:1], 1, v[0:1]
	s_addc_u32 s4, s19, s11
	v_cmp_neq_f32_e64 s5, s8, 0
	s_and_b32 vcc_lo, exec_lo, s5
	s_mov_b32 s5, 0
	s_cbranch_vccnz .LBB91_7
; %bb.4:
	v_mad_u64_u32 v[22:23], null, v4, s0, 0
	s_lshl_b64 s[6:7], s[0:1], 5
	v_fma_mixlo_f16 v26, s2, v18, 0
	v_fma_mixlo_f16 v27, s2, v21, 0
	;; [unrolled: 1-line block ×5, first 2 shown]
	v_add3_u32 v23, v23, v6, v5
	v_fma_mixlo_f16 v31, s2, v16, 0
	v_fma_mixlo_f16 v32, s2, v15, 0
	;; [unrolled: 1-line block ×3, first 2 shown]
	v_lshlrev_b64 v[22:23], 1, v[22:23]
	v_add_co_u32 v22, vcc_lo, s3, v22
	v_add_co_ci_u32_e64 v23, null, s4, v23, vcc_lo
	v_add_co_u32 v34, vcc_lo, v22, s6
	v_add_co_ci_u32_e64 v35, null, s7, v23, vcc_lo
	;; [unrolled: 2-line block ×4, first 2 shown]
	flat_store_short v[22:23], v26
	flat_store_short v[22:23], v27 offset:32
	flat_store_short v[22:23], v28 offset:64
	;; [unrolled: 1-line block ×3, first 2 shown]
	flat_store_short v[24:25], v30
	flat_store_short v[24:25], v31 offset:32
	v_add_co_u32 v26, vcc_lo, v34, s6
	v_add_co_ci_u32_e64 v27, null, s7, v35, vcc_lo
	v_fma_mixlo_f16 v28, s2, v13, 0
	v_add_co_u32 v22, vcc_lo, v26, v0
	v_add_co_ci_u32_e64 v23, null, v27, v1, vcc_lo
	v_fma_mixlo_f16 v29, s2, v12, 0
	v_fma_mixlo_f16 v30, s2, v11, 0
	flat_store_short v[24:25], v32 offset:64
	flat_store_short v[24:25], v33 offset:96
	flat_store_short v[22:23], v28
	flat_store_short v[22:23], v29 offset:32
	flat_store_short v[22:23], v30 offset:64
	v_add_co_u32 v24, vcc_lo, v26, s6
	v_add_co_ci_u32_e64 v25, null, s7, v27, vcc_lo
	v_fma_mixlo_f16 v28, s2, v10, 0
	v_add_co_u32 v24, vcc_lo, v24, v0
	v_fma_mixlo_f16 v26, s2, v9, 0
	v_add_co_ci_u32_e64 v25, null, v25, v1, vcc_lo
	v_fma_mixlo_f16 v27, s2, v8, 0
	v_fma_mixlo_f16 v29, s2, v2, 0
	;; [unrolled: 1-line block ×3, first 2 shown]
	flat_store_short v[22:23], v28 offset:96
	flat_store_short v[24:25], v26
	flat_store_short v[24:25], v27 offset:32
	flat_store_short v[24:25], v29 offset:64
	;; [unrolled: 1-line block ×3, first 2 shown]
	s_andn2_b32 vcc_lo, exec_lo, s5
	s_cbranch_vccnz .LBB91_6
.LBB91_5:
	v_mul_lo_u32 v7, v7, s14
	v_mul_lo_u32 v24, v4, s15
	v_mad_u64_u32 v[22:23], null, v4, s14, 0
	s_lshl_b64 s[6:7], s[16:17], 1
	s_add_u32 s5, s12, s6
	s_addc_u32 s6, s13, s7
	v_add3_u32 v23, v23, v24, v7
	v_mad_u64_u32 v[24:25], null, v4, s0, 0
	s_lshl_b64 s[0:1], s[0:1], 5
	v_lshlrev_b64 v[22:23], 1, v[22:23]
	v_add3_u32 v25, v25, v6, v5
	v_add_co_u32 v7, vcc_lo, s5, v22
	v_add_co_ci_u32_e64 v26, null, s6, v23, vcc_lo
	v_lshlrev_b64 v[4:5], 1, v[24:25]
	v_add_co_u32 v22, vcc_lo, v7, v0
	v_add_co_ci_u32_e64 v23, null, v26, v1, vcc_lo
	v_add_co_u32 v24, vcc_lo, s3, v4
	flat_load_ushort v27, v[22:23]
	v_add_co_ci_u32_e64 v25, null, s4, v5, vcc_lo
	v_add_co_u32 v4, vcc_lo, v24, v0
	s_lshl_b64 s[4:5], s[14:15], 5
	v_add_co_ci_u32_e64 v5, null, v25, v1, vcc_lo
	s_waitcnt vmcnt(0) lgkmcnt(0)
	v_cvt_f32_f16_e32 v6, v27
	v_mul_f32_e32 v6, s8, v6
	v_fma_mixlo_f16 v6, s2, v18, v6
	v_add_co_u32 v18, vcc_lo, v7, s4
	flat_store_short v[4:5], v6
	flat_load_ushort v6, v[22:23] offset:32
	s_waitcnt vmcnt(0) lgkmcnt(0)
	v_cvt_f32_f16_e32 v6, v6
	v_mul_f32_e32 v6, s8, v6
	v_fma_mixlo_f16 v6, s2, v21, v6
	flat_store_short v[4:5], v6 offset:32
	flat_load_ushort v6, v[22:23] offset:64
	s_waitcnt vmcnt(0) lgkmcnt(0)
	v_cvt_f32_f16_e32 v6, v6
	v_mul_f32_e32 v6, s8, v6
	v_fma_mixlo_f16 v6, s2, v20, v6
	v_add_co_ci_u32_e64 v20, null, s5, v26, vcc_lo
	flat_store_short v[4:5], v6 offset:64
	flat_load_ushort v6, v[22:23] offset:96
	s_waitcnt vmcnt(0) lgkmcnt(0)
	v_cvt_f32_f16_e32 v6, v6
	v_mul_f32_e32 v6, s8, v6
	v_fma_mixlo_f16 v19, s2, v19, v6
	v_add_co_u32 v6, vcc_lo, v18, v0
	v_add_co_ci_u32_e64 v7, null, v20, v1, vcc_lo
	flat_store_short v[4:5], v19 offset:96
	v_add_co_u32 v19, vcc_lo, v24, s0
	flat_load_ushort v4, v[6:7]
	v_add_co_ci_u32_e64 v21, null, s1, v25, vcc_lo
	s_waitcnt vmcnt(0) lgkmcnt(0)
	v_cvt_f32_f16_e32 v4, v4
	v_mul_f32_e32 v22, s8, v4
	v_add_co_u32 v4, vcc_lo, v19, v0
	v_add_co_ci_u32_e64 v5, null, v21, v1, vcc_lo
	v_fma_mixlo_f16 v17, s2, v17, v22
	flat_store_short v[4:5], v17
	flat_load_ushort v17, v[6:7] offset:32
	s_waitcnt vmcnt(0) lgkmcnt(0)
	v_cvt_f32_f16_e32 v17, v17
	v_mul_f32_e32 v17, s8, v17
	v_fma_mixlo_f16 v16, s2, v16, v17
	flat_store_short v[4:5], v16 offset:32
	flat_load_ushort v16, v[6:7] offset:64
	s_waitcnt vmcnt(0) lgkmcnt(0)
	v_cvt_f32_f16_e32 v16, v16
	v_mul_f32_e32 v16, s8, v16
	v_fma_mixlo_f16 v15, s2, v15, v16
	flat_store_short v[4:5], v15 offset:64
	flat_load_ushort v6, v[6:7] offset:96
	v_add_co_u32 v15, vcc_lo, v18, s4
	v_add_co_ci_u32_e64 v16, null, s5, v20, vcc_lo
	s_waitcnt vmcnt(0) lgkmcnt(0)
	v_cvt_f32_f16_e32 v6, v6
	v_mul_f32_e32 v6, s8, v6
	v_fma_mixlo_f16 v14, s2, v14, v6
	v_add_co_u32 v6, vcc_lo, v15, v0
	v_add_co_ci_u32_e64 v7, null, v16, v1, vcc_lo
	flat_store_short v[4:5], v14 offset:96
	v_add_co_u32 v14, vcc_lo, v19, s0
	flat_load_ushort v4, v[6:7]
	v_add_co_ci_u32_e64 v17, null, s1, v21, vcc_lo
	s_waitcnt vmcnt(0) lgkmcnt(0)
	v_cvt_f32_f16_e32 v4, v4
	v_mul_f32_e32 v18, s8, v4
	v_add_co_u32 v4, vcc_lo, v14, v0
	v_add_co_ci_u32_e64 v5, null, v17, v1, vcc_lo
	v_fma_mixlo_f16 v13, s2, v13, v18
	flat_store_short v[4:5], v13
	flat_load_ushort v13, v[6:7] offset:32
	s_waitcnt vmcnt(0) lgkmcnt(0)
	v_cvt_f32_f16_e32 v13, v13
	v_mul_f32_e32 v13, s8, v13
	v_fma_mixlo_f16 v12, s2, v12, v13
	flat_store_short v[4:5], v12 offset:32
	flat_load_ushort v12, v[6:7] offset:64
	s_waitcnt vmcnt(0) lgkmcnt(0)
	v_cvt_f32_f16_e32 v12, v12
	v_mul_f32_e32 v12, s8, v12
	v_fma_mixlo_f16 v11, s2, v11, v12
	flat_store_short v[4:5], v11 offset:64
	flat_load_ushort v6, v[6:7] offset:96
	v_add_co_u32 v7, vcc_lo, v15, s4
	v_add_co_ci_u32_e64 v11, null, s5, v16, vcc_lo
	s_waitcnt vmcnt(0) lgkmcnt(0)
	v_cvt_f32_f16_e32 v6, v6
	v_mul_f32_e32 v6, s8, v6
	v_fma_mixlo_f16 v10, s2, v10, v6
	v_add_co_u32 v6, vcc_lo, v7, v0
	v_add_co_ci_u32_e64 v7, null, v11, v1, vcc_lo
	flat_store_short v[4:5], v10 offset:96
	v_add_co_u32 v5, vcc_lo, v14, s0
	flat_load_ushort v4, v[6:7]
	v_add_co_ci_u32_e64 v10, null, s1, v17, vcc_lo
	v_add_co_u32 v0, vcc_lo, v5, v0
	v_add_co_ci_u32_e64 v1, null, v10, v1, vcc_lo
	s_waitcnt vmcnt(0) lgkmcnt(0)
	v_cvt_f32_f16_e32 v4, v4
	v_mul_f32_e32 v4, s8, v4
	v_fma_mixlo_f16 v4, s2, v9, v4
	flat_store_short v[0:1], v4
	flat_load_ushort v4, v[6:7] offset:32
	s_waitcnt vmcnt(0) lgkmcnt(0)
	v_cvt_f32_f16_e32 v4, v4
	v_mul_f32_e32 v4, s8, v4
	v_fma_mixlo_f16 v4, s2, v8, v4
	flat_store_short v[0:1], v4 offset:32
	flat_load_ushort v4, v[6:7] offset:64
	s_waitcnt vmcnt(0) lgkmcnt(0)
	v_cvt_f32_f16_e32 v4, v4
	v_mul_f32_e32 v4, s8, v4
	v_fma_mixlo_f16 v2, s2, v2, v4
	flat_store_short v[0:1], v2 offset:64
	;; [unrolled: 6-line block ×3, first 2 shown]
.LBB91_6:
	s_endpgm
.LBB91_7:
	s_branch .LBB91_5
	.section	.rodata,"a",@progbits
	.p2align	6, 0x0
	.amdhsa_kernel _ZN12_GLOBAL__N_127rocblas_gemm_batched_kernelIfLi16ELi16ELi64ELi64ELi4ELi64ELi4ELi4ELi64ELc67ELc84EKPKDF16_S3_KPDF16_EEvlllT_PT11_llS8_llS6_PT12_llPT13_lli
		.amdhsa_group_segment_fixed_size 2048
		.amdhsa_private_segment_fixed_size 0
		.amdhsa_kernarg_size 140
		.amdhsa_user_sgpr_count 6
		.amdhsa_user_sgpr_private_segment_buffer 1
		.amdhsa_user_sgpr_dispatch_ptr 0
		.amdhsa_user_sgpr_queue_ptr 0
		.amdhsa_user_sgpr_kernarg_segment_ptr 1
		.amdhsa_user_sgpr_dispatch_id 0
		.amdhsa_user_sgpr_flat_scratch_init 0
		.amdhsa_user_sgpr_private_segment_size 0
		.amdhsa_wavefront_size32 1
		.amdhsa_uses_dynamic_stack 0
		.amdhsa_system_sgpr_private_segment_wavefront_offset 0
		.amdhsa_system_sgpr_workgroup_id_x 1
		.amdhsa_system_sgpr_workgroup_id_y 1
		.amdhsa_system_sgpr_workgroup_id_z 1
		.amdhsa_system_sgpr_workgroup_info 0
		.amdhsa_system_vgpr_workitem_id 1
		.amdhsa_next_free_vgpr 58
		.amdhsa_next_free_sgpr 36
		.amdhsa_reserve_vcc 1
		.amdhsa_reserve_flat_scratch 0
		.amdhsa_float_round_mode_32 0
		.amdhsa_float_round_mode_16_64 0
		.amdhsa_float_denorm_mode_32 3
		.amdhsa_float_denorm_mode_16_64 3
		.amdhsa_dx10_clamp 1
		.amdhsa_ieee_mode 1
		.amdhsa_fp16_overflow 0
		.amdhsa_workgroup_processor_mode 1
		.amdhsa_memory_ordered 1
		.amdhsa_forward_progress 1
		.amdhsa_shared_vgpr_count 0
		.amdhsa_exception_fp_ieee_invalid_op 0
		.amdhsa_exception_fp_denorm_src 0
		.amdhsa_exception_fp_ieee_div_zero 0
		.amdhsa_exception_fp_ieee_overflow 0
		.amdhsa_exception_fp_ieee_underflow 0
		.amdhsa_exception_fp_ieee_inexact 0
		.amdhsa_exception_int_div_zero 0
	.end_amdhsa_kernel
	.section	.text._ZN12_GLOBAL__N_127rocblas_gemm_batched_kernelIfLi16ELi16ELi64ELi64ELi4ELi64ELi4ELi4ELi64ELc67ELc84EKPKDF16_S3_KPDF16_EEvlllT_PT11_llS8_llS6_PT12_llPT13_lli,"axG",@progbits,_ZN12_GLOBAL__N_127rocblas_gemm_batched_kernelIfLi16ELi16ELi64ELi64ELi4ELi64ELi4ELi4ELi64ELc67ELc84EKPKDF16_S3_KPDF16_EEvlllT_PT11_llS8_llS6_PT12_llPT13_lli,comdat
.Lfunc_end91:
	.size	_ZN12_GLOBAL__N_127rocblas_gemm_batched_kernelIfLi16ELi16ELi64ELi64ELi4ELi64ELi4ELi4ELi64ELc67ELc84EKPKDF16_S3_KPDF16_EEvlllT_PT11_llS8_llS6_PT12_llPT13_lli, .Lfunc_end91-_ZN12_GLOBAL__N_127rocblas_gemm_batched_kernelIfLi16ELi16ELi64ELi64ELi4ELi64ELi4ELi4ELi64ELc67ELc84EKPKDF16_S3_KPDF16_EEvlllT_PT11_llS8_llS6_PT12_llPT13_lli
                                        ; -- End function
	.set _ZN12_GLOBAL__N_127rocblas_gemm_batched_kernelIfLi16ELi16ELi64ELi64ELi4ELi64ELi4ELi4ELi64ELc67ELc84EKPKDF16_S3_KPDF16_EEvlllT_PT11_llS8_llS6_PT12_llPT13_lli.num_vgpr, 58
	.set _ZN12_GLOBAL__N_127rocblas_gemm_batched_kernelIfLi16ELi16ELi64ELi64ELi4ELi64ELi4ELi4ELi64ELc67ELc84EKPKDF16_S3_KPDF16_EEvlllT_PT11_llS8_llS6_PT12_llPT13_lli.num_agpr, 0
	.set _ZN12_GLOBAL__N_127rocblas_gemm_batched_kernelIfLi16ELi16ELi64ELi64ELi4ELi64ELi4ELi4ELi64ELc67ELc84EKPKDF16_S3_KPDF16_EEvlllT_PT11_llS8_llS6_PT12_llPT13_lli.numbered_sgpr, 36
	.set _ZN12_GLOBAL__N_127rocblas_gemm_batched_kernelIfLi16ELi16ELi64ELi64ELi4ELi64ELi4ELi4ELi64ELc67ELc84EKPKDF16_S3_KPDF16_EEvlllT_PT11_llS8_llS6_PT12_llPT13_lli.num_named_barrier, 0
	.set _ZN12_GLOBAL__N_127rocblas_gemm_batched_kernelIfLi16ELi16ELi64ELi64ELi4ELi64ELi4ELi4ELi64ELc67ELc84EKPKDF16_S3_KPDF16_EEvlllT_PT11_llS8_llS6_PT12_llPT13_lli.private_seg_size, 0
	.set _ZN12_GLOBAL__N_127rocblas_gemm_batched_kernelIfLi16ELi16ELi64ELi64ELi4ELi64ELi4ELi4ELi64ELc67ELc84EKPKDF16_S3_KPDF16_EEvlllT_PT11_llS8_llS6_PT12_llPT13_lli.uses_vcc, 1
	.set _ZN12_GLOBAL__N_127rocblas_gemm_batched_kernelIfLi16ELi16ELi64ELi64ELi4ELi64ELi4ELi4ELi64ELc67ELc84EKPKDF16_S3_KPDF16_EEvlllT_PT11_llS8_llS6_PT12_llPT13_lli.uses_flat_scratch, 0
	.set _ZN12_GLOBAL__N_127rocblas_gemm_batched_kernelIfLi16ELi16ELi64ELi64ELi4ELi64ELi4ELi4ELi64ELc67ELc84EKPKDF16_S3_KPDF16_EEvlllT_PT11_llS8_llS6_PT12_llPT13_lli.has_dyn_sized_stack, 0
	.set _ZN12_GLOBAL__N_127rocblas_gemm_batched_kernelIfLi16ELi16ELi64ELi64ELi4ELi64ELi4ELi4ELi64ELc67ELc84EKPKDF16_S3_KPDF16_EEvlllT_PT11_llS8_llS6_PT12_llPT13_lli.has_recursion, 0
	.set _ZN12_GLOBAL__N_127rocblas_gemm_batched_kernelIfLi16ELi16ELi64ELi64ELi4ELi64ELi4ELi4ELi64ELc67ELc84EKPKDF16_S3_KPDF16_EEvlllT_PT11_llS8_llS6_PT12_llPT13_lli.has_indirect_call, 0
	.section	.AMDGPU.csdata,"",@progbits
; Kernel info:
; codeLenInByte = 2496
; TotalNumSgprs: 38
; NumVgprs: 58
; ScratchSize: 0
; MemoryBound: 0
; FloatMode: 240
; IeeeMode: 1
; LDSByteSize: 2048 bytes/workgroup (compile time only)
; SGPRBlocks: 0
; VGPRBlocks: 7
; NumSGPRsForWavesPerEU: 38
; NumVGPRsForWavesPerEU: 58
; Occupancy: 16
; WaveLimiterHint : 1
; COMPUTE_PGM_RSRC2:SCRATCH_EN: 0
; COMPUTE_PGM_RSRC2:USER_SGPR: 6
; COMPUTE_PGM_RSRC2:TRAP_HANDLER: 0
; COMPUTE_PGM_RSRC2:TGID_X_EN: 1
; COMPUTE_PGM_RSRC2:TGID_Y_EN: 1
; COMPUTE_PGM_RSRC2:TGID_Z_EN: 1
; COMPUTE_PGM_RSRC2:TIDIG_COMP_CNT: 1
	.section	.text._ZN12_GLOBAL__N_127rocblas_gemm_batched_kernelIfLi16ELi16ELi64ELi64ELi4ELi64ELi4ELi4ELi64ELc78ELc67EKPKDF16_S3_KPDF16_EEvlllT_PT11_llS8_llS6_PT12_llPT13_lli,"axG",@progbits,_ZN12_GLOBAL__N_127rocblas_gemm_batched_kernelIfLi16ELi16ELi64ELi64ELi4ELi64ELi4ELi4ELi64ELc78ELc67EKPKDF16_S3_KPDF16_EEvlllT_PT11_llS8_llS6_PT12_llPT13_lli,comdat
	.globl	_ZN12_GLOBAL__N_127rocblas_gemm_batched_kernelIfLi16ELi16ELi64ELi64ELi4ELi64ELi4ELi4ELi64ELc78ELc67EKPKDF16_S3_KPDF16_EEvlllT_PT11_llS8_llS6_PT12_llPT13_lli ; -- Begin function _ZN12_GLOBAL__N_127rocblas_gemm_batched_kernelIfLi16ELi16ELi64ELi64ELi4ELi64ELi4ELi4ELi64ELc78ELc67EKPKDF16_S3_KPDF16_EEvlllT_PT11_llS8_llS6_PT12_llPT13_lli
	.p2align	8
	.type	_ZN12_GLOBAL__N_127rocblas_gemm_batched_kernelIfLi16ELi16ELi64ELi64ELi4ELi64ELi4ELi4ELi64ELc78ELc67EKPKDF16_S3_KPDF16_EEvlllT_PT11_llS8_llS6_PT12_llPT13_lli,@function
_ZN12_GLOBAL__N_127rocblas_gemm_batched_kernelIfLi16ELi16ELi64ELi64ELi4ELi64ELi4ELi4ELi64ELc78ELc67EKPKDF16_S3_KPDF16_EEvlllT_PT11_llS8_llS6_PT12_llPT13_lli: ; @_ZN12_GLOBAL__N_127rocblas_gemm_batched_kernelIfLi16ELi16ELi64ELi64ELi4ELi64ELi4ELi4ELi64ELc78ELc67EKPKDF16_S3_KPDF16_EEvlllT_PT11_llS8_llS6_PT12_llPT13_lli
; %bb.0:
	s_clause 0x1
	s_load_dwordx8 s[12:19], s[4:5], 0x58
	s_load_dwordx2 s[28:29], s[4:5], 0x10
	s_mov_b32 s9, 0
	s_load_dwordx4 s[0:3], s[4:5], 0x78
	s_lshl_b64 s[34:35], s[8:9], 3
	s_mov_b32 s10, s7
	v_mov_b32_e32 v18, 0
	v_mov_b32_e32 v21, 0
	;; [unrolled: 1-line block ×14, first 2 shown]
	s_waitcnt lgkmcnt(0)
	s_add_u32 s8, s12, s34
	s_addc_u32 s9, s13, s35
	s_add_u32 s18, s18, s34
	s_addc_u32 s19, s19, s35
	s_load_dwordx2 s[12:13], s[8:9], 0x0
	s_load_dwordx2 s[18:19], s[18:19], 0x0
	v_cmp_lt_i64_e64 s20, s[28:29], 1
	v_mov_b32_e32 v2, 0
	v_mov_b32_e32 v3, 0
	s_ashr_i32 s7, s6, 31
	s_ashr_i32 s11, s10, 31
	s_lshl_b64 s[6:7], s[6:7], 6
	s_and_b32 vcc_lo, exec_lo, s20
	s_lshl_b64 s[30:31], s[10:11], 6
	s_cbranch_vccnz .LBB92_3
; %bb.1:
	s_clause 0x1
	s_load_dwordx8 s[20:27], s[4:5], 0x20
	s_load_dwordx4 s[8:11], s[4:5], 0x40
	v_lshlrev_b32_e32 v8, 4, v1
	v_and_b32_e32 v9, 3, v0
	v_mov_b32_e32 v3, 0
	v_lshlrev_b32_e32 v22, 2, v0
	v_add_nc_u32_e32 v4, v8, v0
	v_lshlrev_b32_e32 v11, 2, v9
	v_add_nc_u32_e32 v23, 0x400, v8
	v_mov_b32_e32 v14, v3
	v_mov_b32_e32 v15, v3
	v_lshrrev_b32_e32 v2, 2, v4
	v_lshrrev_b32_e32 v12, 6, v4
	v_and_b32_e32 v10, 63, v4
	v_mov_b32_e32 v16, v3
	v_mov_b32_e32 v17, v3
	v_lshl_or_b32 v11, v2, 4, v11
	v_mov_b32_e32 v19, v3
	v_lshlrev_b32_e32 v13, 2, v10
	s_waitcnt lgkmcnt(0)
	v_mad_u64_u32 v[6:7], null, s22, v12, s[6:7]
	v_mad_u64_u32 v[4:5], null, s8, v9, v[2:3]
	s_add_u32 s20, s20, s34
	s_addc_u32 s21, s21, s35
	s_add_u32 s26, s26, s34
	s_addc_u32 s27, s27, s35
	s_load_dwordx2 s[20:21], s[20:21], 0x0
	s_load_dwordx2 s[26:27], s[26:27], 0x0
	v_mov_b32_e32 v2, v5
	v_mov_b32_e32 v5, v7
	v_add_co_u32 v4, vcc_lo, v4, s30
	s_lshl_b64 s[10:11], s[10:11], 1
	v_mad_u64_u32 v[7:8], null, s9, v9, v[2:3]
	v_mad_u64_u32 v[8:9], null, s23, v12, v[5:6]
	v_lshl_or_b32 v24, v12, 8, v13
	v_add_nc_u32_e32 v25, 0x400, v11
	v_mov_b32_e32 v2, v3
	v_mov_b32_e32 v9, v3
	v_add_co_ci_u32_e64 v5, null, s31, v7, vcc_lo
	v_add_co_u32 v6, vcc_lo, v6, v10
	v_add_co_ci_u32_e64 v7, null, 0, v8, vcc_lo
	v_lshlrev_b64 v[4:5], 1, v[4:5]
	s_waitcnt lgkmcnt(0)
	s_add_u32 s26, s26, s10
	s_addc_u32 s27, s27, s11
	v_lshlrev_b64 v[6:7], 1, v[6:7]
	s_lshl_b64 s[10:11], s[24:25], 1
	s_lshl_b64 s[8:9], s[8:9], 3
	s_add_u32 s10, s20, s10
	v_add_co_u32 v4, vcc_lo, s26, v4
	s_addc_u32 s11, s21, s11
	v_add_co_ci_u32_e64 v5, null, s27, v5, vcc_lo
	v_add_co_u32 v6, vcc_lo, s10, v6
	v_add_co_ci_u32_e64 v7, null, s11, v7, vcc_lo
	v_mov_b32_e32 v8, v3
	v_mov_b32_e32 v10, v3
	;; [unrolled: 1-line block ×8, first 2 shown]
	s_lshl_b64 s[10:11], s[22:23], 3
	s_mov_b64 s[20:21], 0
.LBB92_2:                               ; =>This Inner Loop Header: Depth=1
	flat_load_ushort v26, v[6:7]
	flat_load_ushort v27, v[4:5]
	s_add_u32 s20, s20, 4
	s_addc_u32 s21, s21, 0
	v_add_co_u32 v4, vcc_lo, v4, s8
	v_cmp_lt_i64_e64 s22, s[20:21], s[28:29]
	v_add_co_ci_u32_e64 v5, null, s9, v5, vcc_lo
	v_add_co_u32 v6, vcc_lo, v6, s10
	v_add_co_ci_u32_e64 v7, null, s11, v7, vcc_lo
	s_and_b32 vcc_lo, exec_lo, s22
	s_waitcnt vmcnt(1) lgkmcnt(1)
	v_cvt_f32_f16_e32 v26, v26
	s_waitcnt vmcnt(0) lgkmcnt(0)
	v_cvt_f32_f16_e32 v27, v27
	ds_write_b32 v24, v26
	ds_write_b32 v25, v27
	s_waitcnt lgkmcnt(0)
	s_barrier
	buffer_gl0_inv
	ds_read_b128 v[26:29], v23
	ds_read2_b32 v[42:43], v22 offset1:16
	ds_read2_b32 v[44:45], v22 offset0:32 offset1:48
	ds_read_b128 v[30:33], v23 offset:256
	ds_read_b128 v[34:37], v23 offset:512
	;; [unrolled: 1-line block ×3, first 2 shown]
	ds_read2_b32 v[46:47], v22 offset0:64 offset1:80
	ds_read2_b32 v[48:49], v22 offset0:96 offset1:112
	;; [unrolled: 1-line block ×6, first 2 shown]
	s_waitcnt lgkmcnt(0)
	s_barrier
	buffer_gl0_inv
	v_fmac_f32_e32 v18, v42, v26
	v_fmac_f32_e32 v21, v43, v26
	;; [unrolled: 1-line block ×64, first 2 shown]
	s_cbranch_vccnz .LBB92_2
.LBB92_3:
	s_load_dword s8, s[4:5], 0x50
	s_lshl_b64 s[10:11], s[2:3], 1
	s_load_dword s2, s[4:5], 0x18
	v_add_co_u32 v4, s4, s30, v1
	v_add_co_ci_u32_e64 v7, null, s31, 0, s4
	v_add_co_u32 v0, s4, s6, v0
	v_add_co_ci_u32_e64 v1, null, s7, 0, s4
	v_mul_lo_u32 v5, v7, s0
	v_mul_lo_u32 v6, v4, s1
	s_waitcnt lgkmcnt(0)
	s_add_u32 s3, s18, s10
	v_lshlrev_b64 v[0:1], 1, v[0:1]
	s_addc_u32 s4, s19, s11
	v_cmp_neq_f32_e64 s5, s8, 0
	s_and_b32 vcc_lo, exec_lo, s5
	s_mov_b32 s5, 0
	s_cbranch_vccnz .LBB92_7
; %bb.4:
	v_mad_u64_u32 v[22:23], null, v4, s0, 0
	s_lshl_b64 s[6:7], s[0:1], 5
	v_fma_mixlo_f16 v26, s2, v18, 0
	v_fma_mixlo_f16 v27, s2, v21, 0
	;; [unrolled: 1-line block ×5, first 2 shown]
	v_add3_u32 v23, v23, v6, v5
	v_fma_mixlo_f16 v31, s2, v16, 0
	v_fma_mixlo_f16 v32, s2, v15, 0
	;; [unrolled: 1-line block ×3, first 2 shown]
	v_lshlrev_b64 v[22:23], 1, v[22:23]
	v_add_co_u32 v22, vcc_lo, s3, v22
	v_add_co_ci_u32_e64 v23, null, s4, v23, vcc_lo
	v_add_co_u32 v34, vcc_lo, v22, s6
	v_add_co_ci_u32_e64 v35, null, s7, v23, vcc_lo
	;; [unrolled: 2-line block ×4, first 2 shown]
	flat_store_short v[22:23], v26
	flat_store_short v[22:23], v27 offset:32
	flat_store_short v[22:23], v28 offset:64
	;; [unrolled: 1-line block ×3, first 2 shown]
	flat_store_short v[24:25], v30
	flat_store_short v[24:25], v31 offset:32
	v_add_co_u32 v26, vcc_lo, v34, s6
	v_add_co_ci_u32_e64 v27, null, s7, v35, vcc_lo
	v_fma_mixlo_f16 v28, s2, v13, 0
	v_add_co_u32 v22, vcc_lo, v26, v0
	v_add_co_ci_u32_e64 v23, null, v27, v1, vcc_lo
	v_fma_mixlo_f16 v29, s2, v12, 0
	v_fma_mixlo_f16 v30, s2, v11, 0
	flat_store_short v[24:25], v32 offset:64
	flat_store_short v[24:25], v33 offset:96
	flat_store_short v[22:23], v28
	flat_store_short v[22:23], v29 offset:32
	flat_store_short v[22:23], v30 offset:64
	v_add_co_u32 v24, vcc_lo, v26, s6
	v_add_co_ci_u32_e64 v25, null, s7, v27, vcc_lo
	v_fma_mixlo_f16 v28, s2, v10, 0
	v_add_co_u32 v24, vcc_lo, v24, v0
	v_fma_mixlo_f16 v26, s2, v9, 0
	v_add_co_ci_u32_e64 v25, null, v25, v1, vcc_lo
	v_fma_mixlo_f16 v27, s2, v8, 0
	v_fma_mixlo_f16 v29, s2, v2, 0
	;; [unrolled: 1-line block ×3, first 2 shown]
	flat_store_short v[22:23], v28 offset:96
	flat_store_short v[24:25], v26
	flat_store_short v[24:25], v27 offset:32
	flat_store_short v[24:25], v29 offset:64
	;; [unrolled: 1-line block ×3, first 2 shown]
	s_andn2_b32 vcc_lo, exec_lo, s5
	s_cbranch_vccnz .LBB92_6
.LBB92_5:
	v_mul_lo_u32 v7, v7, s14
	v_mul_lo_u32 v24, v4, s15
	v_mad_u64_u32 v[22:23], null, v4, s14, 0
	s_lshl_b64 s[6:7], s[16:17], 1
	s_add_u32 s5, s12, s6
	s_addc_u32 s6, s13, s7
	v_add3_u32 v23, v23, v24, v7
	v_mad_u64_u32 v[24:25], null, v4, s0, 0
	s_lshl_b64 s[0:1], s[0:1], 5
	v_lshlrev_b64 v[22:23], 1, v[22:23]
	v_add3_u32 v25, v25, v6, v5
	v_add_co_u32 v7, vcc_lo, s5, v22
	v_add_co_ci_u32_e64 v26, null, s6, v23, vcc_lo
	v_lshlrev_b64 v[4:5], 1, v[24:25]
	v_add_co_u32 v22, vcc_lo, v7, v0
	v_add_co_ci_u32_e64 v23, null, v26, v1, vcc_lo
	v_add_co_u32 v24, vcc_lo, s3, v4
	flat_load_ushort v27, v[22:23]
	v_add_co_ci_u32_e64 v25, null, s4, v5, vcc_lo
	v_add_co_u32 v4, vcc_lo, v24, v0
	s_lshl_b64 s[4:5], s[14:15], 5
	v_add_co_ci_u32_e64 v5, null, v25, v1, vcc_lo
	s_waitcnt vmcnt(0) lgkmcnt(0)
	v_cvt_f32_f16_e32 v6, v27
	v_mul_f32_e32 v6, s8, v6
	v_fma_mixlo_f16 v6, s2, v18, v6
	v_add_co_u32 v18, vcc_lo, v7, s4
	flat_store_short v[4:5], v6
	flat_load_ushort v6, v[22:23] offset:32
	s_waitcnt vmcnt(0) lgkmcnt(0)
	v_cvt_f32_f16_e32 v6, v6
	v_mul_f32_e32 v6, s8, v6
	v_fma_mixlo_f16 v6, s2, v21, v6
	flat_store_short v[4:5], v6 offset:32
	flat_load_ushort v6, v[22:23] offset:64
	s_waitcnt vmcnt(0) lgkmcnt(0)
	v_cvt_f32_f16_e32 v6, v6
	v_mul_f32_e32 v6, s8, v6
	v_fma_mixlo_f16 v6, s2, v20, v6
	v_add_co_ci_u32_e64 v20, null, s5, v26, vcc_lo
	flat_store_short v[4:5], v6 offset:64
	flat_load_ushort v6, v[22:23] offset:96
	s_waitcnt vmcnt(0) lgkmcnt(0)
	v_cvt_f32_f16_e32 v6, v6
	v_mul_f32_e32 v6, s8, v6
	v_fma_mixlo_f16 v19, s2, v19, v6
	v_add_co_u32 v6, vcc_lo, v18, v0
	v_add_co_ci_u32_e64 v7, null, v20, v1, vcc_lo
	flat_store_short v[4:5], v19 offset:96
	v_add_co_u32 v19, vcc_lo, v24, s0
	flat_load_ushort v4, v[6:7]
	v_add_co_ci_u32_e64 v21, null, s1, v25, vcc_lo
	s_waitcnt vmcnt(0) lgkmcnt(0)
	v_cvt_f32_f16_e32 v4, v4
	v_mul_f32_e32 v22, s8, v4
	v_add_co_u32 v4, vcc_lo, v19, v0
	v_add_co_ci_u32_e64 v5, null, v21, v1, vcc_lo
	v_fma_mixlo_f16 v17, s2, v17, v22
	flat_store_short v[4:5], v17
	flat_load_ushort v17, v[6:7] offset:32
	s_waitcnt vmcnt(0) lgkmcnt(0)
	v_cvt_f32_f16_e32 v17, v17
	v_mul_f32_e32 v17, s8, v17
	v_fma_mixlo_f16 v16, s2, v16, v17
	flat_store_short v[4:5], v16 offset:32
	flat_load_ushort v16, v[6:7] offset:64
	s_waitcnt vmcnt(0) lgkmcnt(0)
	v_cvt_f32_f16_e32 v16, v16
	v_mul_f32_e32 v16, s8, v16
	v_fma_mixlo_f16 v15, s2, v15, v16
	flat_store_short v[4:5], v15 offset:64
	flat_load_ushort v6, v[6:7] offset:96
	v_add_co_u32 v15, vcc_lo, v18, s4
	v_add_co_ci_u32_e64 v16, null, s5, v20, vcc_lo
	s_waitcnt vmcnt(0) lgkmcnt(0)
	v_cvt_f32_f16_e32 v6, v6
	v_mul_f32_e32 v6, s8, v6
	v_fma_mixlo_f16 v14, s2, v14, v6
	v_add_co_u32 v6, vcc_lo, v15, v0
	v_add_co_ci_u32_e64 v7, null, v16, v1, vcc_lo
	flat_store_short v[4:5], v14 offset:96
	v_add_co_u32 v14, vcc_lo, v19, s0
	flat_load_ushort v4, v[6:7]
	v_add_co_ci_u32_e64 v17, null, s1, v21, vcc_lo
	s_waitcnt vmcnt(0) lgkmcnt(0)
	v_cvt_f32_f16_e32 v4, v4
	v_mul_f32_e32 v18, s8, v4
	v_add_co_u32 v4, vcc_lo, v14, v0
	v_add_co_ci_u32_e64 v5, null, v17, v1, vcc_lo
	v_fma_mixlo_f16 v13, s2, v13, v18
	flat_store_short v[4:5], v13
	flat_load_ushort v13, v[6:7] offset:32
	s_waitcnt vmcnt(0) lgkmcnt(0)
	v_cvt_f32_f16_e32 v13, v13
	v_mul_f32_e32 v13, s8, v13
	v_fma_mixlo_f16 v12, s2, v12, v13
	flat_store_short v[4:5], v12 offset:32
	flat_load_ushort v12, v[6:7] offset:64
	s_waitcnt vmcnt(0) lgkmcnt(0)
	v_cvt_f32_f16_e32 v12, v12
	v_mul_f32_e32 v12, s8, v12
	v_fma_mixlo_f16 v11, s2, v11, v12
	flat_store_short v[4:5], v11 offset:64
	flat_load_ushort v6, v[6:7] offset:96
	v_add_co_u32 v7, vcc_lo, v15, s4
	v_add_co_ci_u32_e64 v11, null, s5, v16, vcc_lo
	s_waitcnt vmcnt(0) lgkmcnt(0)
	v_cvt_f32_f16_e32 v6, v6
	v_mul_f32_e32 v6, s8, v6
	v_fma_mixlo_f16 v10, s2, v10, v6
	v_add_co_u32 v6, vcc_lo, v7, v0
	v_add_co_ci_u32_e64 v7, null, v11, v1, vcc_lo
	flat_store_short v[4:5], v10 offset:96
	v_add_co_u32 v5, vcc_lo, v14, s0
	flat_load_ushort v4, v[6:7]
	v_add_co_ci_u32_e64 v10, null, s1, v17, vcc_lo
	v_add_co_u32 v0, vcc_lo, v5, v0
	v_add_co_ci_u32_e64 v1, null, v10, v1, vcc_lo
	s_waitcnt vmcnt(0) lgkmcnt(0)
	v_cvt_f32_f16_e32 v4, v4
	v_mul_f32_e32 v4, s8, v4
	v_fma_mixlo_f16 v4, s2, v9, v4
	flat_store_short v[0:1], v4
	flat_load_ushort v4, v[6:7] offset:32
	s_waitcnt vmcnt(0) lgkmcnt(0)
	v_cvt_f32_f16_e32 v4, v4
	v_mul_f32_e32 v4, s8, v4
	v_fma_mixlo_f16 v4, s2, v8, v4
	flat_store_short v[0:1], v4 offset:32
	flat_load_ushort v4, v[6:7] offset:64
	s_waitcnt vmcnt(0) lgkmcnt(0)
	v_cvt_f32_f16_e32 v4, v4
	v_mul_f32_e32 v4, s8, v4
	v_fma_mixlo_f16 v2, s2, v2, v4
	flat_store_short v[0:1], v2 offset:64
	;; [unrolled: 6-line block ×3, first 2 shown]
.LBB92_6:
	s_endpgm
.LBB92_7:
	s_branch .LBB92_5
	.section	.rodata,"a",@progbits
	.p2align	6, 0x0
	.amdhsa_kernel _ZN12_GLOBAL__N_127rocblas_gemm_batched_kernelIfLi16ELi16ELi64ELi64ELi4ELi64ELi4ELi4ELi64ELc78ELc67EKPKDF16_S3_KPDF16_EEvlllT_PT11_llS8_llS6_PT12_llPT13_lli
		.amdhsa_group_segment_fixed_size 2048
		.amdhsa_private_segment_fixed_size 0
		.amdhsa_kernarg_size 140
		.amdhsa_user_sgpr_count 6
		.amdhsa_user_sgpr_private_segment_buffer 1
		.amdhsa_user_sgpr_dispatch_ptr 0
		.amdhsa_user_sgpr_queue_ptr 0
		.amdhsa_user_sgpr_kernarg_segment_ptr 1
		.amdhsa_user_sgpr_dispatch_id 0
		.amdhsa_user_sgpr_flat_scratch_init 0
		.amdhsa_user_sgpr_private_segment_size 0
		.amdhsa_wavefront_size32 1
		.amdhsa_uses_dynamic_stack 0
		.amdhsa_system_sgpr_private_segment_wavefront_offset 0
		.amdhsa_system_sgpr_workgroup_id_x 1
		.amdhsa_system_sgpr_workgroup_id_y 1
		.amdhsa_system_sgpr_workgroup_id_z 1
		.amdhsa_system_sgpr_workgroup_info 0
		.amdhsa_system_vgpr_workitem_id 1
		.amdhsa_next_free_vgpr 58
		.amdhsa_next_free_sgpr 36
		.amdhsa_reserve_vcc 1
		.amdhsa_reserve_flat_scratch 0
		.amdhsa_float_round_mode_32 0
		.amdhsa_float_round_mode_16_64 0
		.amdhsa_float_denorm_mode_32 3
		.amdhsa_float_denorm_mode_16_64 3
		.amdhsa_dx10_clamp 1
		.amdhsa_ieee_mode 1
		.amdhsa_fp16_overflow 0
		.amdhsa_workgroup_processor_mode 1
		.amdhsa_memory_ordered 1
		.amdhsa_forward_progress 1
		.amdhsa_shared_vgpr_count 0
		.amdhsa_exception_fp_ieee_invalid_op 0
		.amdhsa_exception_fp_denorm_src 0
		.amdhsa_exception_fp_ieee_div_zero 0
		.amdhsa_exception_fp_ieee_overflow 0
		.amdhsa_exception_fp_ieee_underflow 0
		.amdhsa_exception_fp_ieee_inexact 0
		.amdhsa_exception_int_div_zero 0
	.end_amdhsa_kernel
	.section	.text._ZN12_GLOBAL__N_127rocblas_gemm_batched_kernelIfLi16ELi16ELi64ELi64ELi4ELi64ELi4ELi4ELi64ELc78ELc67EKPKDF16_S3_KPDF16_EEvlllT_PT11_llS8_llS6_PT12_llPT13_lli,"axG",@progbits,_ZN12_GLOBAL__N_127rocblas_gemm_batched_kernelIfLi16ELi16ELi64ELi64ELi4ELi64ELi4ELi4ELi64ELc78ELc67EKPKDF16_S3_KPDF16_EEvlllT_PT11_llS8_llS6_PT12_llPT13_lli,comdat
.Lfunc_end92:
	.size	_ZN12_GLOBAL__N_127rocblas_gemm_batched_kernelIfLi16ELi16ELi64ELi64ELi4ELi64ELi4ELi4ELi64ELc78ELc67EKPKDF16_S3_KPDF16_EEvlllT_PT11_llS8_llS6_PT12_llPT13_lli, .Lfunc_end92-_ZN12_GLOBAL__N_127rocblas_gemm_batched_kernelIfLi16ELi16ELi64ELi64ELi4ELi64ELi4ELi4ELi64ELc78ELc67EKPKDF16_S3_KPDF16_EEvlllT_PT11_llS8_llS6_PT12_llPT13_lli
                                        ; -- End function
	.set _ZN12_GLOBAL__N_127rocblas_gemm_batched_kernelIfLi16ELi16ELi64ELi64ELi4ELi64ELi4ELi4ELi64ELc78ELc67EKPKDF16_S3_KPDF16_EEvlllT_PT11_llS8_llS6_PT12_llPT13_lli.num_vgpr, 58
	.set _ZN12_GLOBAL__N_127rocblas_gemm_batched_kernelIfLi16ELi16ELi64ELi64ELi4ELi64ELi4ELi4ELi64ELc78ELc67EKPKDF16_S3_KPDF16_EEvlllT_PT11_llS8_llS6_PT12_llPT13_lli.num_agpr, 0
	.set _ZN12_GLOBAL__N_127rocblas_gemm_batched_kernelIfLi16ELi16ELi64ELi64ELi4ELi64ELi4ELi4ELi64ELc78ELc67EKPKDF16_S3_KPDF16_EEvlllT_PT11_llS8_llS6_PT12_llPT13_lli.numbered_sgpr, 36
	.set _ZN12_GLOBAL__N_127rocblas_gemm_batched_kernelIfLi16ELi16ELi64ELi64ELi4ELi64ELi4ELi4ELi64ELc78ELc67EKPKDF16_S3_KPDF16_EEvlllT_PT11_llS8_llS6_PT12_llPT13_lli.num_named_barrier, 0
	.set _ZN12_GLOBAL__N_127rocblas_gemm_batched_kernelIfLi16ELi16ELi64ELi64ELi4ELi64ELi4ELi4ELi64ELc78ELc67EKPKDF16_S3_KPDF16_EEvlllT_PT11_llS8_llS6_PT12_llPT13_lli.private_seg_size, 0
	.set _ZN12_GLOBAL__N_127rocblas_gemm_batched_kernelIfLi16ELi16ELi64ELi64ELi4ELi64ELi4ELi4ELi64ELc78ELc67EKPKDF16_S3_KPDF16_EEvlllT_PT11_llS8_llS6_PT12_llPT13_lli.uses_vcc, 1
	.set _ZN12_GLOBAL__N_127rocblas_gemm_batched_kernelIfLi16ELi16ELi64ELi64ELi4ELi64ELi4ELi4ELi64ELc78ELc67EKPKDF16_S3_KPDF16_EEvlllT_PT11_llS8_llS6_PT12_llPT13_lli.uses_flat_scratch, 0
	.set _ZN12_GLOBAL__N_127rocblas_gemm_batched_kernelIfLi16ELi16ELi64ELi64ELi4ELi64ELi4ELi4ELi64ELc78ELc67EKPKDF16_S3_KPDF16_EEvlllT_PT11_llS8_llS6_PT12_llPT13_lli.has_dyn_sized_stack, 0
	.set _ZN12_GLOBAL__N_127rocblas_gemm_batched_kernelIfLi16ELi16ELi64ELi64ELi4ELi64ELi4ELi4ELi64ELc78ELc67EKPKDF16_S3_KPDF16_EEvlllT_PT11_llS8_llS6_PT12_llPT13_lli.has_recursion, 0
	.set _ZN12_GLOBAL__N_127rocblas_gemm_batched_kernelIfLi16ELi16ELi64ELi64ELi4ELi64ELi4ELi4ELi64ELc78ELc67EKPKDF16_S3_KPDF16_EEvlllT_PT11_llS8_llS6_PT12_llPT13_lli.has_indirect_call, 0
	.section	.AMDGPU.csdata,"",@progbits
; Kernel info:
; codeLenInByte = 2460
; TotalNumSgprs: 38
; NumVgprs: 58
; ScratchSize: 0
; MemoryBound: 0
; FloatMode: 240
; IeeeMode: 1
; LDSByteSize: 2048 bytes/workgroup (compile time only)
; SGPRBlocks: 0
; VGPRBlocks: 7
; NumSGPRsForWavesPerEU: 38
; NumVGPRsForWavesPerEU: 58
; Occupancy: 16
; WaveLimiterHint : 1
; COMPUTE_PGM_RSRC2:SCRATCH_EN: 0
; COMPUTE_PGM_RSRC2:USER_SGPR: 6
; COMPUTE_PGM_RSRC2:TRAP_HANDLER: 0
; COMPUTE_PGM_RSRC2:TGID_X_EN: 1
; COMPUTE_PGM_RSRC2:TGID_Y_EN: 1
; COMPUTE_PGM_RSRC2:TGID_Z_EN: 1
; COMPUTE_PGM_RSRC2:TIDIG_COMP_CNT: 1
	.section	.text._ZN12_GLOBAL__N_127rocblas_gemm_batched_kernelIfLi16ELi16ELi64ELi64ELi4ELi64ELi4ELi4ELi64ELc84ELc67EKPKDF16_S3_KPDF16_EEvlllT_PT11_llS8_llS6_PT12_llPT13_lli,"axG",@progbits,_ZN12_GLOBAL__N_127rocblas_gemm_batched_kernelIfLi16ELi16ELi64ELi64ELi4ELi64ELi4ELi4ELi64ELc84ELc67EKPKDF16_S3_KPDF16_EEvlllT_PT11_llS8_llS6_PT12_llPT13_lli,comdat
	.globl	_ZN12_GLOBAL__N_127rocblas_gemm_batched_kernelIfLi16ELi16ELi64ELi64ELi4ELi64ELi4ELi4ELi64ELc84ELc67EKPKDF16_S3_KPDF16_EEvlllT_PT11_llS8_llS6_PT12_llPT13_lli ; -- Begin function _ZN12_GLOBAL__N_127rocblas_gemm_batched_kernelIfLi16ELi16ELi64ELi64ELi4ELi64ELi4ELi4ELi64ELc84ELc67EKPKDF16_S3_KPDF16_EEvlllT_PT11_llS8_llS6_PT12_llPT13_lli
	.p2align	8
	.type	_ZN12_GLOBAL__N_127rocblas_gemm_batched_kernelIfLi16ELi16ELi64ELi64ELi4ELi64ELi4ELi4ELi64ELc84ELc67EKPKDF16_S3_KPDF16_EEvlllT_PT11_llS8_llS6_PT12_llPT13_lli,@function
_ZN12_GLOBAL__N_127rocblas_gemm_batched_kernelIfLi16ELi16ELi64ELi64ELi4ELi64ELi4ELi4ELi64ELc84ELc67EKPKDF16_S3_KPDF16_EEvlllT_PT11_llS8_llS6_PT12_llPT13_lli: ; @_ZN12_GLOBAL__N_127rocblas_gemm_batched_kernelIfLi16ELi16ELi64ELi64ELi4ELi64ELi4ELi4ELi64ELc84ELc67EKPKDF16_S3_KPDF16_EEvlllT_PT11_llS8_llS6_PT12_llPT13_lli
; %bb.0:
	s_clause 0x1
	s_load_dwordx8 s[12:19], s[4:5], 0x58
	s_load_dwordx2 s[28:29], s[4:5], 0x10
	s_mov_b32 s9, 0
	s_load_dwordx4 s[0:3], s[4:5], 0x78
	s_lshl_b64 s[34:35], s[8:9], 3
	s_mov_b32 s10, s7
	v_mov_b32_e32 v18, 0
	v_mov_b32_e32 v21, 0
	;; [unrolled: 1-line block ×14, first 2 shown]
	s_waitcnt lgkmcnt(0)
	s_add_u32 s8, s12, s34
	s_addc_u32 s9, s13, s35
	s_add_u32 s18, s18, s34
	s_addc_u32 s19, s19, s35
	s_load_dwordx2 s[12:13], s[8:9], 0x0
	s_load_dwordx2 s[18:19], s[18:19], 0x0
	v_cmp_lt_i64_e64 s20, s[28:29], 1
	v_mov_b32_e32 v2, 0
	v_mov_b32_e32 v3, 0
	s_ashr_i32 s7, s6, 31
	s_ashr_i32 s11, s10, 31
	s_lshl_b64 s[6:7], s[6:7], 6
	s_and_b32 vcc_lo, exec_lo, s20
	s_lshl_b64 s[30:31], s[10:11], 6
	s_cbranch_vccnz .LBB93_3
; %bb.1:
	s_clause 0x1
	s_load_dwordx8 s[20:27], s[4:5], 0x20
	s_load_dwordx4 s[8:11], s[4:5], 0x40
	v_lshlrev_b32_e32 v8, 4, v1
	v_and_b32_e32 v10, 3, v0
	v_mov_b32_e32 v3, 0
	v_lshlrev_b32_e32 v22, 2, v0
	v_add_nc_u32_e32 v9, v8, v0
	v_lshlrev_b32_e32 v12, 2, v10
	v_add_nc_u32_e32 v23, 0x400, v8
	v_mov_b32_e32 v16, v3
	v_mov_b32_e32 v17, v3
	v_and_b32_e32 v11, 63, v9
	v_lshrrev_b32_e32 v2, 2, v9
	v_lshrrev_b32_e32 v9, 6, v9
	v_mov_b32_e32 v19, v3
	v_mov_b32_e32 v20, v3
	v_add_co_u32 v6, s33, s6, v11
	v_add_co_ci_u32_e64 v7, null, s7, 0, s33
	s_waitcnt lgkmcnt(0)
	s_add_u32 s20, s20, s34
	s_addc_u32 s21, s21, s35
	s_add_u32 s26, s26, s34
	s_addc_u32 s27, s27, s35
	v_mad_u64_u32 v[4:5], null, s8, v10, v[2:3]
	s_load_dwordx2 s[26:27], s[26:27], 0x0
	v_mul_lo_u32 v13, s23, v6
	v_mul_lo_u32 v14, s22, v7
	v_mad_u64_u32 v[6:7], null, s22, v6, 0
	v_lshlrev_b32_e32 v11, 2, v11
	v_lshl_or_b32 v12, v2, 4, v12
	v_mov_b32_e32 v2, v5
	v_lshlrev_b32_e32 v15, 1, v9
	s_load_dwordx2 s[20:21], s[20:21], 0x0
	v_lshl_or_b32 v24, v9, 8, v11
	v_add3_u32 v7, v7, v14, v13
	v_mad_u64_u32 v[8:9], null, s9, v10, v[2:3]
	s_lshl_b64 s[10:11], s[10:11], 1
	v_add_nc_u32_e32 v25, 0x400, v12
	v_lshlrev_b64 v[5:6], 1, v[6:7]
	v_add_co_u32 v7, vcc_lo, v4, s30
	v_mov_b32_e32 v9, v3
	v_add_co_ci_u32_e64 v8, null, s31, v8, vcc_lo
	s_waitcnt lgkmcnt(0)
	s_add_u32 s22, s26, s10
	s_addc_u32 s23, s27, s11
	s_lshl_b64 s[10:11], s[24:25], 1
	v_mov_b32_e32 v10, v3
	v_add_co_u32 v2, vcc_lo, v5, s10
	v_add_co_ci_u32_e64 v6, null, s11, v6, vcc_lo
	v_lshlrev_b64 v[4:5], 1, v[7:8]
	v_add_co_u32 v2, vcc_lo, v2, v15
	v_add_co_ci_u32_e64 v7, null, 0, v6, vcc_lo
	v_mov_b32_e32 v8, v3
	v_add_co_u32 v4, vcc_lo, s22, v4
	v_add_co_ci_u32_e64 v5, null, s23, v5, vcc_lo
	v_add_co_u32 v6, vcc_lo, s20, v2
	v_add_co_ci_u32_e64 v7, null, s21, v7, vcc_lo
	v_mov_b32_e32 v2, v3
	v_mov_b32_e32 v11, v3
	v_mov_b32_e32 v12, v3
	v_mov_b32_e32 v13, v3
	v_mov_b32_e32 v14, v3
	v_mov_b32_e32 v15, v3
	v_mov_b32_e32 v21, v3
	v_mov_b32_e32 v18, v3
	s_lshl_b64 s[8:9], s[8:9], 3
	s_mov_b64 s[10:11], 0
.LBB93_2:                               ; =>This Inner Loop Header: Depth=1
	flat_load_ushort v26, v[6:7]
	flat_load_ushort v27, v[4:5]
	s_add_u32 s10, s10, 4
	s_addc_u32 s11, s11, 0
	v_add_co_u32 v4, vcc_lo, v4, s8
	v_cmp_lt_i64_e64 s20, s[10:11], s[28:29]
	v_add_co_ci_u32_e64 v5, null, s9, v5, vcc_lo
	v_add_co_u32 v6, vcc_lo, v6, 8
	v_add_co_ci_u32_e64 v7, null, 0, v7, vcc_lo
	s_and_b32 vcc_lo, exec_lo, s20
	s_waitcnt vmcnt(1) lgkmcnt(1)
	v_cvt_f32_f16_e32 v26, v26
	s_waitcnt vmcnt(0) lgkmcnt(0)
	v_cvt_f32_f16_e32 v27, v27
	ds_write_b32 v24, v26
	ds_write_b32 v25, v27
	s_waitcnt lgkmcnt(0)
	s_barrier
	buffer_gl0_inv
	ds_read_b128 v[26:29], v23
	ds_read2_b32 v[42:43], v22 offset1:16
	ds_read2_b32 v[44:45], v22 offset0:32 offset1:48
	ds_read_b128 v[30:33], v23 offset:256
	ds_read_b128 v[34:37], v23 offset:512
	;; [unrolled: 1-line block ×3, first 2 shown]
	ds_read2_b32 v[46:47], v22 offset0:64 offset1:80
	ds_read2_b32 v[48:49], v22 offset0:96 offset1:112
	;; [unrolled: 1-line block ×6, first 2 shown]
	s_waitcnt lgkmcnt(0)
	s_barrier
	buffer_gl0_inv
	v_fmac_f32_e32 v18, v42, v26
	v_fmac_f32_e32 v21, v43, v26
	;; [unrolled: 1-line block ×64, first 2 shown]
	s_cbranch_vccnz .LBB93_2
.LBB93_3:
	s_load_dword s8, s[4:5], 0x50
	s_lshl_b64 s[10:11], s[2:3], 1
	s_load_dword s2, s[4:5], 0x18
	v_add_co_u32 v4, s4, s30, v1
	v_add_co_ci_u32_e64 v7, null, s31, 0, s4
	v_add_co_u32 v0, s4, s6, v0
	v_add_co_ci_u32_e64 v1, null, s7, 0, s4
	v_mul_lo_u32 v5, v7, s0
	v_mul_lo_u32 v6, v4, s1
	s_waitcnt lgkmcnt(0)
	s_add_u32 s3, s18, s10
	v_lshlrev_b64 v[0:1], 1, v[0:1]
	s_addc_u32 s4, s19, s11
	v_cmp_neq_f32_e64 s5, s8, 0
	s_and_b32 vcc_lo, exec_lo, s5
	s_mov_b32 s5, 0
	s_cbranch_vccnz .LBB93_7
; %bb.4:
	v_mad_u64_u32 v[22:23], null, v4, s0, 0
	s_lshl_b64 s[6:7], s[0:1], 5
	v_fma_mixlo_f16 v26, s2, v18, 0
	v_fma_mixlo_f16 v27, s2, v21, 0
	;; [unrolled: 1-line block ×5, first 2 shown]
	v_add3_u32 v23, v23, v6, v5
	v_fma_mixlo_f16 v31, s2, v16, 0
	v_fma_mixlo_f16 v32, s2, v15, 0
	v_fma_mixlo_f16 v33, s2, v14, 0
	v_lshlrev_b64 v[22:23], 1, v[22:23]
	v_add_co_u32 v22, vcc_lo, s3, v22
	v_add_co_ci_u32_e64 v23, null, s4, v23, vcc_lo
	v_add_co_u32 v34, vcc_lo, v22, s6
	v_add_co_ci_u32_e64 v35, null, s7, v23, vcc_lo
	;; [unrolled: 2-line block ×4, first 2 shown]
	flat_store_short v[22:23], v26
	flat_store_short v[22:23], v27 offset:32
	flat_store_short v[22:23], v28 offset:64
	flat_store_short v[22:23], v29 offset:96
	flat_store_short v[24:25], v30
	flat_store_short v[24:25], v31 offset:32
	v_add_co_u32 v26, vcc_lo, v34, s6
	v_add_co_ci_u32_e64 v27, null, s7, v35, vcc_lo
	v_fma_mixlo_f16 v28, s2, v13, 0
	v_add_co_u32 v22, vcc_lo, v26, v0
	v_add_co_ci_u32_e64 v23, null, v27, v1, vcc_lo
	v_fma_mixlo_f16 v29, s2, v12, 0
	v_fma_mixlo_f16 v30, s2, v11, 0
	flat_store_short v[24:25], v32 offset:64
	flat_store_short v[24:25], v33 offset:96
	flat_store_short v[22:23], v28
	flat_store_short v[22:23], v29 offset:32
	flat_store_short v[22:23], v30 offset:64
	v_add_co_u32 v24, vcc_lo, v26, s6
	v_add_co_ci_u32_e64 v25, null, s7, v27, vcc_lo
	v_fma_mixlo_f16 v28, s2, v10, 0
	v_add_co_u32 v24, vcc_lo, v24, v0
	v_fma_mixlo_f16 v26, s2, v9, 0
	v_add_co_ci_u32_e64 v25, null, v25, v1, vcc_lo
	v_fma_mixlo_f16 v27, s2, v8, 0
	v_fma_mixlo_f16 v29, s2, v2, 0
	;; [unrolled: 1-line block ×3, first 2 shown]
	flat_store_short v[22:23], v28 offset:96
	flat_store_short v[24:25], v26
	flat_store_short v[24:25], v27 offset:32
	flat_store_short v[24:25], v29 offset:64
	;; [unrolled: 1-line block ×3, first 2 shown]
	s_andn2_b32 vcc_lo, exec_lo, s5
	s_cbranch_vccnz .LBB93_6
.LBB93_5:
	v_mul_lo_u32 v7, v7, s14
	v_mul_lo_u32 v24, v4, s15
	v_mad_u64_u32 v[22:23], null, v4, s14, 0
	s_lshl_b64 s[6:7], s[16:17], 1
	s_add_u32 s5, s12, s6
	s_addc_u32 s6, s13, s7
	v_add3_u32 v23, v23, v24, v7
	v_mad_u64_u32 v[24:25], null, v4, s0, 0
	s_lshl_b64 s[0:1], s[0:1], 5
	v_lshlrev_b64 v[22:23], 1, v[22:23]
	v_add3_u32 v25, v25, v6, v5
	v_add_co_u32 v7, vcc_lo, s5, v22
	v_add_co_ci_u32_e64 v26, null, s6, v23, vcc_lo
	v_lshlrev_b64 v[4:5], 1, v[24:25]
	v_add_co_u32 v22, vcc_lo, v7, v0
	v_add_co_ci_u32_e64 v23, null, v26, v1, vcc_lo
	v_add_co_u32 v24, vcc_lo, s3, v4
	flat_load_ushort v27, v[22:23]
	v_add_co_ci_u32_e64 v25, null, s4, v5, vcc_lo
	v_add_co_u32 v4, vcc_lo, v24, v0
	s_lshl_b64 s[4:5], s[14:15], 5
	v_add_co_ci_u32_e64 v5, null, v25, v1, vcc_lo
	s_waitcnt vmcnt(0) lgkmcnt(0)
	v_cvt_f32_f16_e32 v6, v27
	v_mul_f32_e32 v6, s8, v6
	v_fma_mixlo_f16 v6, s2, v18, v6
	v_add_co_u32 v18, vcc_lo, v7, s4
	flat_store_short v[4:5], v6
	flat_load_ushort v6, v[22:23] offset:32
	s_waitcnt vmcnt(0) lgkmcnt(0)
	v_cvt_f32_f16_e32 v6, v6
	v_mul_f32_e32 v6, s8, v6
	v_fma_mixlo_f16 v6, s2, v21, v6
	flat_store_short v[4:5], v6 offset:32
	flat_load_ushort v6, v[22:23] offset:64
	s_waitcnt vmcnt(0) lgkmcnt(0)
	v_cvt_f32_f16_e32 v6, v6
	v_mul_f32_e32 v6, s8, v6
	v_fma_mixlo_f16 v6, s2, v20, v6
	v_add_co_ci_u32_e64 v20, null, s5, v26, vcc_lo
	flat_store_short v[4:5], v6 offset:64
	flat_load_ushort v6, v[22:23] offset:96
	s_waitcnt vmcnt(0) lgkmcnt(0)
	v_cvt_f32_f16_e32 v6, v6
	v_mul_f32_e32 v6, s8, v6
	v_fma_mixlo_f16 v19, s2, v19, v6
	v_add_co_u32 v6, vcc_lo, v18, v0
	v_add_co_ci_u32_e64 v7, null, v20, v1, vcc_lo
	flat_store_short v[4:5], v19 offset:96
	v_add_co_u32 v19, vcc_lo, v24, s0
	flat_load_ushort v4, v[6:7]
	v_add_co_ci_u32_e64 v21, null, s1, v25, vcc_lo
	s_waitcnt vmcnt(0) lgkmcnt(0)
	v_cvt_f32_f16_e32 v4, v4
	v_mul_f32_e32 v22, s8, v4
	v_add_co_u32 v4, vcc_lo, v19, v0
	v_add_co_ci_u32_e64 v5, null, v21, v1, vcc_lo
	v_fma_mixlo_f16 v17, s2, v17, v22
	flat_store_short v[4:5], v17
	flat_load_ushort v17, v[6:7] offset:32
	s_waitcnt vmcnt(0) lgkmcnt(0)
	v_cvt_f32_f16_e32 v17, v17
	v_mul_f32_e32 v17, s8, v17
	v_fma_mixlo_f16 v16, s2, v16, v17
	flat_store_short v[4:5], v16 offset:32
	flat_load_ushort v16, v[6:7] offset:64
	s_waitcnt vmcnt(0) lgkmcnt(0)
	v_cvt_f32_f16_e32 v16, v16
	v_mul_f32_e32 v16, s8, v16
	v_fma_mixlo_f16 v15, s2, v15, v16
	flat_store_short v[4:5], v15 offset:64
	flat_load_ushort v6, v[6:7] offset:96
	v_add_co_u32 v15, vcc_lo, v18, s4
	v_add_co_ci_u32_e64 v16, null, s5, v20, vcc_lo
	s_waitcnt vmcnt(0) lgkmcnt(0)
	v_cvt_f32_f16_e32 v6, v6
	v_mul_f32_e32 v6, s8, v6
	v_fma_mixlo_f16 v14, s2, v14, v6
	v_add_co_u32 v6, vcc_lo, v15, v0
	v_add_co_ci_u32_e64 v7, null, v16, v1, vcc_lo
	flat_store_short v[4:5], v14 offset:96
	v_add_co_u32 v14, vcc_lo, v19, s0
	flat_load_ushort v4, v[6:7]
	v_add_co_ci_u32_e64 v17, null, s1, v21, vcc_lo
	s_waitcnt vmcnt(0) lgkmcnt(0)
	v_cvt_f32_f16_e32 v4, v4
	v_mul_f32_e32 v18, s8, v4
	v_add_co_u32 v4, vcc_lo, v14, v0
	v_add_co_ci_u32_e64 v5, null, v17, v1, vcc_lo
	v_fma_mixlo_f16 v13, s2, v13, v18
	flat_store_short v[4:5], v13
	flat_load_ushort v13, v[6:7] offset:32
	s_waitcnt vmcnt(0) lgkmcnt(0)
	v_cvt_f32_f16_e32 v13, v13
	v_mul_f32_e32 v13, s8, v13
	v_fma_mixlo_f16 v12, s2, v12, v13
	flat_store_short v[4:5], v12 offset:32
	flat_load_ushort v12, v[6:7] offset:64
	s_waitcnt vmcnt(0) lgkmcnt(0)
	v_cvt_f32_f16_e32 v12, v12
	v_mul_f32_e32 v12, s8, v12
	v_fma_mixlo_f16 v11, s2, v11, v12
	flat_store_short v[4:5], v11 offset:64
	flat_load_ushort v6, v[6:7] offset:96
	v_add_co_u32 v7, vcc_lo, v15, s4
	v_add_co_ci_u32_e64 v11, null, s5, v16, vcc_lo
	s_waitcnt vmcnt(0) lgkmcnt(0)
	v_cvt_f32_f16_e32 v6, v6
	v_mul_f32_e32 v6, s8, v6
	v_fma_mixlo_f16 v10, s2, v10, v6
	v_add_co_u32 v6, vcc_lo, v7, v0
	v_add_co_ci_u32_e64 v7, null, v11, v1, vcc_lo
	flat_store_short v[4:5], v10 offset:96
	v_add_co_u32 v5, vcc_lo, v14, s0
	flat_load_ushort v4, v[6:7]
	v_add_co_ci_u32_e64 v10, null, s1, v17, vcc_lo
	v_add_co_u32 v0, vcc_lo, v5, v0
	v_add_co_ci_u32_e64 v1, null, v10, v1, vcc_lo
	s_waitcnt vmcnt(0) lgkmcnt(0)
	v_cvt_f32_f16_e32 v4, v4
	v_mul_f32_e32 v4, s8, v4
	v_fma_mixlo_f16 v4, s2, v9, v4
	flat_store_short v[0:1], v4
	flat_load_ushort v4, v[6:7] offset:32
	s_waitcnt vmcnt(0) lgkmcnt(0)
	v_cvt_f32_f16_e32 v4, v4
	v_mul_f32_e32 v4, s8, v4
	v_fma_mixlo_f16 v4, s2, v8, v4
	flat_store_short v[0:1], v4 offset:32
	flat_load_ushort v4, v[6:7] offset:64
	s_waitcnt vmcnt(0) lgkmcnt(0)
	v_cvt_f32_f16_e32 v4, v4
	v_mul_f32_e32 v4, s8, v4
	v_fma_mixlo_f16 v2, s2, v2, v4
	flat_store_short v[0:1], v2 offset:64
	;; [unrolled: 6-line block ×3, first 2 shown]
.LBB93_6:
	s_endpgm
.LBB93_7:
	s_branch .LBB93_5
	.section	.rodata,"a",@progbits
	.p2align	6, 0x0
	.amdhsa_kernel _ZN12_GLOBAL__N_127rocblas_gemm_batched_kernelIfLi16ELi16ELi64ELi64ELi4ELi64ELi4ELi4ELi64ELc84ELc67EKPKDF16_S3_KPDF16_EEvlllT_PT11_llS8_llS6_PT12_llPT13_lli
		.amdhsa_group_segment_fixed_size 2048
		.amdhsa_private_segment_fixed_size 0
		.amdhsa_kernarg_size 140
		.amdhsa_user_sgpr_count 6
		.amdhsa_user_sgpr_private_segment_buffer 1
		.amdhsa_user_sgpr_dispatch_ptr 0
		.amdhsa_user_sgpr_queue_ptr 0
		.amdhsa_user_sgpr_kernarg_segment_ptr 1
		.amdhsa_user_sgpr_dispatch_id 0
		.amdhsa_user_sgpr_flat_scratch_init 0
		.amdhsa_user_sgpr_private_segment_size 0
		.amdhsa_wavefront_size32 1
		.amdhsa_uses_dynamic_stack 0
		.amdhsa_system_sgpr_private_segment_wavefront_offset 0
		.amdhsa_system_sgpr_workgroup_id_x 1
		.amdhsa_system_sgpr_workgroup_id_y 1
		.amdhsa_system_sgpr_workgroup_id_z 1
		.amdhsa_system_sgpr_workgroup_info 0
		.amdhsa_system_vgpr_workitem_id 1
		.amdhsa_next_free_vgpr 58
		.amdhsa_next_free_sgpr 36
		.amdhsa_reserve_vcc 1
		.amdhsa_reserve_flat_scratch 0
		.amdhsa_float_round_mode_32 0
		.amdhsa_float_round_mode_16_64 0
		.amdhsa_float_denorm_mode_32 3
		.amdhsa_float_denorm_mode_16_64 3
		.amdhsa_dx10_clamp 1
		.amdhsa_ieee_mode 1
		.amdhsa_fp16_overflow 0
		.amdhsa_workgroup_processor_mode 1
		.amdhsa_memory_ordered 1
		.amdhsa_forward_progress 1
		.amdhsa_shared_vgpr_count 0
		.amdhsa_exception_fp_ieee_invalid_op 0
		.amdhsa_exception_fp_denorm_src 0
		.amdhsa_exception_fp_ieee_div_zero 0
		.amdhsa_exception_fp_ieee_overflow 0
		.amdhsa_exception_fp_ieee_underflow 0
		.amdhsa_exception_fp_ieee_inexact 0
		.amdhsa_exception_int_div_zero 0
	.end_amdhsa_kernel
	.section	.text._ZN12_GLOBAL__N_127rocblas_gemm_batched_kernelIfLi16ELi16ELi64ELi64ELi4ELi64ELi4ELi4ELi64ELc84ELc67EKPKDF16_S3_KPDF16_EEvlllT_PT11_llS8_llS6_PT12_llPT13_lli,"axG",@progbits,_ZN12_GLOBAL__N_127rocblas_gemm_batched_kernelIfLi16ELi16ELi64ELi64ELi4ELi64ELi4ELi4ELi64ELc84ELc67EKPKDF16_S3_KPDF16_EEvlllT_PT11_llS8_llS6_PT12_llPT13_lli,comdat
.Lfunc_end93:
	.size	_ZN12_GLOBAL__N_127rocblas_gemm_batched_kernelIfLi16ELi16ELi64ELi64ELi4ELi64ELi4ELi4ELi64ELc84ELc67EKPKDF16_S3_KPDF16_EEvlllT_PT11_llS8_llS6_PT12_llPT13_lli, .Lfunc_end93-_ZN12_GLOBAL__N_127rocblas_gemm_batched_kernelIfLi16ELi16ELi64ELi64ELi4ELi64ELi4ELi4ELi64ELc84ELc67EKPKDF16_S3_KPDF16_EEvlllT_PT11_llS8_llS6_PT12_llPT13_lli
                                        ; -- End function
	.set _ZN12_GLOBAL__N_127rocblas_gemm_batched_kernelIfLi16ELi16ELi64ELi64ELi4ELi64ELi4ELi4ELi64ELc84ELc67EKPKDF16_S3_KPDF16_EEvlllT_PT11_llS8_llS6_PT12_llPT13_lli.num_vgpr, 58
	.set _ZN12_GLOBAL__N_127rocblas_gemm_batched_kernelIfLi16ELi16ELi64ELi64ELi4ELi64ELi4ELi4ELi64ELc84ELc67EKPKDF16_S3_KPDF16_EEvlllT_PT11_llS8_llS6_PT12_llPT13_lli.num_agpr, 0
	.set _ZN12_GLOBAL__N_127rocblas_gemm_batched_kernelIfLi16ELi16ELi64ELi64ELi4ELi64ELi4ELi4ELi64ELc84ELc67EKPKDF16_S3_KPDF16_EEvlllT_PT11_llS8_llS6_PT12_llPT13_lli.numbered_sgpr, 36
	.set _ZN12_GLOBAL__N_127rocblas_gemm_batched_kernelIfLi16ELi16ELi64ELi64ELi4ELi64ELi4ELi4ELi64ELc84ELc67EKPKDF16_S3_KPDF16_EEvlllT_PT11_llS8_llS6_PT12_llPT13_lli.num_named_barrier, 0
	.set _ZN12_GLOBAL__N_127rocblas_gemm_batched_kernelIfLi16ELi16ELi64ELi64ELi4ELi64ELi4ELi4ELi64ELc84ELc67EKPKDF16_S3_KPDF16_EEvlllT_PT11_llS8_llS6_PT12_llPT13_lli.private_seg_size, 0
	.set _ZN12_GLOBAL__N_127rocblas_gemm_batched_kernelIfLi16ELi16ELi64ELi64ELi4ELi64ELi4ELi4ELi64ELc84ELc67EKPKDF16_S3_KPDF16_EEvlllT_PT11_llS8_llS6_PT12_llPT13_lli.uses_vcc, 1
	.set _ZN12_GLOBAL__N_127rocblas_gemm_batched_kernelIfLi16ELi16ELi64ELi64ELi4ELi64ELi4ELi4ELi64ELc84ELc67EKPKDF16_S3_KPDF16_EEvlllT_PT11_llS8_llS6_PT12_llPT13_lli.uses_flat_scratch, 0
	.set _ZN12_GLOBAL__N_127rocblas_gemm_batched_kernelIfLi16ELi16ELi64ELi64ELi4ELi64ELi4ELi4ELi64ELc84ELc67EKPKDF16_S3_KPDF16_EEvlllT_PT11_llS8_llS6_PT12_llPT13_lli.has_dyn_sized_stack, 0
	.set _ZN12_GLOBAL__N_127rocblas_gemm_batched_kernelIfLi16ELi16ELi64ELi64ELi4ELi64ELi4ELi4ELi64ELc84ELc67EKPKDF16_S3_KPDF16_EEvlllT_PT11_llS8_llS6_PT12_llPT13_lli.has_recursion, 0
	.set _ZN12_GLOBAL__N_127rocblas_gemm_batched_kernelIfLi16ELi16ELi64ELi64ELi4ELi64ELi4ELi4ELi64ELc84ELc67EKPKDF16_S3_KPDF16_EEvlllT_PT11_llS8_llS6_PT12_llPT13_lli.has_indirect_call, 0
	.section	.AMDGPU.csdata,"",@progbits
; Kernel info:
; codeLenInByte = 2496
; TotalNumSgprs: 38
; NumVgprs: 58
; ScratchSize: 0
; MemoryBound: 0
; FloatMode: 240
; IeeeMode: 1
; LDSByteSize: 2048 bytes/workgroup (compile time only)
; SGPRBlocks: 0
; VGPRBlocks: 7
; NumSGPRsForWavesPerEU: 38
; NumVGPRsForWavesPerEU: 58
; Occupancy: 16
; WaveLimiterHint : 1
; COMPUTE_PGM_RSRC2:SCRATCH_EN: 0
; COMPUTE_PGM_RSRC2:USER_SGPR: 6
; COMPUTE_PGM_RSRC2:TRAP_HANDLER: 0
; COMPUTE_PGM_RSRC2:TGID_X_EN: 1
; COMPUTE_PGM_RSRC2:TGID_Y_EN: 1
; COMPUTE_PGM_RSRC2:TGID_Z_EN: 1
; COMPUTE_PGM_RSRC2:TIDIG_COMP_CNT: 1
	.section	.text._ZN12_GLOBAL__N_127rocblas_gemm_batched_kernelIfLi16ELi16ELi32ELi32ELi8ELi32ELi8ELi8ELi32ELc78ELc78EKPKDF16_S3_KPDF16_EEvlllT_PT11_llS8_llS6_PT12_llPT13_lli,"axG",@progbits,_ZN12_GLOBAL__N_127rocblas_gemm_batched_kernelIfLi16ELi16ELi32ELi32ELi8ELi32ELi8ELi8ELi32ELc78ELc78EKPKDF16_S3_KPDF16_EEvlllT_PT11_llS8_llS6_PT12_llPT13_lli,comdat
	.globl	_ZN12_GLOBAL__N_127rocblas_gemm_batched_kernelIfLi16ELi16ELi32ELi32ELi8ELi32ELi8ELi8ELi32ELc78ELc78EKPKDF16_S3_KPDF16_EEvlllT_PT11_llS8_llS6_PT12_llPT13_lli ; -- Begin function _ZN12_GLOBAL__N_127rocblas_gemm_batched_kernelIfLi16ELi16ELi32ELi32ELi8ELi32ELi8ELi8ELi32ELc78ELc78EKPKDF16_S3_KPDF16_EEvlllT_PT11_llS8_llS6_PT12_llPT13_lli
	.p2align	8
	.type	_ZN12_GLOBAL__N_127rocblas_gemm_batched_kernelIfLi16ELi16ELi32ELi32ELi8ELi32ELi8ELi8ELi32ELc78ELc78EKPKDF16_S3_KPDF16_EEvlllT_PT11_llS8_llS6_PT12_llPT13_lli,@function
_ZN12_GLOBAL__N_127rocblas_gemm_batched_kernelIfLi16ELi16ELi32ELi32ELi8ELi32ELi8ELi8ELi32ELc78ELc78EKPKDF16_S3_KPDF16_EEvlllT_PT11_llS8_llS6_PT12_llPT13_lli: ; @_ZN12_GLOBAL__N_127rocblas_gemm_batched_kernelIfLi16ELi16ELi32ELi32ELi8ELi32ELi8ELi8ELi32ELc78ELc78EKPKDF16_S3_KPDF16_EEvlllT_PT11_llS8_llS6_PT12_llPT13_lli
; %bb.0:
	s_clause 0x1
	s_load_dwordx8 s[12:19], s[4:5], 0x58
	s_load_dwordx2 s[28:29], s[4:5], 0x10
	s_mov_b32 s9, 0
	s_load_dwordx4 s[0:3], s[4:5], 0x78
	s_lshl_b64 s[34:35], s[8:9], 3
	s_mov_b32 s10, s7
	v_mov_b32_e32 v9, 0
	v_mov_b32_e32 v8, 0
	;; [unrolled: 1-line block ×4, first 2 shown]
	s_waitcnt lgkmcnt(0)
	s_add_u32 s8, s12, s34
	s_addc_u32 s9, s13, s35
	s_add_u32 s18, s18, s34
	s_addc_u32 s19, s19, s35
	s_load_dwordx2 s[12:13], s[8:9], 0x0
	s_load_dwordx2 s[18:19], s[18:19], 0x0
	v_cmp_lt_i64_e64 s8, s[28:29], 1
	s_ashr_i32 s7, s6, 31
	s_ashr_i32 s11, s10, 31
	s_lshl_b64 s[6:7], s[6:7], 5
	s_lshl_b64 s[30:31], s[10:11], 5
	s_and_b32 vcc_lo, exec_lo, s8
	s_cbranch_vccnz .LBB94_3
; %bb.1:
	s_load_dwordx4 s[8:11], s[4:5], 0x40
	v_lshl_add_u32 v2, v1, 4, v0
	s_load_dwordx8 s[20:27], s[4:5], 0x20
	v_and_b32_e32 v9, 7, v0
	v_mov_b32_e32 v6, 0
	v_lshlrev_b32_e32 v10, 2, v0
	v_lshrrev_b32_e32 v3, 3, v2
	v_and_b32_e32 v14, 31, v2
	v_lshlrev_b32_e32 v4, 2, v9
	v_lshrrev_b32_e32 v8, 5, v2
	v_lshlrev_b32_e32 v9, 1, v9
	v_add_co_u32 v5, s33, v3, s30
	v_add_co_ci_u32_e64 v7, null, 0, s31, s33
	v_lshl_or_b32 v13, v3, 5, v4
	v_lshlrev_b32_e32 v12, 2, v14
	v_lshl_add_u32 v11, v1, 5, 0x400
	v_add_nc_u32_e32 v13, 0x400, v13
	s_waitcnt lgkmcnt(0)
	v_mul_lo_u32 v15, s9, v5
	v_mul_lo_u32 v7, s8, v7
	v_mad_u64_u32 v[2:3], null, s8, v5, 0
	v_mad_u64_u32 v[4:5], null, s22, v8, s[6:7]
	s_add_u32 s8, s20, s34
	s_addc_u32 s9, s21, s35
	s_add_u32 s20, s26, s34
	s_addc_u32 s21, s27, s35
	v_add3_u32 v3, v3, v7, v15
	s_load_dwordx2 s[8:9], s[8:9], 0x0
	s_load_dwordx2 s[20:21], s[20:21], 0x0
	v_lshl_or_b32 v12, v8, 7, v12
	v_mad_u64_u32 v[7:8], null, s23, v8, v[5:6]
	v_lshlrev_b64 v[2:3], 1, v[2:3]
	s_lshl_b64 s[10:11], s[10:11], 1
	v_add_co_u32 v5, vcc_lo, v2, s10
	v_add_co_ci_u32_e64 v8, null, s11, v3, vcc_lo
	v_add_co_u32 v2, vcc_lo, v4, v14
	v_add_co_ci_u32_e64 v3, null, 0, v7, vcc_lo
	;; [unrolled: 2-line block ×3, first 2 shown]
	v_lshlrev_b64 v[4:5], 1, v[2:3]
	s_lshl_b64 s[10:11], s[24:25], 1
	s_waitcnt lgkmcnt(0)
	v_add_co_u32 v2, vcc_lo, s20, v7
	s_add_u32 s8, s8, s10
	v_add_co_ci_u32_e64 v3, null, s21, v8, vcc_lo
	s_addc_u32 s9, s9, s11
	v_add_co_u32 v4, vcc_lo, s8, v4
	v_add_co_ci_u32_e64 v5, null, s9, v5, vcc_lo
	v_mov_b32_e32 v7, 0
	v_mov_b32_e32 v8, 0
	;; [unrolled: 1-line block ×3, first 2 shown]
	s_lshl_b64 s[8:9], s[22:23], 4
	s_mov_b64 s[10:11], 0
.LBB94_2:                               ; =>This Inner Loop Header: Depth=1
	flat_load_ushort v14, v[4:5]
	flat_load_ushort v15, v[2:3]
	s_add_u32 s10, s10, 8
	s_addc_u32 s11, s11, 0
	v_add_co_u32 v2, vcc_lo, v2, 16
	v_cmp_lt_i64_e64 s20, s[10:11], s[28:29]
	v_add_co_ci_u32_e64 v3, null, 0, v3, vcc_lo
	v_add_co_u32 v4, vcc_lo, v4, s8
	v_add_co_ci_u32_e64 v5, null, s9, v5, vcc_lo
	s_and_b32 vcc_lo, exec_lo, s20
	s_waitcnt vmcnt(1) lgkmcnt(1)
	v_cvt_f32_f16_e32 v14, v14
	s_waitcnt vmcnt(0) lgkmcnt(0)
	v_cvt_f32_f16_e32 v15, v15
	ds_write_b32 v12, v14
	ds_write_b32 v13, v15
	s_waitcnt lgkmcnt(0)
	s_barrier
	buffer_gl0_inv
	ds_read_b128 v[14:17], v11
	ds_read2_b32 v[30:31], v10 offset1:16
	ds_read_b128 v[18:21], v11 offset:512
	ds_read2_b32 v[32:33], v10 offset0:32 offset1:48
	ds_read2_b32 v[34:35], v10 offset0:64 offset1:80
	ds_read_b128 v[22:25], v11 offset:16
	ds_read2_b32 v[36:37], v10 offset0:96 offset1:112
	ds_read2_b32 v[38:39], v10 offset0:128 offset1:144
	;; [unrolled: 3-line block ×3, first 2 shown]
	ds_read2_b32 v[44:45], v10 offset0:224 offset1:240
	s_waitcnt lgkmcnt(0)
	s_barrier
	buffer_gl0_inv
	v_fmac_f32_e32 v9, v30, v14
	v_fmac_f32_e32 v8, v31, v14
	;; [unrolled: 1-line block ×32, first 2 shown]
	s_cbranch_vccnz .LBB94_2
.LBB94_3:
	s_load_dword s8, s[4:5], 0x50
	s_lshl_b64 s[10:11], s[2:3], 1
	s_load_dword s2, s[4:5], 0x18
	v_add_co_u32 v2, s4, s30, v1
	v_add_co_ci_u32_e64 v5, null, s31, 0, s4
	v_add_co_u32 v0, s4, s6, v0
	v_add_co_ci_u32_e64 v1, null, s7, 0, s4
	v_mul_lo_u32 v3, v5, s0
	v_mul_lo_u32 v4, v2, s1
	s_waitcnt lgkmcnt(0)
	s_add_u32 s3, s18, s10
	v_lshlrev_b64 v[0:1], 1, v[0:1]
	s_addc_u32 s4, s19, s11
	v_cmp_neq_f32_e64 s5, s8, 0
	s_and_b32 vcc_lo, exec_lo, s5
	s_mov_b32 s5, 0
	s_cbranch_vccnz .LBB94_7
; %bb.4:
	v_mad_u64_u32 v[10:11], null, v2, s0, 0
	s_lshl_b64 s[6:7], s[0:1], 5
	v_fma_mixlo_f16 v14, s2, v9, 0
	v_fma_mixlo_f16 v15, s2, v8, 0
	;; [unrolled: 1-line block ×4, first 2 shown]
	v_add3_u32 v11, v11, v4, v3
	v_lshlrev_b64 v[10:11], 1, v[10:11]
	v_add_co_u32 v10, vcc_lo, s3, v10
	v_add_co_ci_u32_e64 v11, null, s4, v11, vcc_lo
	v_add_co_u32 v12, vcc_lo, v10, s6
	v_add_co_ci_u32_e64 v13, null, s7, v11, vcc_lo
	;; [unrolled: 2-line block ×4, first 2 shown]
	flat_store_short v[10:11], v14
	flat_store_short v[10:11], v15 offset:32
	flat_store_short v[12:13], v16
	flat_store_short v[12:13], v17 offset:32
	s_andn2_b32 vcc_lo, exec_lo, s5
	s_cbranch_vccnz .LBB94_6
.LBB94_5:
	v_mul_lo_u32 v5, v5, s14
	v_mul_lo_u32 v12, v2, s15
	v_mad_u64_u32 v[10:11], null, v2, s14, 0
	s_lshl_b64 s[6:7], s[16:17], 1
	s_add_u32 s5, s12, s6
	s_addc_u32 s6, s13, s7
	v_add3_u32 v11, v11, v12, v5
	v_mad_u64_u32 v[12:13], null, v2, s0, 0
	s_lshl_b64 s[0:1], s[0:1], 5
	v_lshlrev_b64 v[10:11], 1, v[10:11]
	v_add3_u32 v13, v13, v4, v3
	v_add_co_u32 v5, vcc_lo, s5, v10
	v_add_co_ci_u32_e64 v14, null, s6, v11, vcc_lo
	v_lshlrev_b64 v[2:3], 1, v[12:13]
	v_add_co_u32 v10, vcc_lo, v5, v0
	v_add_co_ci_u32_e64 v11, null, v14, v1, vcc_lo
	v_add_co_u32 v12, vcc_lo, s3, v2
	flat_load_ushort v15, v[10:11]
	v_add_co_ci_u32_e64 v13, null, s4, v3, vcc_lo
	v_add_co_u32 v2, vcc_lo, v12, v0
	s_lshl_b64 s[4:5], s[14:15], 5
	v_add_co_ci_u32_e64 v3, null, v13, v1, vcc_lo
	v_add_co_u32 v5, vcc_lo, v5, s4
	s_waitcnt vmcnt(0) lgkmcnt(0)
	v_cvt_f32_f16_e32 v4, v15
	v_mul_f32_e32 v4, s8, v4
	v_fma_mixlo_f16 v4, s2, v9, v4
	v_add_co_ci_u32_e64 v9, null, s5, v14, vcc_lo
	flat_store_short v[2:3], v4
	flat_load_ushort v4, v[10:11] offset:32
	s_waitcnt vmcnt(0) lgkmcnt(0)
	v_cvt_f32_f16_e32 v4, v4
	v_mul_f32_e32 v4, s8, v4
	v_fma_mixlo_f16 v8, s2, v8, v4
	v_add_co_u32 v4, vcc_lo, v5, v0
	v_add_co_ci_u32_e64 v5, null, v9, v1, vcc_lo
	flat_store_short v[2:3], v8 offset:32
	v_add_co_u32 v3, vcc_lo, v12, s0
	flat_load_ushort v2, v[4:5]
	v_add_co_ci_u32_e64 v8, null, s1, v13, vcc_lo
	v_add_co_u32 v0, vcc_lo, v3, v0
	v_add_co_ci_u32_e64 v1, null, v8, v1, vcc_lo
	s_waitcnt vmcnt(0) lgkmcnt(0)
	v_cvt_f32_f16_e32 v2, v2
	v_mul_f32_e32 v2, s8, v2
	v_fma_mixlo_f16 v2, s2, v7, v2
	flat_store_short v[0:1], v2
	flat_load_ushort v2, v[4:5] offset:32
	s_waitcnt vmcnt(0) lgkmcnt(0)
	v_cvt_f32_f16_e32 v2, v2
	v_mul_f32_e32 v2, s8, v2
	v_fma_mixlo_f16 v2, s2, v6, v2
	flat_store_short v[0:1], v2 offset:32
.LBB94_6:
	s_endpgm
.LBB94_7:
	s_branch .LBB94_5
	.section	.rodata,"a",@progbits
	.p2align	6, 0x0
	.amdhsa_kernel _ZN12_GLOBAL__N_127rocblas_gemm_batched_kernelIfLi16ELi16ELi32ELi32ELi8ELi32ELi8ELi8ELi32ELc78ELc78EKPKDF16_S3_KPDF16_EEvlllT_PT11_llS8_llS6_PT12_llPT13_lli
		.amdhsa_group_segment_fixed_size 2048
		.amdhsa_private_segment_fixed_size 0
		.amdhsa_kernarg_size 140
		.amdhsa_user_sgpr_count 6
		.amdhsa_user_sgpr_private_segment_buffer 1
		.amdhsa_user_sgpr_dispatch_ptr 0
		.amdhsa_user_sgpr_queue_ptr 0
		.amdhsa_user_sgpr_kernarg_segment_ptr 1
		.amdhsa_user_sgpr_dispatch_id 0
		.amdhsa_user_sgpr_flat_scratch_init 0
		.amdhsa_user_sgpr_private_segment_size 0
		.amdhsa_wavefront_size32 1
		.amdhsa_uses_dynamic_stack 0
		.amdhsa_system_sgpr_private_segment_wavefront_offset 0
		.amdhsa_system_sgpr_workgroup_id_x 1
		.amdhsa_system_sgpr_workgroup_id_y 1
		.amdhsa_system_sgpr_workgroup_id_z 1
		.amdhsa_system_sgpr_workgroup_info 0
		.amdhsa_system_vgpr_workitem_id 1
		.amdhsa_next_free_vgpr 46
		.amdhsa_next_free_sgpr 36
		.amdhsa_reserve_vcc 1
		.amdhsa_reserve_flat_scratch 0
		.amdhsa_float_round_mode_32 0
		.amdhsa_float_round_mode_16_64 0
		.amdhsa_float_denorm_mode_32 3
		.amdhsa_float_denorm_mode_16_64 3
		.amdhsa_dx10_clamp 1
		.amdhsa_ieee_mode 1
		.amdhsa_fp16_overflow 0
		.amdhsa_workgroup_processor_mode 1
		.amdhsa_memory_ordered 1
		.amdhsa_forward_progress 1
		.amdhsa_shared_vgpr_count 0
		.amdhsa_exception_fp_ieee_invalid_op 0
		.amdhsa_exception_fp_denorm_src 0
		.amdhsa_exception_fp_ieee_div_zero 0
		.amdhsa_exception_fp_ieee_overflow 0
		.amdhsa_exception_fp_ieee_underflow 0
		.amdhsa_exception_fp_ieee_inexact 0
		.amdhsa_exception_int_div_zero 0
	.end_amdhsa_kernel
	.section	.text._ZN12_GLOBAL__N_127rocblas_gemm_batched_kernelIfLi16ELi16ELi32ELi32ELi8ELi32ELi8ELi8ELi32ELc78ELc78EKPKDF16_S3_KPDF16_EEvlllT_PT11_llS8_llS6_PT12_llPT13_lli,"axG",@progbits,_ZN12_GLOBAL__N_127rocblas_gemm_batched_kernelIfLi16ELi16ELi32ELi32ELi8ELi32ELi8ELi8ELi32ELc78ELc78EKPKDF16_S3_KPDF16_EEvlllT_PT11_llS8_llS6_PT12_llPT13_lli,comdat
.Lfunc_end94:
	.size	_ZN12_GLOBAL__N_127rocblas_gemm_batched_kernelIfLi16ELi16ELi32ELi32ELi8ELi32ELi8ELi8ELi32ELc78ELc78EKPKDF16_S3_KPDF16_EEvlllT_PT11_llS8_llS6_PT12_llPT13_lli, .Lfunc_end94-_ZN12_GLOBAL__N_127rocblas_gemm_batched_kernelIfLi16ELi16ELi32ELi32ELi8ELi32ELi8ELi8ELi32ELc78ELc78EKPKDF16_S3_KPDF16_EEvlllT_PT11_llS8_llS6_PT12_llPT13_lli
                                        ; -- End function
	.set _ZN12_GLOBAL__N_127rocblas_gemm_batched_kernelIfLi16ELi16ELi32ELi32ELi8ELi32ELi8ELi8ELi32ELc78ELc78EKPKDF16_S3_KPDF16_EEvlllT_PT11_llS8_llS6_PT12_llPT13_lli.num_vgpr, 46
	.set _ZN12_GLOBAL__N_127rocblas_gemm_batched_kernelIfLi16ELi16ELi32ELi32ELi8ELi32ELi8ELi8ELi32ELc78ELc78EKPKDF16_S3_KPDF16_EEvlllT_PT11_llS8_llS6_PT12_llPT13_lli.num_agpr, 0
	.set _ZN12_GLOBAL__N_127rocblas_gemm_batched_kernelIfLi16ELi16ELi32ELi32ELi8ELi32ELi8ELi8ELi32ELc78ELc78EKPKDF16_S3_KPDF16_EEvlllT_PT11_llS8_llS6_PT12_llPT13_lli.numbered_sgpr, 36
	.set _ZN12_GLOBAL__N_127rocblas_gemm_batched_kernelIfLi16ELi16ELi32ELi32ELi8ELi32ELi8ELi8ELi32ELc78ELc78EKPKDF16_S3_KPDF16_EEvlllT_PT11_llS8_llS6_PT12_llPT13_lli.num_named_barrier, 0
	.set _ZN12_GLOBAL__N_127rocblas_gemm_batched_kernelIfLi16ELi16ELi32ELi32ELi8ELi32ELi8ELi8ELi32ELc78ELc78EKPKDF16_S3_KPDF16_EEvlllT_PT11_llS8_llS6_PT12_llPT13_lli.private_seg_size, 0
	.set _ZN12_GLOBAL__N_127rocblas_gemm_batched_kernelIfLi16ELi16ELi32ELi32ELi8ELi32ELi8ELi8ELi32ELc78ELc78EKPKDF16_S3_KPDF16_EEvlllT_PT11_llS8_llS6_PT12_llPT13_lli.uses_vcc, 1
	.set _ZN12_GLOBAL__N_127rocblas_gemm_batched_kernelIfLi16ELi16ELi32ELi32ELi8ELi32ELi8ELi8ELi32ELc78ELc78EKPKDF16_S3_KPDF16_EEvlllT_PT11_llS8_llS6_PT12_llPT13_lli.uses_flat_scratch, 0
	.set _ZN12_GLOBAL__N_127rocblas_gemm_batched_kernelIfLi16ELi16ELi32ELi32ELi8ELi32ELi8ELi8ELi32ELc78ELc78EKPKDF16_S3_KPDF16_EEvlllT_PT11_llS8_llS6_PT12_llPT13_lli.has_dyn_sized_stack, 0
	.set _ZN12_GLOBAL__N_127rocblas_gemm_batched_kernelIfLi16ELi16ELi32ELi32ELi8ELi32ELi8ELi8ELi32ELc78ELc78EKPKDF16_S3_KPDF16_EEvlllT_PT11_llS8_llS6_PT12_llPT13_lli.has_recursion, 0
	.set _ZN12_GLOBAL__N_127rocblas_gemm_batched_kernelIfLi16ELi16ELi32ELi32ELi8ELi32ELi8ELi8ELi32ELc78ELc78EKPKDF16_S3_KPDF16_EEvlllT_PT11_llS8_llS6_PT12_llPT13_lli.has_indirect_call, 0
	.section	.AMDGPU.csdata,"",@progbits
; Kernel info:
; codeLenInByte = 1452
; TotalNumSgprs: 38
; NumVgprs: 46
; ScratchSize: 0
; MemoryBound: 0
; FloatMode: 240
; IeeeMode: 1
; LDSByteSize: 2048 bytes/workgroup (compile time only)
; SGPRBlocks: 0
; VGPRBlocks: 5
; NumSGPRsForWavesPerEU: 38
; NumVGPRsForWavesPerEU: 46
; Occupancy: 16
; WaveLimiterHint : 1
; COMPUTE_PGM_RSRC2:SCRATCH_EN: 0
; COMPUTE_PGM_RSRC2:USER_SGPR: 6
; COMPUTE_PGM_RSRC2:TRAP_HANDLER: 0
; COMPUTE_PGM_RSRC2:TGID_X_EN: 1
; COMPUTE_PGM_RSRC2:TGID_Y_EN: 1
; COMPUTE_PGM_RSRC2:TGID_Z_EN: 1
; COMPUTE_PGM_RSRC2:TIDIG_COMP_CNT: 1
	.section	.text._ZN12_GLOBAL__N_127rocblas_gemm_batched_kernelIfLi16ELi16ELi32ELi32ELi8ELi32ELi8ELi8ELi32ELc84ELc78EKPKDF16_S3_KPDF16_EEvlllT_PT11_llS8_llS6_PT12_llPT13_lli,"axG",@progbits,_ZN12_GLOBAL__N_127rocblas_gemm_batched_kernelIfLi16ELi16ELi32ELi32ELi8ELi32ELi8ELi8ELi32ELc84ELc78EKPKDF16_S3_KPDF16_EEvlllT_PT11_llS8_llS6_PT12_llPT13_lli,comdat
	.globl	_ZN12_GLOBAL__N_127rocblas_gemm_batched_kernelIfLi16ELi16ELi32ELi32ELi8ELi32ELi8ELi8ELi32ELc84ELc78EKPKDF16_S3_KPDF16_EEvlllT_PT11_llS8_llS6_PT12_llPT13_lli ; -- Begin function _ZN12_GLOBAL__N_127rocblas_gemm_batched_kernelIfLi16ELi16ELi32ELi32ELi8ELi32ELi8ELi8ELi32ELc84ELc78EKPKDF16_S3_KPDF16_EEvlllT_PT11_llS8_llS6_PT12_llPT13_lli
	.p2align	8
	.type	_ZN12_GLOBAL__N_127rocblas_gemm_batched_kernelIfLi16ELi16ELi32ELi32ELi8ELi32ELi8ELi8ELi32ELc84ELc78EKPKDF16_S3_KPDF16_EEvlllT_PT11_llS8_llS6_PT12_llPT13_lli,@function
_ZN12_GLOBAL__N_127rocblas_gemm_batched_kernelIfLi16ELi16ELi32ELi32ELi8ELi32ELi8ELi8ELi32ELc84ELc78EKPKDF16_S3_KPDF16_EEvlllT_PT11_llS8_llS6_PT12_llPT13_lli: ; @_ZN12_GLOBAL__N_127rocblas_gemm_batched_kernelIfLi16ELi16ELi32ELi32ELi8ELi32ELi8ELi8ELi32ELc84ELc78EKPKDF16_S3_KPDF16_EEvlllT_PT11_llS8_llS6_PT12_llPT13_lli
; %bb.0:
	s_clause 0x1
	s_load_dwordx8 s[12:19], s[4:5], 0x58
	s_load_dwordx2 s[28:29], s[4:5], 0x10
	s_mov_b32 s9, 0
	s_load_dwordx4 s[0:3], s[4:5], 0x78
	s_lshl_b64 s[34:35], s[8:9], 3
	s_mov_b32 s10, s7
	v_mov_b32_e32 v9, 0
	v_mov_b32_e32 v8, 0
	;; [unrolled: 1-line block ×4, first 2 shown]
	s_waitcnt lgkmcnt(0)
	s_add_u32 s8, s12, s34
	s_addc_u32 s9, s13, s35
	s_add_u32 s18, s18, s34
	s_addc_u32 s19, s19, s35
	s_load_dwordx2 s[12:13], s[8:9], 0x0
	s_load_dwordx2 s[18:19], s[18:19], 0x0
	v_cmp_lt_i64_e64 s8, s[28:29], 1
	s_ashr_i32 s7, s6, 31
	s_ashr_i32 s11, s10, 31
	s_lshl_b64 s[6:7], s[6:7], 5
	s_lshl_b64 s[30:31], s[10:11], 5
	s_and_b32 vcc_lo, exec_lo, s8
	s_cbranch_vccnz .LBB95_3
; %bb.1:
	s_clause 0x1
	s_load_dwordx8 s[20:27], s[4:5], 0x20
	s_load_dwordx4 s[8:11], s[4:5], 0x40
	v_lshl_add_u32 v2, v1, 4, v0
	v_and_b32_e32 v7, 7, v0
	v_lshrrev_b32_e32 v6, 3, v2
	v_and_b32_e32 v8, 31, v2
	v_lshrrev_b32_e32 v9, 5, v2
	v_lshlrev_b32_e32 v10, 2, v7
	v_lshlrev_b32_e32 v7, 1, v7
	v_add_co_u32 v2, s33, v6, s30
	v_add_co_ci_u32_e64 v3, null, 0, s31, s33
	v_add_co_u32 v4, s33, s6, v8
	v_add_co_ci_u32_e64 v5, null, s7, 0, s33
	s_waitcnt lgkmcnt(0)
	s_add_u32 s20, s20, s34
	v_mul_lo_u32 v11, s9, v2
	v_mul_lo_u32 v12, s8, v3
	v_mad_u64_u32 v[2:3], null, s8, v2, 0
	v_mul_lo_u32 v13, s23, v4
	v_mul_lo_u32 v14, s22, v5
	v_mad_u64_u32 v[4:5], null, s22, v4, 0
	s_addc_u32 s21, s21, s35
	s_add_u32 s26, s26, s34
	v_add3_u32 v3, v3, v12, v11
	s_addc_u32 s27, s27, s35
	s_load_dwordx2 s[20:21], s[20:21], 0x0
	s_load_dwordx2 s[8:9], s[26:27], 0x0
	v_add3_u32 v5, v5, v14, v13
	v_lshlrev_b64 v[2:3], 1, v[2:3]
	s_lshl_b64 s[10:11], s[10:11], 1
	v_lshlrev_b32_e32 v8, 2, v8
	v_lshl_or_b32 v15, v6, 5, v10
	v_lshlrev_b64 v[4:5], 1, v[4:5]
	v_mov_b32_e32 v6, 0
	v_add_co_u32 v2, vcc_lo, v2, s10
	v_add_co_ci_u32_e64 v3, null, s11, v3, vcc_lo
	s_lshl_b64 s[10:11], s[24:25], 1
	v_lshl_or_b32 v10, v9, 7, v8
	v_add_co_u32 v4, vcc_lo, v4, s10
	v_lshlrev_b32_e32 v8, 1, v9
	v_add_co_ci_u32_e64 v5, null, s11, v5, vcc_lo
	v_add_co_u32 v2, vcc_lo, v2, v7
	v_add_co_ci_u32_e64 v3, null, 0, v3, vcc_lo
	v_add_co_u32 v4, vcc_lo, v4, v8
	v_add_co_ci_u32_e64 v5, null, 0, v5, vcc_lo
	s_waitcnt lgkmcnt(0)
	v_add_co_u32 v2, vcc_lo, s8, v2
	v_add_co_ci_u32_e64 v3, null, s9, v3, vcc_lo
	v_add_co_u32 v4, vcc_lo, s20, v4
	v_add_nc_u32_e32 v11, 0x400, v15
	v_lshlrev_b32_e32 v12, 2, v0
	v_lshl_add_u32 v13, v1, 5, 0x400
	v_add_co_ci_u32_e64 v5, null, s21, v5, vcc_lo
	v_mov_b32_e32 v7, 0
	v_mov_b32_e32 v8, 0
	;; [unrolled: 1-line block ×3, first 2 shown]
	s_mov_b64 s[8:9], 0
.LBB95_2:                               ; =>This Inner Loop Header: Depth=1
	flat_load_ushort v14, v[4:5]
	flat_load_ushort v15, v[2:3]
	s_add_u32 s8, s8, 8
	s_addc_u32 s9, s9, 0
	v_add_co_u32 v2, vcc_lo, v2, 16
	v_cmp_lt_i64_e64 s10, s[8:9], s[28:29]
	v_add_co_ci_u32_e64 v3, null, 0, v3, vcc_lo
	v_add_co_u32 v4, vcc_lo, v4, 16
	v_add_co_ci_u32_e64 v5, null, 0, v5, vcc_lo
	s_and_b32 vcc_lo, exec_lo, s10
	s_waitcnt vmcnt(1) lgkmcnt(1)
	v_cvt_f32_f16_e32 v14, v14
	s_waitcnt vmcnt(0) lgkmcnt(0)
	v_cvt_f32_f16_e32 v15, v15
	ds_write_b32 v10, v14
	ds_write_b32 v11, v15
	s_waitcnt lgkmcnt(0)
	s_barrier
	buffer_gl0_inv
	ds_read_b128 v[14:17], v13
	ds_read2_b32 v[30:31], v12 offset1:16
	ds_read_b128 v[18:21], v13 offset:512
	ds_read2_b32 v[32:33], v12 offset0:32 offset1:48
	ds_read2_b32 v[34:35], v12 offset0:64 offset1:80
	ds_read_b128 v[22:25], v13 offset:16
	ds_read2_b32 v[36:37], v12 offset0:96 offset1:112
	ds_read2_b32 v[38:39], v12 offset0:128 offset1:144
	;; [unrolled: 3-line block ×3, first 2 shown]
	ds_read2_b32 v[44:45], v12 offset0:224 offset1:240
	s_waitcnt lgkmcnt(0)
	s_barrier
	buffer_gl0_inv
	v_fmac_f32_e32 v9, v30, v14
	v_fmac_f32_e32 v8, v31, v14
	;; [unrolled: 1-line block ×32, first 2 shown]
	s_cbranch_vccnz .LBB95_2
.LBB95_3:
	s_load_dword s8, s[4:5], 0x50
	s_lshl_b64 s[10:11], s[2:3], 1
	s_load_dword s2, s[4:5], 0x18
	v_add_co_u32 v2, s4, s30, v1
	v_add_co_ci_u32_e64 v5, null, s31, 0, s4
	v_add_co_u32 v0, s4, s6, v0
	v_add_co_ci_u32_e64 v1, null, s7, 0, s4
	v_mul_lo_u32 v3, v5, s0
	v_mul_lo_u32 v4, v2, s1
	s_waitcnt lgkmcnt(0)
	s_add_u32 s3, s18, s10
	v_lshlrev_b64 v[0:1], 1, v[0:1]
	s_addc_u32 s4, s19, s11
	v_cmp_neq_f32_e64 s5, s8, 0
	s_and_b32 vcc_lo, exec_lo, s5
	s_mov_b32 s5, 0
	s_cbranch_vccnz .LBB95_7
; %bb.4:
	v_mad_u64_u32 v[10:11], null, v2, s0, 0
	s_lshl_b64 s[6:7], s[0:1], 5
	v_fma_mixlo_f16 v14, s2, v9, 0
	v_fma_mixlo_f16 v15, s2, v8, 0
	;; [unrolled: 1-line block ×4, first 2 shown]
	v_add3_u32 v11, v11, v4, v3
	v_lshlrev_b64 v[10:11], 1, v[10:11]
	v_add_co_u32 v10, vcc_lo, s3, v10
	v_add_co_ci_u32_e64 v11, null, s4, v11, vcc_lo
	v_add_co_u32 v12, vcc_lo, v10, s6
	v_add_co_ci_u32_e64 v13, null, s7, v11, vcc_lo
	;; [unrolled: 2-line block ×4, first 2 shown]
	flat_store_short v[10:11], v14
	flat_store_short v[10:11], v15 offset:32
	flat_store_short v[12:13], v16
	flat_store_short v[12:13], v17 offset:32
	s_andn2_b32 vcc_lo, exec_lo, s5
	s_cbranch_vccnz .LBB95_6
.LBB95_5:
	v_mul_lo_u32 v5, v5, s14
	v_mul_lo_u32 v12, v2, s15
	v_mad_u64_u32 v[10:11], null, v2, s14, 0
	s_lshl_b64 s[6:7], s[16:17], 1
	s_add_u32 s5, s12, s6
	s_addc_u32 s6, s13, s7
	v_add3_u32 v11, v11, v12, v5
	v_mad_u64_u32 v[12:13], null, v2, s0, 0
	s_lshl_b64 s[0:1], s[0:1], 5
	v_lshlrev_b64 v[10:11], 1, v[10:11]
	v_add3_u32 v13, v13, v4, v3
	v_add_co_u32 v5, vcc_lo, s5, v10
	v_add_co_ci_u32_e64 v14, null, s6, v11, vcc_lo
	v_lshlrev_b64 v[2:3], 1, v[12:13]
	v_add_co_u32 v10, vcc_lo, v5, v0
	v_add_co_ci_u32_e64 v11, null, v14, v1, vcc_lo
	v_add_co_u32 v12, vcc_lo, s3, v2
	flat_load_ushort v15, v[10:11]
	v_add_co_ci_u32_e64 v13, null, s4, v3, vcc_lo
	v_add_co_u32 v2, vcc_lo, v12, v0
	s_lshl_b64 s[4:5], s[14:15], 5
	v_add_co_ci_u32_e64 v3, null, v13, v1, vcc_lo
	v_add_co_u32 v5, vcc_lo, v5, s4
	s_waitcnt vmcnt(0) lgkmcnt(0)
	v_cvt_f32_f16_e32 v4, v15
	v_mul_f32_e32 v4, s8, v4
	v_fma_mixlo_f16 v4, s2, v9, v4
	v_add_co_ci_u32_e64 v9, null, s5, v14, vcc_lo
	flat_store_short v[2:3], v4
	flat_load_ushort v4, v[10:11] offset:32
	s_waitcnt vmcnt(0) lgkmcnt(0)
	v_cvt_f32_f16_e32 v4, v4
	v_mul_f32_e32 v4, s8, v4
	v_fma_mixlo_f16 v8, s2, v8, v4
	v_add_co_u32 v4, vcc_lo, v5, v0
	v_add_co_ci_u32_e64 v5, null, v9, v1, vcc_lo
	flat_store_short v[2:3], v8 offset:32
	v_add_co_u32 v3, vcc_lo, v12, s0
	flat_load_ushort v2, v[4:5]
	v_add_co_ci_u32_e64 v8, null, s1, v13, vcc_lo
	v_add_co_u32 v0, vcc_lo, v3, v0
	v_add_co_ci_u32_e64 v1, null, v8, v1, vcc_lo
	s_waitcnt vmcnt(0) lgkmcnt(0)
	v_cvt_f32_f16_e32 v2, v2
	v_mul_f32_e32 v2, s8, v2
	v_fma_mixlo_f16 v2, s2, v7, v2
	flat_store_short v[0:1], v2
	flat_load_ushort v2, v[4:5] offset:32
	s_waitcnt vmcnt(0) lgkmcnt(0)
	v_cvt_f32_f16_e32 v2, v2
	v_mul_f32_e32 v2, s8, v2
	v_fma_mixlo_f16 v2, s2, v6, v2
	flat_store_short v[0:1], v2 offset:32
.LBB95_6:
	s_endpgm
.LBB95_7:
	s_branch .LBB95_5
	.section	.rodata,"a",@progbits
	.p2align	6, 0x0
	.amdhsa_kernel _ZN12_GLOBAL__N_127rocblas_gemm_batched_kernelIfLi16ELi16ELi32ELi32ELi8ELi32ELi8ELi8ELi32ELc84ELc78EKPKDF16_S3_KPDF16_EEvlllT_PT11_llS8_llS6_PT12_llPT13_lli
		.amdhsa_group_segment_fixed_size 2048
		.amdhsa_private_segment_fixed_size 0
		.amdhsa_kernarg_size 140
		.amdhsa_user_sgpr_count 6
		.amdhsa_user_sgpr_private_segment_buffer 1
		.amdhsa_user_sgpr_dispatch_ptr 0
		.amdhsa_user_sgpr_queue_ptr 0
		.amdhsa_user_sgpr_kernarg_segment_ptr 1
		.amdhsa_user_sgpr_dispatch_id 0
		.amdhsa_user_sgpr_flat_scratch_init 0
		.amdhsa_user_sgpr_private_segment_size 0
		.amdhsa_wavefront_size32 1
		.amdhsa_uses_dynamic_stack 0
		.amdhsa_system_sgpr_private_segment_wavefront_offset 0
		.amdhsa_system_sgpr_workgroup_id_x 1
		.amdhsa_system_sgpr_workgroup_id_y 1
		.amdhsa_system_sgpr_workgroup_id_z 1
		.amdhsa_system_sgpr_workgroup_info 0
		.amdhsa_system_vgpr_workitem_id 1
		.amdhsa_next_free_vgpr 46
		.amdhsa_next_free_sgpr 36
		.amdhsa_reserve_vcc 1
		.amdhsa_reserve_flat_scratch 0
		.amdhsa_float_round_mode_32 0
		.amdhsa_float_round_mode_16_64 0
		.amdhsa_float_denorm_mode_32 3
		.amdhsa_float_denorm_mode_16_64 3
		.amdhsa_dx10_clamp 1
		.amdhsa_ieee_mode 1
		.amdhsa_fp16_overflow 0
		.amdhsa_workgroup_processor_mode 1
		.amdhsa_memory_ordered 1
		.amdhsa_forward_progress 1
		.amdhsa_shared_vgpr_count 0
		.amdhsa_exception_fp_ieee_invalid_op 0
		.amdhsa_exception_fp_denorm_src 0
		.amdhsa_exception_fp_ieee_div_zero 0
		.amdhsa_exception_fp_ieee_overflow 0
		.amdhsa_exception_fp_ieee_underflow 0
		.amdhsa_exception_fp_ieee_inexact 0
		.amdhsa_exception_int_div_zero 0
	.end_amdhsa_kernel
	.section	.text._ZN12_GLOBAL__N_127rocblas_gemm_batched_kernelIfLi16ELi16ELi32ELi32ELi8ELi32ELi8ELi8ELi32ELc84ELc78EKPKDF16_S3_KPDF16_EEvlllT_PT11_llS8_llS6_PT12_llPT13_lli,"axG",@progbits,_ZN12_GLOBAL__N_127rocblas_gemm_batched_kernelIfLi16ELi16ELi32ELi32ELi8ELi32ELi8ELi8ELi32ELc84ELc78EKPKDF16_S3_KPDF16_EEvlllT_PT11_llS8_llS6_PT12_llPT13_lli,comdat
.Lfunc_end95:
	.size	_ZN12_GLOBAL__N_127rocblas_gemm_batched_kernelIfLi16ELi16ELi32ELi32ELi8ELi32ELi8ELi8ELi32ELc84ELc78EKPKDF16_S3_KPDF16_EEvlllT_PT11_llS8_llS6_PT12_llPT13_lli, .Lfunc_end95-_ZN12_GLOBAL__N_127rocblas_gemm_batched_kernelIfLi16ELi16ELi32ELi32ELi8ELi32ELi8ELi8ELi32ELc84ELc78EKPKDF16_S3_KPDF16_EEvlllT_PT11_llS8_llS6_PT12_llPT13_lli
                                        ; -- End function
	.set _ZN12_GLOBAL__N_127rocblas_gemm_batched_kernelIfLi16ELi16ELi32ELi32ELi8ELi32ELi8ELi8ELi32ELc84ELc78EKPKDF16_S3_KPDF16_EEvlllT_PT11_llS8_llS6_PT12_llPT13_lli.num_vgpr, 46
	.set _ZN12_GLOBAL__N_127rocblas_gemm_batched_kernelIfLi16ELi16ELi32ELi32ELi8ELi32ELi8ELi8ELi32ELc84ELc78EKPKDF16_S3_KPDF16_EEvlllT_PT11_llS8_llS6_PT12_llPT13_lli.num_agpr, 0
	.set _ZN12_GLOBAL__N_127rocblas_gemm_batched_kernelIfLi16ELi16ELi32ELi32ELi8ELi32ELi8ELi8ELi32ELc84ELc78EKPKDF16_S3_KPDF16_EEvlllT_PT11_llS8_llS6_PT12_llPT13_lli.numbered_sgpr, 36
	.set _ZN12_GLOBAL__N_127rocblas_gemm_batched_kernelIfLi16ELi16ELi32ELi32ELi8ELi32ELi8ELi8ELi32ELc84ELc78EKPKDF16_S3_KPDF16_EEvlllT_PT11_llS8_llS6_PT12_llPT13_lli.num_named_barrier, 0
	.set _ZN12_GLOBAL__N_127rocblas_gemm_batched_kernelIfLi16ELi16ELi32ELi32ELi8ELi32ELi8ELi8ELi32ELc84ELc78EKPKDF16_S3_KPDF16_EEvlllT_PT11_llS8_llS6_PT12_llPT13_lli.private_seg_size, 0
	.set _ZN12_GLOBAL__N_127rocblas_gemm_batched_kernelIfLi16ELi16ELi32ELi32ELi8ELi32ELi8ELi8ELi32ELc84ELc78EKPKDF16_S3_KPDF16_EEvlllT_PT11_llS8_llS6_PT12_llPT13_lli.uses_vcc, 1
	.set _ZN12_GLOBAL__N_127rocblas_gemm_batched_kernelIfLi16ELi16ELi32ELi32ELi8ELi32ELi8ELi8ELi32ELc84ELc78EKPKDF16_S3_KPDF16_EEvlllT_PT11_llS8_llS6_PT12_llPT13_lli.uses_flat_scratch, 0
	.set _ZN12_GLOBAL__N_127rocblas_gemm_batched_kernelIfLi16ELi16ELi32ELi32ELi8ELi32ELi8ELi8ELi32ELc84ELc78EKPKDF16_S3_KPDF16_EEvlllT_PT11_llS8_llS6_PT12_llPT13_lli.has_dyn_sized_stack, 0
	.set _ZN12_GLOBAL__N_127rocblas_gemm_batched_kernelIfLi16ELi16ELi32ELi32ELi8ELi32ELi8ELi8ELi32ELc84ELc78EKPKDF16_S3_KPDF16_EEvlllT_PT11_llS8_llS6_PT12_llPT13_lli.has_recursion, 0
	.set _ZN12_GLOBAL__N_127rocblas_gemm_batched_kernelIfLi16ELi16ELi32ELi32ELi8ELi32ELi8ELi8ELi32ELc84ELc78EKPKDF16_S3_KPDF16_EEvlllT_PT11_llS8_llS6_PT12_llPT13_lli.has_indirect_call, 0
	.section	.AMDGPU.csdata,"",@progbits
; Kernel info:
; codeLenInByte = 1496
; TotalNumSgprs: 38
; NumVgprs: 46
; ScratchSize: 0
; MemoryBound: 0
; FloatMode: 240
; IeeeMode: 1
; LDSByteSize: 2048 bytes/workgroup (compile time only)
; SGPRBlocks: 0
; VGPRBlocks: 5
; NumSGPRsForWavesPerEU: 38
; NumVGPRsForWavesPerEU: 46
; Occupancy: 16
; WaveLimiterHint : 1
; COMPUTE_PGM_RSRC2:SCRATCH_EN: 0
; COMPUTE_PGM_RSRC2:USER_SGPR: 6
; COMPUTE_PGM_RSRC2:TRAP_HANDLER: 0
; COMPUTE_PGM_RSRC2:TGID_X_EN: 1
; COMPUTE_PGM_RSRC2:TGID_Y_EN: 1
; COMPUTE_PGM_RSRC2:TGID_Z_EN: 1
; COMPUTE_PGM_RSRC2:TIDIG_COMP_CNT: 1
	.section	.text._ZN12_GLOBAL__N_127rocblas_gemm_batched_kernelIfLi16ELi16ELi32ELi32ELi8ELi32ELi8ELi8ELi32ELc78ELc84EKPKDF16_S3_KPDF16_EEvlllT_PT11_llS8_llS6_PT12_llPT13_lli,"axG",@progbits,_ZN12_GLOBAL__N_127rocblas_gemm_batched_kernelIfLi16ELi16ELi32ELi32ELi8ELi32ELi8ELi8ELi32ELc78ELc84EKPKDF16_S3_KPDF16_EEvlllT_PT11_llS8_llS6_PT12_llPT13_lli,comdat
	.globl	_ZN12_GLOBAL__N_127rocblas_gemm_batched_kernelIfLi16ELi16ELi32ELi32ELi8ELi32ELi8ELi8ELi32ELc78ELc84EKPKDF16_S3_KPDF16_EEvlllT_PT11_llS8_llS6_PT12_llPT13_lli ; -- Begin function _ZN12_GLOBAL__N_127rocblas_gemm_batched_kernelIfLi16ELi16ELi32ELi32ELi8ELi32ELi8ELi8ELi32ELc78ELc84EKPKDF16_S3_KPDF16_EEvlllT_PT11_llS8_llS6_PT12_llPT13_lli
	.p2align	8
	.type	_ZN12_GLOBAL__N_127rocblas_gemm_batched_kernelIfLi16ELi16ELi32ELi32ELi8ELi32ELi8ELi8ELi32ELc78ELc84EKPKDF16_S3_KPDF16_EEvlllT_PT11_llS8_llS6_PT12_llPT13_lli,@function
_ZN12_GLOBAL__N_127rocblas_gemm_batched_kernelIfLi16ELi16ELi32ELi32ELi8ELi32ELi8ELi8ELi32ELc78ELc84EKPKDF16_S3_KPDF16_EEvlllT_PT11_llS8_llS6_PT12_llPT13_lli: ; @_ZN12_GLOBAL__N_127rocblas_gemm_batched_kernelIfLi16ELi16ELi32ELi32ELi8ELi32ELi8ELi8ELi32ELc78ELc84EKPKDF16_S3_KPDF16_EEvlllT_PT11_llS8_llS6_PT12_llPT13_lli
; %bb.0:
	s_clause 0x1
	s_load_dwordx8 s[12:19], s[4:5], 0x58
	s_load_dwordx2 s[28:29], s[4:5], 0x10
	s_mov_b32 s9, 0
	s_load_dwordx4 s[0:3], s[4:5], 0x78
	s_lshl_b64 s[34:35], s[8:9], 3
	s_mov_b32 s10, s7
	v_mov_b32_e32 v9, 0
	v_mov_b32_e32 v8, 0
	;; [unrolled: 1-line block ×4, first 2 shown]
	s_waitcnt lgkmcnt(0)
	s_add_u32 s8, s12, s34
	s_addc_u32 s9, s13, s35
	s_add_u32 s18, s18, s34
	s_addc_u32 s19, s19, s35
	s_load_dwordx2 s[12:13], s[8:9], 0x0
	s_load_dwordx2 s[18:19], s[18:19], 0x0
	v_cmp_lt_i64_e64 s8, s[28:29], 1
	s_ashr_i32 s7, s6, 31
	s_ashr_i32 s11, s10, 31
	s_lshl_b64 s[6:7], s[6:7], 5
	s_lshl_b64 s[30:31], s[10:11], 5
	s_and_b32 vcc_lo, exec_lo, s8
	s_cbranch_vccnz .LBB96_3
; %bb.1:
	s_clause 0x1
	s_load_dwordx8 s[20:27], s[4:5], 0x20
	s_load_dwordx4 s[8:11], s[4:5], 0x40
	v_lshl_add_u32 v4, v1, 4, v0
	v_mov_b32_e32 v3, 0
	v_and_b32_e32 v8, 7, v0
	v_lshlrev_b32_e32 v10, 2, v0
	v_lshl_add_u32 v11, v1, 5, 0x400
	v_lshrrev_b32_e32 v2, 3, v4
	v_lshrrev_b32_e32 v9, 5, v4
	v_and_b32_e32 v14, 31, v4
	v_lshlrev_b32_e32 v12, 2, v8
	v_lshlrev_b32_e32 v13, 2, v14
	v_lshl_or_b32 v15, v2, 5, v12
	v_lshl_or_b32 v12, v9, 7, v13
	s_waitcnt lgkmcnt(0)
	v_mad_u64_u32 v[6:7], null, s22, v9, s[6:7]
	v_mad_u64_u32 v[4:5], null, s8, v8, v[2:3]
	s_add_u32 s20, s20, s34
	s_addc_u32 s21, s21, s35
	s_add_u32 s26, s26, s34
	s_addc_u32 s27, s27, s35
	s_load_dwordx2 s[20:21], s[20:21], 0x0
	s_load_dwordx2 s[26:27], s[26:27], 0x0
	v_mov_b32_e32 v2, v5
	v_mov_b32_e32 v5, v7
	v_add_co_u32 v4, vcc_lo, v4, s30
	s_lshl_b64 s[10:11], s[10:11], 1
	v_mad_u64_u32 v[7:8], null, s9, v8, v[2:3]
	v_mad_u64_u32 v[8:9], null, s23, v9, v[5:6]
	v_add_nc_u32_e32 v13, 0x400, v15
	v_mov_b32_e32 v2, v3
	v_mov_b32_e32 v9, v3
	v_add_co_ci_u32_e64 v5, null, s31, v7, vcc_lo
	v_add_co_u32 v6, vcc_lo, v6, v14
	v_add_co_ci_u32_e64 v7, null, 0, v8, vcc_lo
	v_lshlrev_b64 v[4:5], 1, v[4:5]
	s_waitcnt lgkmcnt(0)
	s_add_u32 s26, s26, s10
	s_addc_u32 s27, s27, s11
	v_lshlrev_b64 v[6:7], 1, v[6:7]
	s_lshl_b64 s[10:11], s[24:25], 1
	s_lshl_b64 s[8:9], s[8:9], 4
	s_add_u32 s10, s20, s10
	v_add_co_u32 v4, vcc_lo, s26, v4
	s_addc_u32 s11, s21, s11
	v_add_co_ci_u32_e64 v5, null, s27, v5, vcc_lo
	v_add_co_u32 v6, vcc_lo, s10, v6
	v_add_co_ci_u32_e64 v7, null, s11, v7, vcc_lo
	v_mov_b32_e32 v8, v3
	s_lshl_b64 s[10:11], s[22:23], 4
	s_mov_b64 s[20:21], 0
.LBB96_2:                               ; =>This Inner Loop Header: Depth=1
	flat_load_ushort v14, v[6:7]
	flat_load_ushort v15, v[4:5]
	s_add_u32 s20, s20, 8
	s_addc_u32 s21, s21, 0
	v_add_co_u32 v4, vcc_lo, v4, s8
	v_cmp_lt_i64_e64 s22, s[20:21], s[28:29]
	v_add_co_ci_u32_e64 v5, null, s9, v5, vcc_lo
	v_add_co_u32 v6, vcc_lo, v6, s10
	v_add_co_ci_u32_e64 v7, null, s11, v7, vcc_lo
	s_and_b32 vcc_lo, exec_lo, s22
	s_waitcnt vmcnt(1) lgkmcnt(1)
	v_cvt_f32_f16_e32 v14, v14
	s_waitcnt vmcnt(0) lgkmcnt(0)
	v_cvt_f32_f16_e32 v15, v15
	ds_write_b32 v12, v14
	ds_write_b32 v13, v15
	s_waitcnt lgkmcnt(0)
	s_barrier
	buffer_gl0_inv
	ds_read_b128 v[14:17], v11
	ds_read2_b32 v[30:31], v10 offset1:16
	ds_read_b128 v[18:21], v11 offset:512
	ds_read2_b32 v[32:33], v10 offset0:32 offset1:48
	ds_read2_b32 v[34:35], v10 offset0:64 offset1:80
	ds_read_b128 v[22:25], v11 offset:16
	ds_read2_b32 v[36:37], v10 offset0:96 offset1:112
	ds_read2_b32 v[38:39], v10 offset0:128 offset1:144
	;; [unrolled: 3-line block ×3, first 2 shown]
	ds_read2_b32 v[44:45], v10 offset0:224 offset1:240
	s_waitcnt lgkmcnt(0)
	s_barrier
	buffer_gl0_inv
	v_fmac_f32_e32 v9, v30, v14
	v_fmac_f32_e32 v8, v31, v14
	;; [unrolled: 1-line block ×32, first 2 shown]
	s_cbranch_vccnz .LBB96_2
.LBB96_3:
	s_load_dword s8, s[4:5], 0x50
	s_lshl_b64 s[10:11], s[2:3], 1
	s_load_dword s2, s[4:5], 0x18
	v_add_co_u32 v4, s4, s30, v1
	v_add_co_ci_u32_e64 v7, null, s31, 0, s4
	v_add_co_u32 v0, s4, s6, v0
	v_add_co_ci_u32_e64 v1, null, s7, 0, s4
	v_mul_lo_u32 v5, v7, s0
	v_mul_lo_u32 v6, v4, s1
	s_waitcnt lgkmcnt(0)
	s_add_u32 s3, s18, s10
	v_lshlrev_b64 v[0:1], 1, v[0:1]
	s_addc_u32 s4, s19, s11
	v_cmp_neq_f32_e64 s5, s8, 0
	s_and_b32 vcc_lo, exec_lo, s5
	s_mov_b32 s5, 0
	s_cbranch_vccnz .LBB96_7
; %bb.4:
	v_mad_u64_u32 v[10:11], null, v4, s0, 0
	s_lshl_b64 s[6:7], s[0:1], 5
	v_fma_mixlo_f16 v14, s2, v9, 0
	v_fma_mixlo_f16 v15, s2, v8, 0
	;; [unrolled: 1-line block ×4, first 2 shown]
	v_add3_u32 v11, v11, v6, v5
	v_lshlrev_b64 v[10:11], 1, v[10:11]
	v_add_co_u32 v10, vcc_lo, s3, v10
	v_add_co_ci_u32_e64 v11, null, s4, v11, vcc_lo
	v_add_co_u32 v12, vcc_lo, v10, s6
	v_add_co_ci_u32_e64 v13, null, s7, v11, vcc_lo
	v_add_co_u32 v10, vcc_lo, v10, v0
	v_add_co_ci_u32_e64 v11, null, v11, v1, vcc_lo
	v_add_co_u32 v12, vcc_lo, v12, v0
	v_add_co_ci_u32_e64 v13, null, v13, v1, vcc_lo
	flat_store_short v[10:11], v14
	flat_store_short v[10:11], v15 offset:32
	flat_store_short v[12:13], v16
	flat_store_short v[12:13], v17 offset:32
	s_andn2_b32 vcc_lo, exec_lo, s5
	s_cbranch_vccnz .LBB96_6
.LBB96_5:
	v_mul_lo_u32 v7, v7, s14
	v_mul_lo_u32 v12, v4, s15
	v_mad_u64_u32 v[10:11], null, v4, s14, 0
	s_lshl_b64 s[6:7], s[16:17], 1
	s_add_u32 s5, s12, s6
	s_addc_u32 s6, s13, s7
	v_add3_u32 v11, v11, v12, v7
	v_mad_u64_u32 v[12:13], null, v4, s0, 0
	s_lshl_b64 s[0:1], s[0:1], 5
	v_lshlrev_b64 v[10:11], 1, v[10:11]
	v_add3_u32 v13, v13, v6, v5
	v_add_co_u32 v7, vcc_lo, s5, v10
	v_add_co_ci_u32_e64 v14, null, s6, v11, vcc_lo
	v_lshlrev_b64 v[4:5], 1, v[12:13]
	v_add_co_u32 v10, vcc_lo, v7, v0
	v_add_co_ci_u32_e64 v11, null, v14, v1, vcc_lo
	v_add_co_u32 v12, vcc_lo, s3, v4
	flat_load_ushort v15, v[10:11]
	v_add_co_ci_u32_e64 v13, null, s4, v5, vcc_lo
	v_add_co_u32 v4, vcc_lo, v12, v0
	s_lshl_b64 s[4:5], s[14:15], 5
	v_add_co_ci_u32_e64 v5, null, v13, v1, vcc_lo
	v_add_co_u32 v7, vcc_lo, v7, s4
	s_waitcnt vmcnt(0) lgkmcnt(0)
	v_cvt_f32_f16_e32 v6, v15
	v_mul_f32_e32 v6, s8, v6
	v_fma_mixlo_f16 v6, s2, v9, v6
	v_add_co_ci_u32_e64 v9, null, s5, v14, vcc_lo
	flat_store_short v[4:5], v6
	flat_load_ushort v6, v[10:11] offset:32
	s_waitcnt vmcnt(0) lgkmcnt(0)
	v_cvt_f32_f16_e32 v6, v6
	v_mul_f32_e32 v6, s8, v6
	v_fma_mixlo_f16 v8, s2, v8, v6
	v_add_co_u32 v6, vcc_lo, v7, v0
	v_add_co_ci_u32_e64 v7, null, v9, v1, vcc_lo
	flat_store_short v[4:5], v8 offset:32
	v_add_co_u32 v5, vcc_lo, v12, s0
	flat_load_ushort v4, v[6:7]
	v_add_co_ci_u32_e64 v8, null, s1, v13, vcc_lo
	v_add_co_u32 v0, vcc_lo, v5, v0
	v_add_co_ci_u32_e64 v1, null, v8, v1, vcc_lo
	s_waitcnt vmcnt(0) lgkmcnt(0)
	v_cvt_f32_f16_e32 v4, v4
	v_mul_f32_e32 v4, s8, v4
	v_fma_mixlo_f16 v2, s2, v2, v4
	flat_store_short v[0:1], v2
	flat_load_ushort v2, v[6:7] offset:32
	s_waitcnt vmcnt(0) lgkmcnt(0)
	v_cvt_f32_f16_e32 v2, v2
	v_mul_f32_e32 v2, s8, v2
	v_fma_mixlo_f16 v2, s2, v3, v2
	flat_store_short v[0:1], v2 offset:32
.LBB96_6:
	s_endpgm
.LBB96_7:
	s_branch .LBB96_5
	.section	.rodata,"a",@progbits
	.p2align	6, 0x0
	.amdhsa_kernel _ZN12_GLOBAL__N_127rocblas_gemm_batched_kernelIfLi16ELi16ELi32ELi32ELi8ELi32ELi8ELi8ELi32ELc78ELc84EKPKDF16_S3_KPDF16_EEvlllT_PT11_llS8_llS6_PT12_llPT13_lli
		.amdhsa_group_segment_fixed_size 2048
		.amdhsa_private_segment_fixed_size 0
		.amdhsa_kernarg_size 140
		.amdhsa_user_sgpr_count 6
		.amdhsa_user_sgpr_private_segment_buffer 1
		.amdhsa_user_sgpr_dispatch_ptr 0
		.amdhsa_user_sgpr_queue_ptr 0
		.amdhsa_user_sgpr_kernarg_segment_ptr 1
		.amdhsa_user_sgpr_dispatch_id 0
		.amdhsa_user_sgpr_flat_scratch_init 0
		.amdhsa_user_sgpr_private_segment_size 0
		.amdhsa_wavefront_size32 1
		.amdhsa_uses_dynamic_stack 0
		.amdhsa_system_sgpr_private_segment_wavefront_offset 0
		.amdhsa_system_sgpr_workgroup_id_x 1
		.amdhsa_system_sgpr_workgroup_id_y 1
		.amdhsa_system_sgpr_workgroup_id_z 1
		.amdhsa_system_sgpr_workgroup_info 0
		.amdhsa_system_vgpr_workitem_id 1
		.amdhsa_next_free_vgpr 46
		.amdhsa_next_free_sgpr 36
		.amdhsa_reserve_vcc 1
		.amdhsa_reserve_flat_scratch 0
		.amdhsa_float_round_mode_32 0
		.amdhsa_float_round_mode_16_64 0
		.amdhsa_float_denorm_mode_32 3
		.amdhsa_float_denorm_mode_16_64 3
		.amdhsa_dx10_clamp 1
		.amdhsa_ieee_mode 1
		.amdhsa_fp16_overflow 0
		.amdhsa_workgroup_processor_mode 1
		.amdhsa_memory_ordered 1
		.amdhsa_forward_progress 1
		.amdhsa_shared_vgpr_count 0
		.amdhsa_exception_fp_ieee_invalid_op 0
		.amdhsa_exception_fp_denorm_src 0
		.amdhsa_exception_fp_ieee_div_zero 0
		.amdhsa_exception_fp_ieee_overflow 0
		.amdhsa_exception_fp_ieee_underflow 0
		.amdhsa_exception_fp_ieee_inexact 0
		.amdhsa_exception_int_div_zero 0
	.end_amdhsa_kernel
	.section	.text._ZN12_GLOBAL__N_127rocblas_gemm_batched_kernelIfLi16ELi16ELi32ELi32ELi8ELi32ELi8ELi8ELi32ELc78ELc84EKPKDF16_S3_KPDF16_EEvlllT_PT11_llS8_llS6_PT12_llPT13_lli,"axG",@progbits,_ZN12_GLOBAL__N_127rocblas_gemm_batched_kernelIfLi16ELi16ELi32ELi32ELi8ELi32ELi8ELi8ELi32ELc78ELc84EKPKDF16_S3_KPDF16_EEvlllT_PT11_llS8_llS6_PT12_llPT13_lli,comdat
.Lfunc_end96:
	.size	_ZN12_GLOBAL__N_127rocblas_gemm_batched_kernelIfLi16ELi16ELi32ELi32ELi8ELi32ELi8ELi8ELi32ELc78ELc84EKPKDF16_S3_KPDF16_EEvlllT_PT11_llS8_llS6_PT12_llPT13_lli, .Lfunc_end96-_ZN12_GLOBAL__N_127rocblas_gemm_batched_kernelIfLi16ELi16ELi32ELi32ELi8ELi32ELi8ELi8ELi32ELc78ELc84EKPKDF16_S3_KPDF16_EEvlllT_PT11_llS8_llS6_PT12_llPT13_lli
                                        ; -- End function
	.set _ZN12_GLOBAL__N_127rocblas_gemm_batched_kernelIfLi16ELi16ELi32ELi32ELi8ELi32ELi8ELi8ELi32ELc78ELc84EKPKDF16_S3_KPDF16_EEvlllT_PT11_llS8_llS6_PT12_llPT13_lli.num_vgpr, 46
	.set _ZN12_GLOBAL__N_127rocblas_gemm_batched_kernelIfLi16ELi16ELi32ELi32ELi8ELi32ELi8ELi8ELi32ELc78ELc84EKPKDF16_S3_KPDF16_EEvlllT_PT11_llS8_llS6_PT12_llPT13_lli.num_agpr, 0
	.set _ZN12_GLOBAL__N_127rocblas_gemm_batched_kernelIfLi16ELi16ELi32ELi32ELi8ELi32ELi8ELi8ELi32ELc78ELc84EKPKDF16_S3_KPDF16_EEvlllT_PT11_llS8_llS6_PT12_llPT13_lli.numbered_sgpr, 36
	.set _ZN12_GLOBAL__N_127rocblas_gemm_batched_kernelIfLi16ELi16ELi32ELi32ELi8ELi32ELi8ELi8ELi32ELc78ELc84EKPKDF16_S3_KPDF16_EEvlllT_PT11_llS8_llS6_PT12_llPT13_lli.num_named_barrier, 0
	.set _ZN12_GLOBAL__N_127rocblas_gemm_batched_kernelIfLi16ELi16ELi32ELi32ELi8ELi32ELi8ELi8ELi32ELc78ELc84EKPKDF16_S3_KPDF16_EEvlllT_PT11_llS8_llS6_PT12_llPT13_lli.private_seg_size, 0
	.set _ZN12_GLOBAL__N_127rocblas_gemm_batched_kernelIfLi16ELi16ELi32ELi32ELi8ELi32ELi8ELi8ELi32ELc78ELc84EKPKDF16_S3_KPDF16_EEvlllT_PT11_llS8_llS6_PT12_llPT13_lli.uses_vcc, 1
	.set _ZN12_GLOBAL__N_127rocblas_gemm_batched_kernelIfLi16ELi16ELi32ELi32ELi8ELi32ELi8ELi8ELi32ELc78ELc84EKPKDF16_S3_KPDF16_EEvlllT_PT11_llS8_llS6_PT12_llPT13_lli.uses_flat_scratch, 0
	.set _ZN12_GLOBAL__N_127rocblas_gemm_batched_kernelIfLi16ELi16ELi32ELi32ELi8ELi32ELi8ELi8ELi32ELc78ELc84EKPKDF16_S3_KPDF16_EEvlllT_PT11_llS8_llS6_PT12_llPT13_lli.has_dyn_sized_stack, 0
	.set _ZN12_GLOBAL__N_127rocblas_gemm_batched_kernelIfLi16ELi16ELi32ELi32ELi8ELi32ELi8ELi8ELi32ELc78ELc84EKPKDF16_S3_KPDF16_EEvlllT_PT11_llS8_llS6_PT12_llPT13_lli.has_recursion, 0
	.set _ZN12_GLOBAL__N_127rocblas_gemm_batched_kernelIfLi16ELi16ELi32ELi32ELi8ELi32ELi8ELi8ELi32ELc78ELc84EKPKDF16_S3_KPDF16_EEvlllT_PT11_llS8_llS6_PT12_llPT13_lli.has_indirect_call, 0
	.section	.AMDGPU.csdata,"",@progbits
; Kernel info:
; codeLenInByte = 1424
; TotalNumSgprs: 38
; NumVgprs: 46
; ScratchSize: 0
; MemoryBound: 0
; FloatMode: 240
; IeeeMode: 1
; LDSByteSize: 2048 bytes/workgroup (compile time only)
; SGPRBlocks: 0
; VGPRBlocks: 5
; NumSGPRsForWavesPerEU: 38
; NumVGPRsForWavesPerEU: 46
; Occupancy: 16
; WaveLimiterHint : 1
; COMPUTE_PGM_RSRC2:SCRATCH_EN: 0
; COMPUTE_PGM_RSRC2:USER_SGPR: 6
; COMPUTE_PGM_RSRC2:TRAP_HANDLER: 0
; COMPUTE_PGM_RSRC2:TGID_X_EN: 1
; COMPUTE_PGM_RSRC2:TGID_Y_EN: 1
; COMPUTE_PGM_RSRC2:TGID_Z_EN: 1
; COMPUTE_PGM_RSRC2:TIDIG_COMP_CNT: 1
	.section	.text._ZN12_GLOBAL__N_127rocblas_gemm_batched_kernelIfLi16ELi16ELi32ELi32ELi8ELi32ELi8ELi8ELi32ELc84ELc84EKPKDF16_S3_KPDF16_EEvlllT_PT11_llS8_llS6_PT12_llPT13_lli,"axG",@progbits,_ZN12_GLOBAL__N_127rocblas_gemm_batched_kernelIfLi16ELi16ELi32ELi32ELi8ELi32ELi8ELi8ELi32ELc84ELc84EKPKDF16_S3_KPDF16_EEvlllT_PT11_llS8_llS6_PT12_llPT13_lli,comdat
	.globl	_ZN12_GLOBAL__N_127rocblas_gemm_batched_kernelIfLi16ELi16ELi32ELi32ELi8ELi32ELi8ELi8ELi32ELc84ELc84EKPKDF16_S3_KPDF16_EEvlllT_PT11_llS8_llS6_PT12_llPT13_lli ; -- Begin function _ZN12_GLOBAL__N_127rocblas_gemm_batched_kernelIfLi16ELi16ELi32ELi32ELi8ELi32ELi8ELi8ELi32ELc84ELc84EKPKDF16_S3_KPDF16_EEvlllT_PT11_llS8_llS6_PT12_llPT13_lli
	.p2align	8
	.type	_ZN12_GLOBAL__N_127rocblas_gemm_batched_kernelIfLi16ELi16ELi32ELi32ELi8ELi32ELi8ELi8ELi32ELc84ELc84EKPKDF16_S3_KPDF16_EEvlllT_PT11_llS8_llS6_PT12_llPT13_lli,@function
_ZN12_GLOBAL__N_127rocblas_gemm_batched_kernelIfLi16ELi16ELi32ELi32ELi8ELi32ELi8ELi8ELi32ELc84ELc84EKPKDF16_S3_KPDF16_EEvlllT_PT11_llS8_llS6_PT12_llPT13_lli: ; @_ZN12_GLOBAL__N_127rocblas_gemm_batched_kernelIfLi16ELi16ELi32ELi32ELi8ELi32ELi8ELi8ELi32ELc84ELc84EKPKDF16_S3_KPDF16_EEvlllT_PT11_llS8_llS6_PT12_llPT13_lli
; %bb.0:
	s_clause 0x1
	s_load_dwordx8 s[12:19], s[4:5], 0x58
	s_load_dwordx2 s[28:29], s[4:5], 0x10
	s_mov_b32 s9, 0
	s_load_dwordx4 s[0:3], s[4:5], 0x78
	s_lshl_b64 s[34:35], s[8:9], 3
	s_mov_b32 s10, s7
	v_mov_b32_e32 v9, 0
	v_mov_b32_e32 v8, 0
	;; [unrolled: 1-line block ×4, first 2 shown]
	s_waitcnt lgkmcnt(0)
	s_add_u32 s8, s12, s34
	s_addc_u32 s9, s13, s35
	s_add_u32 s18, s18, s34
	s_addc_u32 s19, s19, s35
	s_load_dwordx2 s[12:13], s[8:9], 0x0
	s_load_dwordx2 s[18:19], s[18:19], 0x0
	v_cmp_lt_i64_e64 s8, s[28:29], 1
	s_ashr_i32 s7, s6, 31
	s_ashr_i32 s11, s10, 31
	s_lshl_b64 s[6:7], s[6:7], 5
	s_lshl_b64 s[30:31], s[10:11], 5
	s_and_b32 vcc_lo, exec_lo, s8
	s_cbranch_vccnz .LBB97_3
; %bb.1:
	s_clause 0x1
	s_load_dwordx8 s[20:27], s[4:5], 0x20
	s_load_dwordx4 s[8:11], s[4:5], 0x40
	v_lshl_add_u32 v8, v1, 4, v0
	v_and_b32_e32 v9, 7, v0
	v_mov_b32_e32 v3, 0
	v_lshlrev_b32_e32 v10, 2, v0
	v_and_b32_e32 v11, 31, v8
	v_lshrrev_b32_e32 v2, 3, v8
	v_lshlrev_b32_e32 v12, 2, v9
	v_lshrrev_b32_e32 v8, 5, v8
	v_add_co_u32 v6, s33, s6, v11
	v_add_co_ci_u32_e64 v7, null, s7, 0, s33
	v_lshlrev_b32_e32 v15, 2, v11
	v_lshl_or_b32 v16, v2, 5, v12
	v_lshlrev_b32_e32 v17, 1, v8
	v_lshl_add_u32 v11, v1, 5, 0x400
	s_waitcnt lgkmcnt(0)
	s_add_u32 s20, s20, s34
	s_addc_u32 s21, s21, s35
	s_add_u32 s26, s26, s34
	s_addc_u32 s27, s27, s35
	v_mad_u64_u32 v[4:5], null, s8, v9, v[2:3]
	s_load_dwordx2 s[26:27], s[26:27], 0x0
	v_mul_lo_u32 v13, s23, v6
	v_mul_lo_u32 v14, s22, v7
	v_mad_u64_u32 v[6:7], null, s22, v6, 0
	v_lshl_or_b32 v12, v8, 7, v15
	v_mov_b32_e32 v2, v5
	s_load_dwordx2 s[20:21], s[20:21], 0x0
	s_lshl_b64 s[10:11], s[10:11], 1
	v_add3_u32 v7, v7, v14, v13
	v_mad_u64_u32 v[8:9], null, s9, v9, v[2:3]
	v_add_nc_u32_e32 v13, 0x400, v16
	v_mov_b32_e32 v9, v3
	v_lshlrev_b64 v[5:6], 1, v[6:7]
	v_add_co_u32 v7, vcc_lo, v4, s30
	v_add_co_ci_u32_e64 v8, null, s31, v8, vcc_lo
	s_waitcnt lgkmcnt(0)
	s_add_u32 s22, s26, s10
	s_addc_u32 s23, s27, s11
	s_lshl_b64 s[10:11], s[24:25], 1
	s_lshl_b64 s[8:9], s[8:9], 4
	v_add_co_u32 v2, vcc_lo, v5, s10
	v_add_co_ci_u32_e64 v6, null, s11, v6, vcc_lo
	v_lshlrev_b64 v[4:5], 1, v[7:8]
	v_add_co_u32 v2, vcc_lo, v2, v17
	v_add_co_ci_u32_e64 v7, null, 0, v6, vcc_lo
	v_mov_b32_e32 v8, v3
	v_add_co_u32 v4, vcc_lo, s22, v4
	v_add_co_ci_u32_e64 v5, null, s23, v5, vcc_lo
	v_add_co_u32 v6, vcc_lo, s20, v2
	v_add_co_ci_u32_e64 v7, null, s21, v7, vcc_lo
	v_mov_b32_e32 v2, v3
	s_mov_b64 s[10:11], 0
.LBB97_2:                               ; =>This Inner Loop Header: Depth=1
	flat_load_ushort v14, v[6:7]
	flat_load_ushort v15, v[4:5]
	s_add_u32 s10, s10, 8
	s_addc_u32 s11, s11, 0
	v_add_co_u32 v4, vcc_lo, v4, s8
	v_cmp_lt_i64_e64 s20, s[10:11], s[28:29]
	v_add_co_ci_u32_e64 v5, null, s9, v5, vcc_lo
	v_add_co_u32 v6, vcc_lo, v6, 16
	v_add_co_ci_u32_e64 v7, null, 0, v7, vcc_lo
	s_and_b32 vcc_lo, exec_lo, s20
	s_waitcnt vmcnt(1) lgkmcnt(1)
	v_cvt_f32_f16_e32 v14, v14
	s_waitcnt vmcnt(0) lgkmcnt(0)
	v_cvt_f32_f16_e32 v15, v15
	ds_write_b32 v12, v14
	ds_write_b32 v13, v15
	s_waitcnt lgkmcnt(0)
	s_barrier
	buffer_gl0_inv
	ds_read_b128 v[14:17], v11
	ds_read2_b32 v[30:31], v10 offset1:16
	ds_read_b128 v[18:21], v11 offset:512
	ds_read2_b32 v[32:33], v10 offset0:32 offset1:48
	ds_read2_b32 v[34:35], v10 offset0:64 offset1:80
	ds_read_b128 v[22:25], v11 offset:16
	ds_read2_b32 v[36:37], v10 offset0:96 offset1:112
	ds_read2_b32 v[38:39], v10 offset0:128 offset1:144
	;; [unrolled: 3-line block ×3, first 2 shown]
	ds_read2_b32 v[44:45], v10 offset0:224 offset1:240
	s_waitcnt lgkmcnt(0)
	s_barrier
	buffer_gl0_inv
	v_fmac_f32_e32 v9, v30, v14
	v_fmac_f32_e32 v8, v31, v14
	;; [unrolled: 1-line block ×32, first 2 shown]
	s_cbranch_vccnz .LBB97_2
.LBB97_3:
	s_load_dword s8, s[4:5], 0x50
	s_lshl_b64 s[10:11], s[2:3], 1
	s_load_dword s2, s[4:5], 0x18
	v_add_co_u32 v4, s4, s30, v1
	v_add_co_ci_u32_e64 v7, null, s31, 0, s4
	v_add_co_u32 v0, s4, s6, v0
	v_add_co_ci_u32_e64 v1, null, s7, 0, s4
	v_mul_lo_u32 v5, v7, s0
	v_mul_lo_u32 v6, v4, s1
	s_waitcnt lgkmcnt(0)
	s_add_u32 s3, s18, s10
	v_lshlrev_b64 v[0:1], 1, v[0:1]
	s_addc_u32 s4, s19, s11
	v_cmp_neq_f32_e64 s5, s8, 0
	s_and_b32 vcc_lo, exec_lo, s5
	s_mov_b32 s5, 0
	s_cbranch_vccnz .LBB97_7
; %bb.4:
	v_mad_u64_u32 v[10:11], null, v4, s0, 0
	s_lshl_b64 s[6:7], s[0:1], 5
	v_fma_mixlo_f16 v14, s2, v9, 0
	v_fma_mixlo_f16 v15, s2, v8, 0
	;; [unrolled: 1-line block ×4, first 2 shown]
	v_add3_u32 v11, v11, v6, v5
	v_lshlrev_b64 v[10:11], 1, v[10:11]
	v_add_co_u32 v10, vcc_lo, s3, v10
	v_add_co_ci_u32_e64 v11, null, s4, v11, vcc_lo
	v_add_co_u32 v12, vcc_lo, v10, s6
	v_add_co_ci_u32_e64 v13, null, s7, v11, vcc_lo
	;; [unrolled: 2-line block ×4, first 2 shown]
	flat_store_short v[10:11], v14
	flat_store_short v[10:11], v15 offset:32
	flat_store_short v[12:13], v16
	flat_store_short v[12:13], v17 offset:32
	s_andn2_b32 vcc_lo, exec_lo, s5
	s_cbranch_vccnz .LBB97_6
.LBB97_5:
	v_mul_lo_u32 v7, v7, s14
	v_mul_lo_u32 v12, v4, s15
	v_mad_u64_u32 v[10:11], null, v4, s14, 0
	s_lshl_b64 s[6:7], s[16:17], 1
	s_add_u32 s5, s12, s6
	s_addc_u32 s6, s13, s7
	v_add3_u32 v11, v11, v12, v7
	v_mad_u64_u32 v[12:13], null, v4, s0, 0
	s_lshl_b64 s[0:1], s[0:1], 5
	v_lshlrev_b64 v[10:11], 1, v[10:11]
	v_add3_u32 v13, v13, v6, v5
	v_add_co_u32 v7, vcc_lo, s5, v10
	v_add_co_ci_u32_e64 v14, null, s6, v11, vcc_lo
	v_lshlrev_b64 v[4:5], 1, v[12:13]
	v_add_co_u32 v10, vcc_lo, v7, v0
	v_add_co_ci_u32_e64 v11, null, v14, v1, vcc_lo
	v_add_co_u32 v12, vcc_lo, s3, v4
	flat_load_ushort v15, v[10:11]
	v_add_co_ci_u32_e64 v13, null, s4, v5, vcc_lo
	v_add_co_u32 v4, vcc_lo, v12, v0
	s_lshl_b64 s[4:5], s[14:15], 5
	v_add_co_ci_u32_e64 v5, null, v13, v1, vcc_lo
	v_add_co_u32 v7, vcc_lo, v7, s4
	s_waitcnt vmcnt(0) lgkmcnt(0)
	v_cvt_f32_f16_e32 v6, v15
	v_mul_f32_e32 v6, s8, v6
	v_fma_mixlo_f16 v6, s2, v9, v6
	v_add_co_ci_u32_e64 v9, null, s5, v14, vcc_lo
	flat_store_short v[4:5], v6
	flat_load_ushort v6, v[10:11] offset:32
	s_waitcnt vmcnt(0) lgkmcnt(0)
	v_cvt_f32_f16_e32 v6, v6
	v_mul_f32_e32 v6, s8, v6
	v_fma_mixlo_f16 v8, s2, v8, v6
	v_add_co_u32 v6, vcc_lo, v7, v0
	v_add_co_ci_u32_e64 v7, null, v9, v1, vcc_lo
	flat_store_short v[4:5], v8 offset:32
	v_add_co_u32 v5, vcc_lo, v12, s0
	flat_load_ushort v4, v[6:7]
	v_add_co_ci_u32_e64 v8, null, s1, v13, vcc_lo
	v_add_co_u32 v0, vcc_lo, v5, v0
	v_add_co_ci_u32_e64 v1, null, v8, v1, vcc_lo
	s_waitcnt vmcnt(0) lgkmcnt(0)
	v_cvt_f32_f16_e32 v4, v4
	v_mul_f32_e32 v4, s8, v4
	v_fma_mixlo_f16 v2, s2, v2, v4
	flat_store_short v[0:1], v2
	flat_load_ushort v2, v[6:7] offset:32
	s_waitcnt vmcnt(0) lgkmcnt(0)
	v_cvt_f32_f16_e32 v2, v2
	v_mul_f32_e32 v2, s8, v2
	v_fma_mixlo_f16 v2, s2, v3, v2
	flat_store_short v[0:1], v2 offset:32
.LBB97_6:
	s_endpgm
.LBB97_7:
	s_branch .LBB97_5
	.section	.rodata,"a",@progbits
	.p2align	6, 0x0
	.amdhsa_kernel _ZN12_GLOBAL__N_127rocblas_gemm_batched_kernelIfLi16ELi16ELi32ELi32ELi8ELi32ELi8ELi8ELi32ELc84ELc84EKPKDF16_S3_KPDF16_EEvlllT_PT11_llS8_llS6_PT12_llPT13_lli
		.amdhsa_group_segment_fixed_size 2048
		.amdhsa_private_segment_fixed_size 0
		.amdhsa_kernarg_size 140
		.amdhsa_user_sgpr_count 6
		.amdhsa_user_sgpr_private_segment_buffer 1
		.amdhsa_user_sgpr_dispatch_ptr 0
		.amdhsa_user_sgpr_queue_ptr 0
		.amdhsa_user_sgpr_kernarg_segment_ptr 1
		.amdhsa_user_sgpr_dispatch_id 0
		.amdhsa_user_sgpr_flat_scratch_init 0
		.amdhsa_user_sgpr_private_segment_size 0
		.amdhsa_wavefront_size32 1
		.amdhsa_uses_dynamic_stack 0
		.amdhsa_system_sgpr_private_segment_wavefront_offset 0
		.amdhsa_system_sgpr_workgroup_id_x 1
		.amdhsa_system_sgpr_workgroup_id_y 1
		.amdhsa_system_sgpr_workgroup_id_z 1
		.amdhsa_system_sgpr_workgroup_info 0
		.amdhsa_system_vgpr_workitem_id 1
		.amdhsa_next_free_vgpr 46
		.amdhsa_next_free_sgpr 36
		.amdhsa_reserve_vcc 1
		.amdhsa_reserve_flat_scratch 0
		.amdhsa_float_round_mode_32 0
		.amdhsa_float_round_mode_16_64 0
		.amdhsa_float_denorm_mode_32 3
		.amdhsa_float_denorm_mode_16_64 3
		.amdhsa_dx10_clamp 1
		.amdhsa_ieee_mode 1
		.amdhsa_fp16_overflow 0
		.amdhsa_workgroup_processor_mode 1
		.amdhsa_memory_ordered 1
		.amdhsa_forward_progress 1
		.amdhsa_shared_vgpr_count 0
		.amdhsa_exception_fp_ieee_invalid_op 0
		.amdhsa_exception_fp_denorm_src 0
		.amdhsa_exception_fp_ieee_div_zero 0
		.amdhsa_exception_fp_ieee_overflow 0
		.amdhsa_exception_fp_ieee_underflow 0
		.amdhsa_exception_fp_ieee_inexact 0
		.amdhsa_exception_int_div_zero 0
	.end_amdhsa_kernel
	.section	.text._ZN12_GLOBAL__N_127rocblas_gemm_batched_kernelIfLi16ELi16ELi32ELi32ELi8ELi32ELi8ELi8ELi32ELc84ELc84EKPKDF16_S3_KPDF16_EEvlllT_PT11_llS8_llS6_PT12_llPT13_lli,"axG",@progbits,_ZN12_GLOBAL__N_127rocblas_gemm_batched_kernelIfLi16ELi16ELi32ELi32ELi8ELi32ELi8ELi8ELi32ELc84ELc84EKPKDF16_S3_KPDF16_EEvlllT_PT11_llS8_llS6_PT12_llPT13_lli,comdat
.Lfunc_end97:
	.size	_ZN12_GLOBAL__N_127rocblas_gemm_batched_kernelIfLi16ELi16ELi32ELi32ELi8ELi32ELi8ELi8ELi32ELc84ELc84EKPKDF16_S3_KPDF16_EEvlllT_PT11_llS8_llS6_PT12_llPT13_lli, .Lfunc_end97-_ZN12_GLOBAL__N_127rocblas_gemm_batched_kernelIfLi16ELi16ELi32ELi32ELi8ELi32ELi8ELi8ELi32ELc84ELc84EKPKDF16_S3_KPDF16_EEvlllT_PT11_llS8_llS6_PT12_llPT13_lli
                                        ; -- End function
	.set _ZN12_GLOBAL__N_127rocblas_gemm_batched_kernelIfLi16ELi16ELi32ELi32ELi8ELi32ELi8ELi8ELi32ELc84ELc84EKPKDF16_S3_KPDF16_EEvlllT_PT11_llS8_llS6_PT12_llPT13_lli.num_vgpr, 46
	.set _ZN12_GLOBAL__N_127rocblas_gemm_batched_kernelIfLi16ELi16ELi32ELi32ELi8ELi32ELi8ELi8ELi32ELc84ELc84EKPKDF16_S3_KPDF16_EEvlllT_PT11_llS8_llS6_PT12_llPT13_lli.num_agpr, 0
	.set _ZN12_GLOBAL__N_127rocblas_gemm_batched_kernelIfLi16ELi16ELi32ELi32ELi8ELi32ELi8ELi8ELi32ELc84ELc84EKPKDF16_S3_KPDF16_EEvlllT_PT11_llS8_llS6_PT12_llPT13_lli.numbered_sgpr, 36
	.set _ZN12_GLOBAL__N_127rocblas_gemm_batched_kernelIfLi16ELi16ELi32ELi32ELi8ELi32ELi8ELi8ELi32ELc84ELc84EKPKDF16_S3_KPDF16_EEvlllT_PT11_llS8_llS6_PT12_llPT13_lli.num_named_barrier, 0
	.set _ZN12_GLOBAL__N_127rocblas_gemm_batched_kernelIfLi16ELi16ELi32ELi32ELi8ELi32ELi8ELi8ELi32ELc84ELc84EKPKDF16_S3_KPDF16_EEvlllT_PT11_llS8_llS6_PT12_llPT13_lli.private_seg_size, 0
	.set _ZN12_GLOBAL__N_127rocblas_gemm_batched_kernelIfLi16ELi16ELi32ELi32ELi8ELi32ELi8ELi8ELi32ELc84ELc84EKPKDF16_S3_KPDF16_EEvlllT_PT11_llS8_llS6_PT12_llPT13_lli.uses_vcc, 1
	.set _ZN12_GLOBAL__N_127rocblas_gemm_batched_kernelIfLi16ELi16ELi32ELi32ELi8ELi32ELi8ELi8ELi32ELc84ELc84EKPKDF16_S3_KPDF16_EEvlllT_PT11_llS8_llS6_PT12_llPT13_lli.uses_flat_scratch, 0
	.set _ZN12_GLOBAL__N_127rocblas_gemm_batched_kernelIfLi16ELi16ELi32ELi32ELi8ELi32ELi8ELi8ELi32ELc84ELc84EKPKDF16_S3_KPDF16_EEvlllT_PT11_llS8_llS6_PT12_llPT13_lli.has_dyn_sized_stack, 0
	.set _ZN12_GLOBAL__N_127rocblas_gemm_batched_kernelIfLi16ELi16ELi32ELi32ELi8ELi32ELi8ELi8ELi32ELc84ELc84EKPKDF16_S3_KPDF16_EEvlllT_PT11_llS8_llS6_PT12_llPT13_lli.has_recursion, 0
	.set _ZN12_GLOBAL__N_127rocblas_gemm_batched_kernelIfLi16ELi16ELi32ELi32ELi8ELi32ELi8ELi8ELi32ELc84ELc84EKPKDF16_S3_KPDF16_EEvlllT_PT11_llS8_llS6_PT12_llPT13_lli.has_indirect_call, 0
	.section	.AMDGPU.csdata,"",@progbits
; Kernel info:
; codeLenInByte = 1460
; TotalNumSgprs: 38
; NumVgprs: 46
; ScratchSize: 0
; MemoryBound: 0
; FloatMode: 240
; IeeeMode: 1
; LDSByteSize: 2048 bytes/workgroup (compile time only)
; SGPRBlocks: 0
; VGPRBlocks: 5
; NumSGPRsForWavesPerEU: 38
; NumVGPRsForWavesPerEU: 46
; Occupancy: 16
; WaveLimiterHint : 1
; COMPUTE_PGM_RSRC2:SCRATCH_EN: 0
; COMPUTE_PGM_RSRC2:USER_SGPR: 6
; COMPUTE_PGM_RSRC2:TRAP_HANDLER: 0
; COMPUTE_PGM_RSRC2:TGID_X_EN: 1
; COMPUTE_PGM_RSRC2:TGID_Y_EN: 1
; COMPUTE_PGM_RSRC2:TGID_Z_EN: 1
; COMPUTE_PGM_RSRC2:TIDIG_COMP_CNT: 1
	.section	.text._ZN12_GLOBAL__N_127rocblas_gemm_batched_kernelIfLi16ELi16ELi32ELi32ELi8ELi32ELi8ELi8ELi32ELc67ELc67EKPKDF16_S3_KPDF16_EEvlllT_PT11_llS8_llS6_PT12_llPT13_lli,"axG",@progbits,_ZN12_GLOBAL__N_127rocblas_gemm_batched_kernelIfLi16ELi16ELi32ELi32ELi8ELi32ELi8ELi8ELi32ELc67ELc67EKPKDF16_S3_KPDF16_EEvlllT_PT11_llS8_llS6_PT12_llPT13_lli,comdat
	.globl	_ZN12_GLOBAL__N_127rocblas_gemm_batched_kernelIfLi16ELi16ELi32ELi32ELi8ELi32ELi8ELi8ELi32ELc67ELc67EKPKDF16_S3_KPDF16_EEvlllT_PT11_llS8_llS6_PT12_llPT13_lli ; -- Begin function _ZN12_GLOBAL__N_127rocblas_gemm_batched_kernelIfLi16ELi16ELi32ELi32ELi8ELi32ELi8ELi8ELi32ELc67ELc67EKPKDF16_S3_KPDF16_EEvlllT_PT11_llS8_llS6_PT12_llPT13_lli
	.p2align	8
	.type	_ZN12_GLOBAL__N_127rocblas_gemm_batched_kernelIfLi16ELi16ELi32ELi32ELi8ELi32ELi8ELi8ELi32ELc67ELc67EKPKDF16_S3_KPDF16_EEvlllT_PT11_llS8_llS6_PT12_llPT13_lli,@function
_ZN12_GLOBAL__N_127rocblas_gemm_batched_kernelIfLi16ELi16ELi32ELi32ELi8ELi32ELi8ELi8ELi32ELc67ELc67EKPKDF16_S3_KPDF16_EEvlllT_PT11_llS8_llS6_PT12_llPT13_lli: ; @_ZN12_GLOBAL__N_127rocblas_gemm_batched_kernelIfLi16ELi16ELi32ELi32ELi8ELi32ELi8ELi8ELi32ELc67ELc67EKPKDF16_S3_KPDF16_EEvlllT_PT11_llS8_llS6_PT12_llPT13_lli
; %bb.0:
	s_clause 0x1
	s_load_dwordx8 s[12:19], s[4:5], 0x58
	s_load_dwordx2 s[28:29], s[4:5], 0x10
	s_mov_b32 s9, 0
	s_load_dwordx4 s[0:3], s[4:5], 0x78
	s_lshl_b64 s[34:35], s[8:9], 3
	s_mov_b32 s10, s7
	v_mov_b32_e32 v9, 0
	v_mov_b32_e32 v8, 0
	;; [unrolled: 1-line block ×4, first 2 shown]
	s_waitcnt lgkmcnt(0)
	s_add_u32 s8, s12, s34
	s_addc_u32 s9, s13, s35
	s_add_u32 s18, s18, s34
	s_addc_u32 s19, s19, s35
	s_load_dwordx2 s[12:13], s[8:9], 0x0
	s_load_dwordx2 s[18:19], s[18:19], 0x0
	v_cmp_lt_i64_e64 s8, s[28:29], 1
	s_ashr_i32 s7, s6, 31
	s_ashr_i32 s11, s10, 31
	s_lshl_b64 s[6:7], s[6:7], 5
	s_lshl_b64 s[30:31], s[10:11], 5
	s_and_b32 vcc_lo, exec_lo, s8
	s_cbranch_vccnz .LBB98_3
; %bb.1:
	s_clause 0x1
	s_load_dwordx8 s[20:27], s[4:5], 0x20
	s_load_dwordx4 s[8:11], s[4:5], 0x40
	v_lshl_add_u32 v8, v1, 4, v0
	v_and_b32_e32 v9, 7, v0
	v_mov_b32_e32 v3, 0
	v_lshlrev_b32_e32 v10, 2, v0
	v_and_b32_e32 v11, 31, v8
	v_lshrrev_b32_e32 v2, 3, v8
	v_lshlrev_b32_e32 v12, 2, v9
	v_lshrrev_b32_e32 v8, 5, v8
	v_add_co_u32 v6, s33, s6, v11
	v_add_co_ci_u32_e64 v7, null, s7, 0, s33
	v_lshlrev_b32_e32 v15, 2, v11
	v_lshl_or_b32 v16, v2, 5, v12
	v_lshlrev_b32_e32 v17, 1, v8
	v_lshl_add_u32 v11, v1, 5, 0x400
	s_waitcnt lgkmcnt(0)
	s_add_u32 s20, s20, s34
	s_addc_u32 s21, s21, s35
	s_add_u32 s26, s26, s34
	s_addc_u32 s27, s27, s35
	v_mad_u64_u32 v[4:5], null, s8, v9, v[2:3]
	s_load_dwordx2 s[26:27], s[26:27], 0x0
	v_mul_lo_u32 v13, s23, v6
	v_mul_lo_u32 v14, s22, v7
	v_mad_u64_u32 v[6:7], null, s22, v6, 0
	v_lshl_or_b32 v12, v8, 7, v15
	v_mov_b32_e32 v2, v5
	s_load_dwordx2 s[20:21], s[20:21], 0x0
	s_lshl_b64 s[10:11], s[10:11], 1
	v_add3_u32 v7, v7, v14, v13
	v_mad_u64_u32 v[8:9], null, s9, v9, v[2:3]
	v_add_nc_u32_e32 v13, 0x400, v16
	v_mov_b32_e32 v9, v3
	v_lshlrev_b64 v[5:6], 1, v[6:7]
	v_add_co_u32 v7, vcc_lo, v4, s30
	v_add_co_ci_u32_e64 v8, null, s31, v8, vcc_lo
	s_waitcnt lgkmcnt(0)
	s_add_u32 s22, s26, s10
	s_addc_u32 s23, s27, s11
	s_lshl_b64 s[10:11], s[24:25], 1
	s_lshl_b64 s[8:9], s[8:9], 4
	v_add_co_u32 v2, vcc_lo, v5, s10
	v_add_co_ci_u32_e64 v6, null, s11, v6, vcc_lo
	v_lshlrev_b64 v[4:5], 1, v[7:8]
	v_add_co_u32 v2, vcc_lo, v2, v17
	v_add_co_ci_u32_e64 v7, null, 0, v6, vcc_lo
	v_mov_b32_e32 v8, v3
	v_add_co_u32 v4, vcc_lo, s22, v4
	v_add_co_ci_u32_e64 v5, null, s23, v5, vcc_lo
	v_add_co_u32 v6, vcc_lo, s20, v2
	v_add_co_ci_u32_e64 v7, null, s21, v7, vcc_lo
	v_mov_b32_e32 v2, v3
	s_mov_b64 s[10:11], 0
.LBB98_2:                               ; =>This Inner Loop Header: Depth=1
	flat_load_ushort v14, v[6:7]
	flat_load_ushort v15, v[4:5]
	s_add_u32 s10, s10, 8
	s_addc_u32 s11, s11, 0
	v_add_co_u32 v4, vcc_lo, v4, s8
	v_cmp_lt_i64_e64 s20, s[10:11], s[28:29]
	v_add_co_ci_u32_e64 v5, null, s9, v5, vcc_lo
	v_add_co_u32 v6, vcc_lo, v6, 16
	v_add_co_ci_u32_e64 v7, null, 0, v7, vcc_lo
	s_and_b32 vcc_lo, exec_lo, s20
	s_waitcnt vmcnt(1) lgkmcnt(1)
	v_cvt_f32_f16_e32 v14, v14
	s_waitcnt vmcnt(0) lgkmcnt(0)
	v_cvt_f32_f16_e32 v15, v15
	ds_write_b32 v12, v14
	ds_write_b32 v13, v15
	s_waitcnt lgkmcnt(0)
	s_barrier
	buffer_gl0_inv
	ds_read_b128 v[14:17], v11
	ds_read2_b32 v[30:31], v10 offset1:16
	ds_read_b128 v[18:21], v11 offset:512
	ds_read2_b32 v[32:33], v10 offset0:32 offset1:48
	ds_read2_b32 v[34:35], v10 offset0:64 offset1:80
	ds_read_b128 v[22:25], v11 offset:16
	ds_read2_b32 v[36:37], v10 offset0:96 offset1:112
	ds_read2_b32 v[38:39], v10 offset0:128 offset1:144
	;; [unrolled: 3-line block ×3, first 2 shown]
	ds_read2_b32 v[44:45], v10 offset0:224 offset1:240
	s_waitcnt lgkmcnt(0)
	s_barrier
	buffer_gl0_inv
	v_fmac_f32_e32 v9, v30, v14
	v_fmac_f32_e32 v8, v31, v14
	;; [unrolled: 1-line block ×32, first 2 shown]
	s_cbranch_vccnz .LBB98_2
.LBB98_3:
	s_load_dword s8, s[4:5], 0x50
	s_lshl_b64 s[10:11], s[2:3], 1
	s_load_dword s2, s[4:5], 0x18
	v_add_co_u32 v4, s4, s30, v1
	v_add_co_ci_u32_e64 v7, null, s31, 0, s4
	v_add_co_u32 v0, s4, s6, v0
	v_add_co_ci_u32_e64 v1, null, s7, 0, s4
	v_mul_lo_u32 v5, v7, s0
	v_mul_lo_u32 v6, v4, s1
	s_waitcnt lgkmcnt(0)
	s_add_u32 s3, s18, s10
	v_lshlrev_b64 v[0:1], 1, v[0:1]
	s_addc_u32 s4, s19, s11
	v_cmp_neq_f32_e64 s5, s8, 0
	s_and_b32 vcc_lo, exec_lo, s5
	s_mov_b32 s5, 0
	s_cbranch_vccnz .LBB98_7
; %bb.4:
	v_mad_u64_u32 v[10:11], null, v4, s0, 0
	s_lshl_b64 s[6:7], s[0:1], 5
	v_fma_mixlo_f16 v14, s2, v9, 0
	v_fma_mixlo_f16 v15, s2, v8, 0
	;; [unrolled: 1-line block ×4, first 2 shown]
	v_add3_u32 v11, v11, v6, v5
	v_lshlrev_b64 v[10:11], 1, v[10:11]
	v_add_co_u32 v10, vcc_lo, s3, v10
	v_add_co_ci_u32_e64 v11, null, s4, v11, vcc_lo
	v_add_co_u32 v12, vcc_lo, v10, s6
	v_add_co_ci_u32_e64 v13, null, s7, v11, vcc_lo
	v_add_co_u32 v10, vcc_lo, v10, v0
	v_add_co_ci_u32_e64 v11, null, v11, v1, vcc_lo
	v_add_co_u32 v12, vcc_lo, v12, v0
	v_add_co_ci_u32_e64 v13, null, v13, v1, vcc_lo
	flat_store_short v[10:11], v14
	flat_store_short v[10:11], v15 offset:32
	flat_store_short v[12:13], v16
	flat_store_short v[12:13], v17 offset:32
	s_andn2_b32 vcc_lo, exec_lo, s5
	s_cbranch_vccnz .LBB98_6
.LBB98_5:
	v_mul_lo_u32 v7, v7, s14
	v_mul_lo_u32 v12, v4, s15
	v_mad_u64_u32 v[10:11], null, v4, s14, 0
	s_lshl_b64 s[6:7], s[16:17], 1
	s_add_u32 s5, s12, s6
	s_addc_u32 s6, s13, s7
	v_add3_u32 v11, v11, v12, v7
	v_mad_u64_u32 v[12:13], null, v4, s0, 0
	s_lshl_b64 s[0:1], s[0:1], 5
	v_lshlrev_b64 v[10:11], 1, v[10:11]
	v_add3_u32 v13, v13, v6, v5
	v_add_co_u32 v7, vcc_lo, s5, v10
	v_add_co_ci_u32_e64 v14, null, s6, v11, vcc_lo
	v_lshlrev_b64 v[4:5], 1, v[12:13]
	v_add_co_u32 v10, vcc_lo, v7, v0
	v_add_co_ci_u32_e64 v11, null, v14, v1, vcc_lo
	v_add_co_u32 v12, vcc_lo, s3, v4
	flat_load_ushort v15, v[10:11]
	v_add_co_ci_u32_e64 v13, null, s4, v5, vcc_lo
	v_add_co_u32 v4, vcc_lo, v12, v0
	s_lshl_b64 s[4:5], s[14:15], 5
	v_add_co_ci_u32_e64 v5, null, v13, v1, vcc_lo
	v_add_co_u32 v7, vcc_lo, v7, s4
	s_waitcnt vmcnt(0) lgkmcnt(0)
	v_cvt_f32_f16_e32 v6, v15
	v_mul_f32_e32 v6, s8, v6
	v_fma_mixlo_f16 v6, s2, v9, v6
	v_add_co_ci_u32_e64 v9, null, s5, v14, vcc_lo
	flat_store_short v[4:5], v6
	flat_load_ushort v6, v[10:11] offset:32
	s_waitcnt vmcnt(0) lgkmcnt(0)
	v_cvt_f32_f16_e32 v6, v6
	v_mul_f32_e32 v6, s8, v6
	v_fma_mixlo_f16 v8, s2, v8, v6
	v_add_co_u32 v6, vcc_lo, v7, v0
	v_add_co_ci_u32_e64 v7, null, v9, v1, vcc_lo
	flat_store_short v[4:5], v8 offset:32
	v_add_co_u32 v5, vcc_lo, v12, s0
	flat_load_ushort v4, v[6:7]
	v_add_co_ci_u32_e64 v8, null, s1, v13, vcc_lo
	v_add_co_u32 v0, vcc_lo, v5, v0
	v_add_co_ci_u32_e64 v1, null, v8, v1, vcc_lo
	s_waitcnt vmcnt(0) lgkmcnt(0)
	v_cvt_f32_f16_e32 v4, v4
	v_mul_f32_e32 v4, s8, v4
	v_fma_mixlo_f16 v2, s2, v2, v4
	flat_store_short v[0:1], v2
	flat_load_ushort v2, v[6:7] offset:32
	s_waitcnt vmcnt(0) lgkmcnt(0)
	v_cvt_f32_f16_e32 v2, v2
	v_mul_f32_e32 v2, s8, v2
	v_fma_mixlo_f16 v2, s2, v3, v2
	flat_store_short v[0:1], v2 offset:32
.LBB98_6:
	s_endpgm
.LBB98_7:
	s_branch .LBB98_5
	.section	.rodata,"a",@progbits
	.p2align	6, 0x0
	.amdhsa_kernel _ZN12_GLOBAL__N_127rocblas_gemm_batched_kernelIfLi16ELi16ELi32ELi32ELi8ELi32ELi8ELi8ELi32ELc67ELc67EKPKDF16_S3_KPDF16_EEvlllT_PT11_llS8_llS6_PT12_llPT13_lli
		.amdhsa_group_segment_fixed_size 2048
		.amdhsa_private_segment_fixed_size 0
		.amdhsa_kernarg_size 140
		.amdhsa_user_sgpr_count 6
		.amdhsa_user_sgpr_private_segment_buffer 1
		.amdhsa_user_sgpr_dispatch_ptr 0
		.amdhsa_user_sgpr_queue_ptr 0
		.amdhsa_user_sgpr_kernarg_segment_ptr 1
		.amdhsa_user_sgpr_dispatch_id 0
		.amdhsa_user_sgpr_flat_scratch_init 0
		.amdhsa_user_sgpr_private_segment_size 0
		.amdhsa_wavefront_size32 1
		.amdhsa_uses_dynamic_stack 0
		.amdhsa_system_sgpr_private_segment_wavefront_offset 0
		.amdhsa_system_sgpr_workgroup_id_x 1
		.amdhsa_system_sgpr_workgroup_id_y 1
		.amdhsa_system_sgpr_workgroup_id_z 1
		.amdhsa_system_sgpr_workgroup_info 0
		.amdhsa_system_vgpr_workitem_id 1
		.amdhsa_next_free_vgpr 46
		.amdhsa_next_free_sgpr 36
		.amdhsa_reserve_vcc 1
		.amdhsa_reserve_flat_scratch 0
		.amdhsa_float_round_mode_32 0
		.amdhsa_float_round_mode_16_64 0
		.amdhsa_float_denorm_mode_32 3
		.amdhsa_float_denorm_mode_16_64 3
		.amdhsa_dx10_clamp 1
		.amdhsa_ieee_mode 1
		.amdhsa_fp16_overflow 0
		.amdhsa_workgroup_processor_mode 1
		.amdhsa_memory_ordered 1
		.amdhsa_forward_progress 1
		.amdhsa_shared_vgpr_count 0
		.amdhsa_exception_fp_ieee_invalid_op 0
		.amdhsa_exception_fp_denorm_src 0
		.amdhsa_exception_fp_ieee_div_zero 0
		.amdhsa_exception_fp_ieee_overflow 0
		.amdhsa_exception_fp_ieee_underflow 0
		.amdhsa_exception_fp_ieee_inexact 0
		.amdhsa_exception_int_div_zero 0
	.end_amdhsa_kernel
	.section	.text._ZN12_GLOBAL__N_127rocblas_gemm_batched_kernelIfLi16ELi16ELi32ELi32ELi8ELi32ELi8ELi8ELi32ELc67ELc67EKPKDF16_S3_KPDF16_EEvlllT_PT11_llS8_llS6_PT12_llPT13_lli,"axG",@progbits,_ZN12_GLOBAL__N_127rocblas_gemm_batched_kernelIfLi16ELi16ELi32ELi32ELi8ELi32ELi8ELi8ELi32ELc67ELc67EKPKDF16_S3_KPDF16_EEvlllT_PT11_llS8_llS6_PT12_llPT13_lli,comdat
.Lfunc_end98:
	.size	_ZN12_GLOBAL__N_127rocblas_gemm_batched_kernelIfLi16ELi16ELi32ELi32ELi8ELi32ELi8ELi8ELi32ELc67ELc67EKPKDF16_S3_KPDF16_EEvlllT_PT11_llS8_llS6_PT12_llPT13_lli, .Lfunc_end98-_ZN12_GLOBAL__N_127rocblas_gemm_batched_kernelIfLi16ELi16ELi32ELi32ELi8ELi32ELi8ELi8ELi32ELc67ELc67EKPKDF16_S3_KPDF16_EEvlllT_PT11_llS8_llS6_PT12_llPT13_lli
                                        ; -- End function
	.set _ZN12_GLOBAL__N_127rocblas_gemm_batched_kernelIfLi16ELi16ELi32ELi32ELi8ELi32ELi8ELi8ELi32ELc67ELc67EKPKDF16_S3_KPDF16_EEvlllT_PT11_llS8_llS6_PT12_llPT13_lli.num_vgpr, 46
	.set _ZN12_GLOBAL__N_127rocblas_gemm_batched_kernelIfLi16ELi16ELi32ELi32ELi8ELi32ELi8ELi8ELi32ELc67ELc67EKPKDF16_S3_KPDF16_EEvlllT_PT11_llS8_llS6_PT12_llPT13_lli.num_agpr, 0
	.set _ZN12_GLOBAL__N_127rocblas_gemm_batched_kernelIfLi16ELi16ELi32ELi32ELi8ELi32ELi8ELi8ELi32ELc67ELc67EKPKDF16_S3_KPDF16_EEvlllT_PT11_llS8_llS6_PT12_llPT13_lli.numbered_sgpr, 36
	.set _ZN12_GLOBAL__N_127rocblas_gemm_batched_kernelIfLi16ELi16ELi32ELi32ELi8ELi32ELi8ELi8ELi32ELc67ELc67EKPKDF16_S3_KPDF16_EEvlllT_PT11_llS8_llS6_PT12_llPT13_lli.num_named_barrier, 0
	.set _ZN12_GLOBAL__N_127rocblas_gemm_batched_kernelIfLi16ELi16ELi32ELi32ELi8ELi32ELi8ELi8ELi32ELc67ELc67EKPKDF16_S3_KPDF16_EEvlllT_PT11_llS8_llS6_PT12_llPT13_lli.private_seg_size, 0
	.set _ZN12_GLOBAL__N_127rocblas_gemm_batched_kernelIfLi16ELi16ELi32ELi32ELi8ELi32ELi8ELi8ELi32ELc67ELc67EKPKDF16_S3_KPDF16_EEvlllT_PT11_llS8_llS6_PT12_llPT13_lli.uses_vcc, 1
	.set _ZN12_GLOBAL__N_127rocblas_gemm_batched_kernelIfLi16ELi16ELi32ELi32ELi8ELi32ELi8ELi8ELi32ELc67ELc67EKPKDF16_S3_KPDF16_EEvlllT_PT11_llS8_llS6_PT12_llPT13_lli.uses_flat_scratch, 0
	.set _ZN12_GLOBAL__N_127rocblas_gemm_batched_kernelIfLi16ELi16ELi32ELi32ELi8ELi32ELi8ELi8ELi32ELc67ELc67EKPKDF16_S3_KPDF16_EEvlllT_PT11_llS8_llS6_PT12_llPT13_lli.has_dyn_sized_stack, 0
	.set _ZN12_GLOBAL__N_127rocblas_gemm_batched_kernelIfLi16ELi16ELi32ELi32ELi8ELi32ELi8ELi8ELi32ELc67ELc67EKPKDF16_S3_KPDF16_EEvlllT_PT11_llS8_llS6_PT12_llPT13_lli.has_recursion, 0
	.set _ZN12_GLOBAL__N_127rocblas_gemm_batched_kernelIfLi16ELi16ELi32ELi32ELi8ELi32ELi8ELi8ELi32ELc67ELc67EKPKDF16_S3_KPDF16_EEvlllT_PT11_llS8_llS6_PT12_llPT13_lli.has_indirect_call, 0
	.section	.AMDGPU.csdata,"",@progbits
; Kernel info:
; codeLenInByte = 1460
; TotalNumSgprs: 38
; NumVgprs: 46
; ScratchSize: 0
; MemoryBound: 0
; FloatMode: 240
; IeeeMode: 1
; LDSByteSize: 2048 bytes/workgroup (compile time only)
; SGPRBlocks: 0
; VGPRBlocks: 5
; NumSGPRsForWavesPerEU: 38
; NumVGPRsForWavesPerEU: 46
; Occupancy: 16
; WaveLimiterHint : 1
; COMPUTE_PGM_RSRC2:SCRATCH_EN: 0
; COMPUTE_PGM_RSRC2:USER_SGPR: 6
; COMPUTE_PGM_RSRC2:TRAP_HANDLER: 0
; COMPUTE_PGM_RSRC2:TGID_X_EN: 1
; COMPUTE_PGM_RSRC2:TGID_Y_EN: 1
; COMPUTE_PGM_RSRC2:TGID_Z_EN: 1
; COMPUTE_PGM_RSRC2:TIDIG_COMP_CNT: 1
	.section	.text._ZN12_GLOBAL__N_127rocblas_gemm_batched_kernelIfLi16ELi16ELi32ELi32ELi8ELi32ELi8ELi8ELi32ELc67ELc78EKPKDF16_S3_KPDF16_EEvlllT_PT11_llS8_llS6_PT12_llPT13_lli,"axG",@progbits,_ZN12_GLOBAL__N_127rocblas_gemm_batched_kernelIfLi16ELi16ELi32ELi32ELi8ELi32ELi8ELi8ELi32ELc67ELc78EKPKDF16_S3_KPDF16_EEvlllT_PT11_llS8_llS6_PT12_llPT13_lli,comdat
	.globl	_ZN12_GLOBAL__N_127rocblas_gemm_batched_kernelIfLi16ELi16ELi32ELi32ELi8ELi32ELi8ELi8ELi32ELc67ELc78EKPKDF16_S3_KPDF16_EEvlllT_PT11_llS8_llS6_PT12_llPT13_lli ; -- Begin function _ZN12_GLOBAL__N_127rocblas_gemm_batched_kernelIfLi16ELi16ELi32ELi32ELi8ELi32ELi8ELi8ELi32ELc67ELc78EKPKDF16_S3_KPDF16_EEvlllT_PT11_llS8_llS6_PT12_llPT13_lli
	.p2align	8
	.type	_ZN12_GLOBAL__N_127rocblas_gemm_batched_kernelIfLi16ELi16ELi32ELi32ELi8ELi32ELi8ELi8ELi32ELc67ELc78EKPKDF16_S3_KPDF16_EEvlllT_PT11_llS8_llS6_PT12_llPT13_lli,@function
_ZN12_GLOBAL__N_127rocblas_gemm_batched_kernelIfLi16ELi16ELi32ELi32ELi8ELi32ELi8ELi8ELi32ELc67ELc78EKPKDF16_S3_KPDF16_EEvlllT_PT11_llS8_llS6_PT12_llPT13_lli: ; @_ZN12_GLOBAL__N_127rocblas_gemm_batched_kernelIfLi16ELi16ELi32ELi32ELi8ELi32ELi8ELi8ELi32ELc67ELc78EKPKDF16_S3_KPDF16_EEvlllT_PT11_llS8_llS6_PT12_llPT13_lli
; %bb.0:
	s_clause 0x1
	s_load_dwordx8 s[12:19], s[4:5], 0x58
	s_load_dwordx2 s[28:29], s[4:5], 0x10
	s_mov_b32 s9, 0
	s_load_dwordx4 s[0:3], s[4:5], 0x78
	s_lshl_b64 s[34:35], s[8:9], 3
	s_mov_b32 s10, s7
	v_mov_b32_e32 v9, 0
	v_mov_b32_e32 v8, 0
	;; [unrolled: 1-line block ×4, first 2 shown]
	s_waitcnt lgkmcnt(0)
	s_add_u32 s8, s12, s34
	s_addc_u32 s9, s13, s35
	s_add_u32 s18, s18, s34
	s_addc_u32 s19, s19, s35
	s_load_dwordx2 s[12:13], s[8:9], 0x0
	s_load_dwordx2 s[18:19], s[18:19], 0x0
	v_cmp_lt_i64_e64 s8, s[28:29], 1
	s_ashr_i32 s7, s6, 31
	s_ashr_i32 s11, s10, 31
	s_lshl_b64 s[6:7], s[6:7], 5
	s_lshl_b64 s[30:31], s[10:11], 5
	s_and_b32 vcc_lo, exec_lo, s8
	s_cbranch_vccnz .LBB99_3
; %bb.1:
	s_clause 0x1
	s_load_dwordx8 s[20:27], s[4:5], 0x20
	s_load_dwordx4 s[8:11], s[4:5], 0x40
	v_lshl_add_u32 v2, v1, 4, v0
	v_and_b32_e32 v7, 7, v0
	v_lshrrev_b32_e32 v6, 3, v2
	v_and_b32_e32 v8, 31, v2
	v_lshrrev_b32_e32 v9, 5, v2
	v_lshlrev_b32_e32 v10, 2, v7
	v_lshlrev_b32_e32 v7, 1, v7
	v_add_co_u32 v2, s33, v6, s30
	v_add_co_ci_u32_e64 v3, null, 0, s31, s33
	v_add_co_u32 v4, s33, s6, v8
	v_add_co_ci_u32_e64 v5, null, s7, 0, s33
	s_waitcnt lgkmcnt(0)
	s_add_u32 s20, s20, s34
	v_mul_lo_u32 v11, s9, v2
	v_mul_lo_u32 v12, s8, v3
	v_mad_u64_u32 v[2:3], null, s8, v2, 0
	v_mul_lo_u32 v13, s23, v4
	v_mul_lo_u32 v14, s22, v5
	v_mad_u64_u32 v[4:5], null, s22, v4, 0
	s_addc_u32 s21, s21, s35
	s_add_u32 s26, s26, s34
	v_add3_u32 v3, v3, v12, v11
	s_addc_u32 s27, s27, s35
	s_load_dwordx2 s[20:21], s[20:21], 0x0
	s_load_dwordx2 s[8:9], s[26:27], 0x0
	v_add3_u32 v5, v5, v14, v13
	v_lshlrev_b64 v[2:3], 1, v[2:3]
	s_lshl_b64 s[10:11], s[10:11], 1
	v_lshlrev_b32_e32 v8, 2, v8
	v_lshl_or_b32 v15, v6, 5, v10
	v_lshlrev_b64 v[4:5], 1, v[4:5]
	v_mov_b32_e32 v6, 0
	v_add_co_u32 v2, vcc_lo, v2, s10
	v_add_co_ci_u32_e64 v3, null, s11, v3, vcc_lo
	s_lshl_b64 s[10:11], s[24:25], 1
	v_lshl_or_b32 v10, v9, 7, v8
	v_add_co_u32 v4, vcc_lo, v4, s10
	v_lshlrev_b32_e32 v8, 1, v9
	v_add_co_ci_u32_e64 v5, null, s11, v5, vcc_lo
	v_add_co_u32 v2, vcc_lo, v2, v7
	v_add_co_ci_u32_e64 v3, null, 0, v3, vcc_lo
	v_add_co_u32 v4, vcc_lo, v4, v8
	v_add_co_ci_u32_e64 v5, null, 0, v5, vcc_lo
	s_waitcnt lgkmcnt(0)
	v_add_co_u32 v2, vcc_lo, s8, v2
	v_add_co_ci_u32_e64 v3, null, s9, v3, vcc_lo
	v_add_co_u32 v4, vcc_lo, s20, v4
	v_add_nc_u32_e32 v11, 0x400, v15
	v_lshlrev_b32_e32 v12, 2, v0
	v_lshl_add_u32 v13, v1, 5, 0x400
	v_add_co_ci_u32_e64 v5, null, s21, v5, vcc_lo
	v_mov_b32_e32 v7, 0
	v_mov_b32_e32 v8, 0
	;; [unrolled: 1-line block ×3, first 2 shown]
	s_mov_b64 s[8:9], 0
.LBB99_2:                               ; =>This Inner Loop Header: Depth=1
	flat_load_ushort v14, v[4:5]
	flat_load_ushort v15, v[2:3]
	s_add_u32 s8, s8, 8
	s_addc_u32 s9, s9, 0
	v_add_co_u32 v2, vcc_lo, v2, 16
	v_cmp_lt_i64_e64 s10, s[8:9], s[28:29]
	v_add_co_ci_u32_e64 v3, null, 0, v3, vcc_lo
	v_add_co_u32 v4, vcc_lo, v4, 16
	v_add_co_ci_u32_e64 v5, null, 0, v5, vcc_lo
	s_and_b32 vcc_lo, exec_lo, s10
	s_waitcnt vmcnt(1) lgkmcnt(1)
	v_cvt_f32_f16_e32 v14, v14
	s_waitcnt vmcnt(0) lgkmcnt(0)
	v_cvt_f32_f16_e32 v15, v15
	ds_write_b32 v10, v14
	ds_write_b32 v11, v15
	s_waitcnt lgkmcnt(0)
	s_barrier
	buffer_gl0_inv
	ds_read_b128 v[14:17], v13
	ds_read2_b32 v[30:31], v12 offset1:16
	ds_read_b128 v[18:21], v13 offset:512
	ds_read2_b32 v[32:33], v12 offset0:32 offset1:48
	ds_read2_b32 v[34:35], v12 offset0:64 offset1:80
	ds_read_b128 v[22:25], v13 offset:16
	ds_read2_b32 v[36:37], v12 offset0:96 offset1:112
	ds_read2_b32 v[38:39], v12 offset0:128 offset1:144
	ds_read_b128 v[26:29], v13 offset:528
	ds_read2_b32 v[40:41], v12 offset0:160 offset1:176
	ds_read2_b32 v[42:43], v12 offset0:192 offset1:208
	ds_read2_b32 v[44:45], v12 offset0:224 offset1:240
	s_waitcnt lgkmcnt(0)
	s_barrier
	buffer_gl0_inv
	v_fmac_f32_e32 v9, v30, v14
	v_fmac_f32_e32 v8, v31, v14
	;; [unrolled: 1-line block ×32, first 2 shown]
	s_cbranch_vccnz .LBB99_2
.LBB99_3:
	s_load_dword s8, s[4:5], 0x50
	s_lshl_b64 s[10:11], s[2:3], 1
	s_load_dword s2, s[4:5], 0x18
	v_add_co_u32 v2, s4, s30, v1
	v_add_co_ci_u32_e64 v5, null, s31, 0, s4
	v_add_co_u32 v0, s4, s6, v0
	v_add_co_ci_u32_e64 v1, null, s7, 0, s4
	v_mul_lo_u32 v3, v5, s0
	v_mul_lo_u32 v4, v2, s1
	s_waitcnt lgkmcnt(0)
	s_add_u32 s3, s18, s10
	v_lshlrev_b64 v[0:1], 1, v[0:1]
	s_addc_u32 s4, s19, s11
	v_cmp_neq_f32_e64 s5, s8, 0
	s_and_b32 vcc_lo, exec_lo, s5
	s_mov_b32 s5, 0
	s_cbranch_vccnz .LBB99_7
; %bb.4:
	v_mad_u64_u32 v[10:11], null, v2, s0, 0
	s_lshl_b64 s[6:7], s[0:1], 5
	v_fma_mixlo_f16 v14, s2, v9, 0
	v_fma_mixlo_f16 v15, s2, v8, 0
	;; [unrolled: 1-line block ×4, first 2 shown]
	v_add3_u32 v11, v11, v4, v3
	v_lshlrev_b64 v[10:11], 1, v[10:11]
	v_add_co_u32 v10, vcc_lo, s3, v10
	v_add_co_ci_u32_e64 v11, null, s4, v11, vcc_lo
	v_add_co_u32 v12, vcc_lo, v10, s6
	v_add_co_ci_u32_e64 v13, null, s7, v11, vcc_lo
	;; [unrolled: 2-line block ×4, first 2 shown]
	flat_store_short v[10:11], v14
	flat_store_short v[10:11], v15 offset:32
	flat_store_short v[12:13], v16
	flat_store_short v[12:13], v17 offset:32
	s_andn2_b32 vcc_lo, exec_lo, s5
	s_cbranch_vccnz .LBB99_6
.LBB99_5:
	v_mul_lo_u32 v5, v5, s14
	v_mul_lo_u32 v12, v2, s15
	v_mad_u64_u32 v[10:11], null, v2, s14, 0
	s_lshl_b64 s[6:7], s[16:17], 1
	s_add_u32 s5, s12, s6
	s_addc_u32 s6, s13, s7
	v_add3_u32 v11, v11, v12, v5
	v_mad_u64_u32 v[12:13], null, v2, s0, 0
	s_lshl_b64 s[0:1], s[0:1], 5
	v_lshlrev_b64 v[10:11], 1, v[10:11]
	v_add3_u32 v13, v13, v4, v3
	v_add_co_u32 v5, vcc_lo, s5, v10
	v_add_co_ci_u32_e64 v14, null, s6, v11, vcc_lo
	v_lshlrev_b64 v[2:3], 1, v[12:13]
	v_add_co_u32 v10, vcc_lo, v5, v0
	v_add_co_ci_u32_e64 v11, null, v14, v1, vcc_lo
	v_add_co_u32 v12, vcc_lo, s3, v2
	flat_load_ushort v15, v[10:11]
	v_add_co_ci_u32_e64 v13, null, s4, v3, vcc_lo
	v_add_co_u32 v2, vcc_lo, v12, v0
	s_lshl_b64 s[4:5], s[14:15], 5
	v_add_co_ci_u32_e64 v3, null, v13, v1, vcc_lo
	v_add_co_u32 v5, vcc_lo, v5, s4
	s_waitcnt vmcnt(0) lgkmcnt(0)
	v_cvt_f32_f16_e32 v4, v15
	v_mul_f32_e32 v4, s8, v4
	v_fma_mixlo_f16 v4, s2, v9, v4
	v_add_co_ci_u32_e64 v9, null, s5, v14, vcc_lo
	flat_store_short v[2:3], v4
	flat_load_ushort v4, v[10:11] offset:32
	s_waitcnt vmcnt(0) lgkmcnt(0)
	v_cvt_f32_f16_e32 v4, v4
	v_mul_f32_e32 v4, s8, v4
	v_fma_mixlo_f16 v8, s2, v8, v4
	v_add_co_u32 v4, vcc_lo, v5, v0
	v_add_co_ci_u32_e64 v5, null, v9, v1, vcc_lo
	flat_store_short v[2:3], v8 offset:32
	v_add_co_u32 v3, vcc_lo, v12, s0
	flat_load_ushort v2, v[4:5]
	v_add_co_ci_u32_e64 v8, null, s1, v13, vcc_lo
	v_add_co_u32 v0, vcc_lo, v3, v0
	v_add_co_ci_u32_e64 v1, null, v8, v1, vcc_lo
	s_waitcnt vmcnt(0) lgkmcnt(0)
	v_cvt_f32_f16_e32 v2, v2
	v_mul_f32_e32 v2, s8, v2
	v_fma_mixlo_f16 v2, s2, v7, v2
	flat_store_short v[0:1], v2
	flat_load_ushort v2, v[4:5] offset:32
	s_waitcnt vmcnt(0) lgkmcnt(0)
	v_cvt_f32_f16_e32 v2, v2
	v_mul_f32_e32 v2, s8, v2
	v_fma_mixlo_f16 v2, s2, v6, v2
	flat_store_short v[0:1], v2 offset:32
.LBB99_6:
	s_endpgm
.LBB99_7:
	s_branch .LBB99_5
	.section	.rodata,"a",@progbits
	.p2align	6, 0x0
	.amdhsa_kernel _ZN12_GLOBAL__N_127rocblas_gemm_batched_kernelIfLi16ELi16ELi32ELi32ELi8ELi32ELi8ELi8ELi32ELc67ELc78EKPKDF16_S3_KPDF16_EEvlllT_PT11_llS8_llS6_PT12_llPT13_lli
		.amdhsa_group_segment_fixed_size 2048
		.amdhsa_private_segment_fixed_size 0
		.amdhsa_kernarg_size 140
		.amdhsa_user_sgpr_count 6
		.amdhsa_user_sgpr_private_segment_buffer 1
		.amdhsa_user_sgpr_dispatch_ptr 0
		.amdhsa_user_sgpr_queue_ptr 0
		.amdhsa_user_sgpr_kernarg_segment_ptr 1
		.amdhsa_user_sgpr_dispatch_id 0
		.amdhsa_user_sgpr_flat_scratch_init 0
		.amdhsa_user_sgpr_private_segment_size 0
		.amdhsa_wavefront_size32 1
		.amdhsa_uses_dynamic_stack 0
		.amdhsa_system_sgpr_private_segment_wavefront_offset 0
		.amdhsa_system_sgpr_workgroup_id_x 1
		.amdhsa_system_sgpr_workgroup_id_y 1
		.amdhsa_system_sgpr_workgroup_id_z 1
		.amdhsa_system_sgpr_workgroup_info 0
		.amdhsa_system_vgpr_workitem_id 1
		.amdhsa_next_free_vgpr 46
		.amdhsa_next_free_sgpr 36
		.amdhsa_reserve_vcc 1
		.amdhsa_reserve_flat_scratch 0
		.amdhsa_float_round_mode_32 0
		.amdhsa_float_round_mode_16_64 0
		.amdhsa_float_denorm_mode_32 3
		.amdhsa_float_denorm_mode_16_64 3
		.amdhsa_dx10_clamp 1
		.amdhsa_ieee_mode 1
		.amdhsa_fp16_overflow 0
		.amdhsa_workgroup_processor_mode 1
		.amdhsa_memory_ordered 1
		.amdhsa_forward_progress 1
		.amdhsa_shared_vgpr_count 0
		.amdhsa_exception_fp_ieee_invalid_op 0
		.amdhsa_exception_fp_denorm_src 0
		.amdhsa_exception_fp_ieee_div_zero 0
		.amdhsa_exception_fp_ieee_overflow 0
		.amdhsa_exception_fp_ieee_underflow 0
		.amdhsa_exception_fp_ieee_inexact 0
		.amdhsa_exception_int_div_zero 0
	.end_amdhsa_kernel
	.section	.text._ZN12_GLOBAL__N_127rocblas_gemm_batched_kernelIfLi16ELi16ELi32ELi32ELi8ELi32ELi8ELi8ELi32ELc67ELc78EKPKDF16_S3_KPDF16_EEvlllT_PT11_llS8_llS6_PT12_llPT13_lli,"axG",@progbits,_ZN12_GLOBAL__N_127rocblas_gemm_batched_kernelIfLi16ELi16ELi32ELi32ELi8ELi32ELi8ELi8ELi32ELc67ELc78EKPKDF16_S3_KPDF16_EEvlllT_PT11_llS8_llS6_PT12_llPT13_lli,comdat
.Lfunc_end99:
	.size	_ZN12_GLOBAL__N_127rocblas_gemm_batched_kernelIfLi16ELi16ELi32ELi32ELi8ELi32ELi8ELi8ELi32ELc67ELc78EKPKDF16_S3_KPDF16_EEvlllT_PT11_llS8_llS6_PT12_llPT13_lli, .Lfunc_end99-_ZN12_GLOBAL__N_127rocblas_gemm_batched_kernelIfLi16ELi16ELi32ELi32ELi8ELi32ELi8ELi8ELi32ELc67ELc78EKPKDF16_S3_KPDF16_EEvlllT_PT11_llS8_llS6_PT12_llPT13_lli
                                        ; -- End function
	.set _ZN12_GLOBAL__N_127rocblas_gemm_batched_kernelIfLi16ELi16ELi32ELi32ELi8ELi32ELi8ELi8ELi32ELc67ELc78EKPKDF16_S3_KPDF16_EEvlllT_PT11_llS8_llS6_PT12_llPT13_lli.num_vgpr, 46
	.set _ZN12_GLOBAL__N_127rocblas_gemm_batched_kernelIfLi16ELi16ELi32ELi32ELi8ELi32ELi8ELi8ELi32ELc67ELc78EKPKDF16_S3_KPDF16_EEvlllT_PT11_llS8_llS6_PT12_llPT13_lli.num_agpr, 0
	.set _ZN12_GLOBAL__N_127rocblas_gemm_batched_kernelIfLi16ELi16ELi32ELi32ELi8ELi32ELi8ELi8ELi32ELc67ELc78EKPKDF16_S3_KPDF16_EEvlllT_PT11_llS8_llS6_PT12_llPT13_lli.numbered_sgpr, 36
	.set _ZN12_GLOBAL__N_127rocblas_gemm_batched_kernelIfLi16ELi16ELi32ELi32ELi8ELi32ELi8ELi8ELi32ELc67ELc78EKPKDF16_S3_KPDF16_EEvlllT_PT11_llS8_llS6_PT12_llPT13_lli.num_named_barrier, 0
	.set _ZN12_GLOBAL__N_127rocblas_gemm_batched_kernelIfLi16ELi16ELi32ELi32ELi8ELi32ELi8ELi8ELi32ELc67ELc78EKPKDF16_S3_KPDF16_EEvlllT_PT11_llS8_llS6_PT12_llPT13_lli.private_seg_size, 0
	.set _ZN12_GLOBAL__N_127rocblas_gemm_batched_kernelIfLi16ELi16ELi32ELi32ELi8ELi32ELi8ELi8ELi32ELc67ELc78EKPKDF16_S3_KPDF16_EEvlllT_PT11_llS8_llS6_PT12_llPT13_lli.uses_vcc, 1
	.set _ZN12_GLOBAL__N_127rocblas_gemm_batched_kernelIfLi16ELi16ELi32ELi32ELi8ELi32ELi8ELi8ELi32ELc67ELc78EKPKDF16_S3_KPDF16_EEvlllT_PT11_llS8_llS6_PT12_llPT13_lli.uses_flat_scratch, 0
	.set _ZN12_GLOBAL__N_127rocblas_gemm_batched_kernelIfLi16ELi16ELi32ELi32ELi8ELi32ELi8ELi8ELi32ELc67ELc78EKPKDF16_S3_KPDF16_EEvlllT_PT11_llS8_llS6_PT12_llPT13_lli.has_dyn_sized_stack, 0
	.set _ZN12_GLOBAL__N_127rocblas_gemm_batched_kernelIfLi16ELi16ELi32ELi32ELi8ELi32ELi8ELi8ELi32ELc67ELc78EKPKDF16_S3_KPDF16_EEvlllT_PT11_llS8_llS6_PT12_llPT13_lli.has_recursion, 0
	.set _ZN12_GLOBAL__N_127rocblas_gemm_batched_kernelIfLi16ELi16ELi32ELi32ELi8ELi32ELi8ELi8ELi32ELc67ELc78EKPKDF16_S3_KPDF16_EEvlllT_PT11_llS8_llS6_PT12_llPT13_lli.has_indirect_call, 0
	.section	.AMDGPU.csdata,"",@progbits
; Kernel info:
; codeLenInByte = 1496
; TotalNumSgprs: 38
; NumVgprs: 46
; ScratchSize: 0
; MemoryBound: 0
; FloatMode: 240
; IeeeMode: 1
; LDSByteSize: 2048 bytes/workgroup (compile time only)
; SGPRBlocks: 0
; VGPRBlocks: 5
; NumSGPRsForWavesPerEU: 38
; NumVGPRsForWavesPerEU: 46
; Occupancy: 16
; WaveLimiterHint : 1
; COMPUTE_PGM_RSRC2:SCRATCH_EN: 0
; COMPUTE_PGM_RSRC2:USER_SGPR: 6
; COMPUTE_PGM_RSRC2:TRAP_HANDLER: 0
; COMPUTE_PGM_RSRC2:TGID_X_EN: 1
; COMPUTE_PGM_RSRC2:TGID_Y_EN: 1
; COMPUTE_PGM_RSRC2:TGID_Z_EN: 1
; COMPUTE_PGM_RSRC2:TIDIG_COMP_CNT: 1
	.section	.text._ZN12_GLOBAL__N_127rocblas_gemm_batched_kernelIfLi16ELi16ELi32ELi32ELi8ELi32ELi8ELi8ELi32ELc67ELc84EKPKDF16_S3_KPDF16_EEvlllT_PT11_llS8_llS6_PT12_llPT13_lli,"axG",@progbits,_ZN12_GLOBAL__N_127rocblas_gemm_batched_kernelIfLi16ELi16ELi32ELi32ELi8ELi32ELi8ELi8ELi32ELc67ELc84EKPKDF16_S3_KPDF16_EEvlllT_PT11_llS8_llS6_PT12_llPT13_lli,comdat
	.globl	_ZN12_GLOBAL__N_127rocblas_gemm_batched_kernelIfLi16ELi16ELi32ELi32ELi8ELi32ELi8ELi8ELi32ELc67ELc84EKPKDF16_S3_KPDF16_EEvlllT_PT11_llS8_llS6_PT12_llPT13_lli ; -- Begin function _ZN12_GLOBAL__N_127rocblas_gemm_batched_kernelIfLi16ELi16ELi32ELi32ELi8ELi32ELi8ELi8ELi32ELc67ELc84EKPKDF16_S3_KPDF16_EEvlllT_PT11_llS8_llS6_PT12_llPT13_lli
	.p2align	8
	.type	_ZN12_GLOBAL__N_127rocblas_gemm_batched_kernelIfLi16ELi16ELi32ELi32ELi8ELi32ELi8ELi8ELi32ELc67ELc84EKPKDF16_S3_KPDF16_EEvlllT_PT11_llS8_llS6_PT12_llPT13_lli,@function
_ZN12_GLOBAL__N_127rocblas_gemm_batched_kernelIfLi16ELi16ELi32ELi32ELi8ELi32ELi8ELi8ELi32ELc67ELc84EKPKDF16_S3_KPDF16_EEvlllT_PT11_llS8_llS6_PT12_llPT13_lli: ; @_ZN12_GLOBAL__N_127rocblas_gemm_batched_kernelIfLi16ELi16ELi32ELi32ELi8ELi32ELi8ELi8ELi32ELc67ELc84EKPKDF16_S3_KPDF16_EEvlllT_PT11_llS8_llS6_PT12_llPT13_lli
; %bb.0:
	s_clause 0x1
	s_load_dwordx8 s[12:19], s[4:5], 0x58
	s_load_dwordx2 s[28:29], s[4:5], 0x10
	s_mov_b32 s9, 0
	s_load_dwordx4 s[0:3], s[4:5], 0x78
	s_lshl_b64 s[34:35], s[8:9], 3
	s_mov_b32 s10, s7
	v_mov_b32_e32 v9, 0
	v_mov_b32_e32 v8, 0
	;; [unrolled: 1-line block ×4, first 2 shown]
	s_waitcnt lgkmcnt(0)
	s_add_u32 s8, s12, s34
	s_addc_u32 s9, s13, s35
	s_add_u32 s18, s18, s34
	s_addc_u32 s19, s19, s35
	s_load_dwordx2 s[12:13], s[8:9], 0x0
	s_load_dwordx2 s[18:19], s[18:19], 0x0
	v_cmp_lt_i64_e64 s8, s[28:29], 1
	s_ashr_i32 s7, s6, 31
	s_ashr_i32 s11, s10, 31
	s_lshl_b64 s[6:7], s[6:7], 5
	s_lshl_b64 s[30:31], s[10:11], 5
	s_and_b32 vcc_lo, exec_lo, s8
	s_cbranch_vccnz .LBB100_3
; %bb.1:
	s_clause 0x1
	s_load_dwordx8 s[20:27], s[4:5], 0x20
	s_load_dwordx4 s[8:11], s[4:5], 0x40
	v_lshl_add_u32 v8, v1, 4, v0
	v_and_b32_e32 v9, 7, v0
	v_mov_b32_e32 v3, 0
	v_lshlrev_b32_e32 v10, 2, v0
	v_and_b32_e32 v11, 31, v8
	v_lshrrev_b32_e32 v2, 3, v8
	v_lshlrev_b32_e32 v12, 2, v9
	v_lshrrev_b32_e32 v8, 5, v8
	v_add_co_u32 v6, s33, s6, v11
	v_add_co_ci_u32_e64 v7, null, s7, 0, s33
	v_lshlrev_b32_e32 v15, 2, v11
	v_lshl_or_b32 v16, v2, 5, v12
	v_lshlrev_b32_e32 v17, 1, v8
	v_lshl_add_u32 v11, v1, 5, 0x400
	s_waitcnt lgkmcnt(0)
	s_add_u32 s20, s20, s34
	s_addc_u32 s21, s21, s35
	s_add_u32 s26, s26, s34
	s_addc_u32 s27, s27, s35
	v_mad_u64_u32 v[4:5], null, s8, v9, v[2:3]
	s_load_dwordx2 s[26:27], s[26:27], 0x0
	v_mul_lo_u32 v13, s23, v6
	v_mul_lo_u32 v14, s22, v7
	v_mad_u64_u32 v[6:7], null, s22, v6, 0
	v_lshl_or_b32 v12, v8, 7, v15
	v_mov_b32_e32 v2, v5
	s_load_dwordx2 s[20:21], s[20:21], 0x0
	s_lshl_b64 s[10:11], s[10:11], 1
	v_add3_u32 v7, v7, v14, v13
	v_mad_u64_u32 v[8:9], null, s9, v9, v[2:3]
	v_add_nc_u32_e32 v13, 0x400, v16
	v_mov_b32_e32 v9, v3
	v_lshlrev_b64 v[5:6], 1, v[6:7]
	v_add_co_u32 v7, vcc_lo, v4, s30
	v_add_co_ci_u32_e64 v8, null, s31, v8, vcc_lo
	s_waitcnt lgkmcnt(0)
	s_add_u32 s22, s26, s10
	s_addc_u32 s23, s27, s11
	s_lshl_b64 s[10:11], s[24:25], 1
	s_lshl_b64 s[8:9], s[8:9], 4
	v_add_co_u32 v2, vcc_lo, v5, s10
	v_add_co_ci_u32_e64 v6, null, s11, v6, vcc_lo
	v_lshlrev_b64 v[4:5], 1, v[7:8]
	v_add_co_u32 v2, vcc_lo, v2, v17
	v_add_co_ci_u32_e64 v7, null, 0, v6, vcc_lo
	v_mov_b32_e32 v8, v3
	v_add_co_u32 v4, vcc_lo, s22, v4
	v_add_co_ci_u32_e64 v5, null, s23, v5, vcc_lo
	v_add_co_u32 v6, vcc_lo, s20, v2
	v_add_co_ci_u32_e64 v7, null, s21, v7, vcc_lo
	v_mov_b32_e32 v2, v3
	s_mov_b64 s[10:11], 0
.LBB100_2:                              ; =>This Inner Loop Header: Depth=1
	flat_load_ushort v14, v[6:7]
	flat_load_ushort v15, v[4:5]
	s_add_u32 s10, s10, 8
	s_addc_u32 s11, s11, 0
	v_add_co_u32 v4, vcc_lo, v4, s8
	v_cmp_lt_i64_e64 s20, s[10:11], s[28:29]
	v_add_co_ci_u32_e64 v5, null, s9, v5, vcc_lo
	v_add_co_u32 v6, vcc_lo, v6, 16
	v_add_co_ci_u32_e64 v7, null, 0, v7, vcc_lo
	s_and_b32 vcc_lo, exec_lo, s20
	s_waitcnt vmcnt(1) lgkmcnt(1)
	v_cvt_f32_f16_e32 v14, v14
	s_waitcnt vmcnt(0) lgkmcnt(0)
	v_cvt_f32_f16_e32 v15, v15
	ds_write_b32 v12, v14
	ds_write_b32 v13, v15
	s_waitcnt lgkmcnt(0)
	s_barrier
	buffer_gl0_inv
	ds_read_b128 v[14:17], v11
	ds_read2_b32 v[30:31], v10 offset1:16
	ds_read_b128 v[18:21], v11 offset:512
	ds_read2_b32 v[32:33], v10 offset0:32 offset1:48
	ds_read2_b32 v[34:35], v10 offset0:64 offset1:80
	ds_read_b128 v[22:25], v11 offset:16
	ds_read2_b32 v[36:37], v10 offset0:96 offset1:112
	ds_read2_b32 v[38:39], v10 offset0:128 offset1:144
	;; [unrolled: 3-line block ×3, first 2 shown]
	ds_read2_b32 v[44:45], v10 offset0:224 offset1:240
	s_waitcnt lgkmcnt(0)
	s_barrier
	buffer_gl0_inv
	v_fmac_f32_e32 v9, v30, v14
	v_fmac_f32_e32 v8, v31, v14
	;; [unrolled: 1-line block ×32, first 2 shown]
	s_cbranch_vccnz .LBB100_2
.LBB100_3:
	s_load_dword s8, s[4:5], 0x50
	s_lshl_b64 s[10:11], s[2:3], 1
	s_load_dword s2, s[4:5], 0x18
	v_add_co_u32 v4, s4, s30, v1
	v_add_co_ci_u32_e64 v7, null, s31, 0, s4
	v_add_co_u32 v0, s4, s6, v0
	v_add_co_ci_u32_e64 v1, null, s7, 0, s4
	v_mul_lo_u32 v5, v7, s0
	v_mul_lo_u32 v6, v4, s1
	s_waitcnt lgkmcnt(0)
	s_add_u32 s3, s18, s10
	v_lshlrev_b64 v[0:1], 1, v[0:1]
	s_addc_u32 s4, s19, s11
	v_cmp_neq_f32_e64 s5, s8, 0
	s_and_b32 vcc_lo, exec_lo, s5
	s_mov_b32 s5, 0
	s_cbranch_vccnz .LBB100_7
; %bb.4:
	v_mad_u64_u32 v[10:11], null, v4, s0, 0
	s_lshl_b64 s[6:7], s[0:1], 5
	v_fma_mixlo_f16 v14, s2, v9, 0
	v_fma_mixlo_f16 v15, s2, v8, 0
	;; [unrolled: 1-line block ×4, first 2 shown]
	v_add3_u32 v11, v11, v6, v5
	v_lshlrev_b64 v[10:11], 1, v[10:11]
	v_add_co_u32 v10, vcc_lo, s3, v10
	v_add_co_ci_u32_e64 v11, null, s4, v11, vcc_lo
	v_add_co_u32 v12, vcc_lo, v10, s6
	v_add_co_ci_u32_e64 v13, null, s7, v11, vcc_lo
	;; [unrolled: 2-line block ×4, first 2 shown]
	flat_store_short v[10:11], v14
	flat_store_short v[10:11], v15 offset:32
	flat_store_short v[12:13], v16
	flat_store_short v[12:13], v17 offset:32
	s_andn2_b32 vcc_lo, exec_lo, s5
	s_cbranch_vccnz .LBB100_6
.LBB100_5:
	v_mul_lo_u32 v7, v7, s14
	v_mul_lo_u32 v12, v4, s15
	v_mad_u64_u32 v[10:11], null, v4, s14, 0
	s_lshl_b64 s[6:7], s[16:17], 1
	s_add_u32 s5, s12, s6
	s_addc_u32 s6, s13, s7
	v_add3_u32 v11, v11, v12, v7
	v_mad_u64_u32 v[12:13], null, v4, s0, 0
	s_lshl_b64 s[0:1], s[0:1], 5
	v_lshlrev_b64 v[10:11], 1, v[10:11]
	v_add3_u32 v13, v13, v6, v5
	v_add_co_u32 v7, vcc_lo, s5, v10
	v_add_co_ci_u32_e64 v14, null, s6, v11, vcc_lo
	v_lshlrev_b64 v[4:5], 1, v[12:13]
	v_add_co_u32 v10, vcc_lo, v7, v0
	v_add_co_ci_u32_e64 v11, null, v14, v1, vcc_lo
	v_add_co_u32 v12, vcc_lo, s3, v4
	flat_load_ushort v15, v[10:11]
	v_add_co_ci_u32_e64 v13, null, s4, v5, vcc_lo
	v_add_co_u32 v4, vcc_lo, v12, v0
	s_lshl_b64 s[4:5], s[14:15], 5
	v_add_co_ci_u32_e64 v5, null, v13, v1, vcc_lo
	v_add_co_u32 v7, vcc_lo, v7, s4
	s_waitcnt vmcnt(0) lgkmcnt(0)
	v_cvt_f32_f16_e32 v6, v15
	v_mul_f32_e32 v6, s8, v6
	v_fma_mixlo_f16 v6, s2, v9, v6
	v_add_co_ci_u32_e64 v9, null, s5, v14, vcc_lo
	flat_store_short v[4:5], v6
	flat_load_ushort v6, v[10:11] offset:32
	s_waitcnt vmcnt(0) lgkmcnt(0)
	v_cvt_f32_f16_e32 v6, v6
	v_mul_f32_e32 v6, s8, v6
	v_fma_mixlo_f16 v8, s2, v8, v6
	v_add_co_u32 v6, vcc_lo, v7, v0
	v_add_co_ci_u32_e64 v7, null, v9, v1, vcc_lo
	flat_store_short v[4:5], v8 offset:32
	v_add_co_u32 v5, vcc_lo, v12, s0
	flat_load_ushort v4, v[6:7]
	v_add_co_ci_u32_e64 v8, null, s1, v13, vcc_lo
	v_add_co_u32 v0, vcc_lo, v5, v0
	v_add_co_ci_u32_e64 v1, null, v8, v1, vcc_lo
	s_waitcnt vmcnt(0) lgkmcnt(0)
	v_cvt_f32_f16_e32 v4, v4
	v_mul_f32_e32 v4, s8, v4
	v_fma_mixlo_f16 v2, s2, v2, v4
	flat_store_short v[0:1], v2
	flat_load_ushort v2, v[6:7] offset:32
	s_waitcnt vmcnt(0) lgkmcnt(0)
	v_cvt_f32_f16_e32 v2, v2
	v_mul_f32_e32 v2, s8, v2
	v_fma_mixlo_f16 v2, s2, v3, v2
	flat_store_short v[0:1], v2 offset:32
.LBB100_6:
	s_endpgm
.LBB100_7:
	s_branch .LBB100_5
	.section	.rodata,"a",@progbits
	.p2align	6, 0x0
	.amdhsa_kernel _ZN12_GLOBAL__N_127rocblas_gemm_batched_kernelIfLi16ELi16ELi32ELi32ELi8ELi32ELi8ELi8ELi32ELc67ELc84EKPKDF16_S3_KPDF16_EEvlllT_PT11_llS8_llS6_PT12_llPT13_lli
		.amdhsa_group_segment_fixed_size 2048
		.amdhsa_private_segment_fixed_size 0
		.amdhsa_kernarg_size 140
		.amdhsa_user_sgpr_count 6
		.amdhsa_user_sgpr_private_segment_buffer 1
		.amdhsa_user_sgpr_dispatch_ptr 0
		.amdhsa_user_sgpr_queue_ptr 0
		.amdhsa_user_sgpr_kernarg_segment_ptr 1
		.amdhsa_user_sgpr_dispatch_id 0
		.amdhsa_user_sgpr_flat_scratch_init 0
		.amdhsa_user_sgpr_private_segment_size 0
		.amdhsa_wavefront_size32 1
		.amdhsa_uses_dynamic_stack 0
		.amdhsa_system_sgpr_private_segment_wavefront_offset 0
		.amdhsa_system_sgpr_workgroup_id_x 1
		.amdhsa_system_sgpr_workgroup_id_y 1
		.amdhsa_system_sgpr_workgroup_id_z 1
		.amdhsa_system_sgpr_workgroup_info 0
		.amdhsa_system_vgpr_workitem_id 1
		.amdhsa_next_free_vgpr 46
		.amdhsa_next_free_sgpr 36
		.amdhsa_reserve_vcc 1
		.amdhsa_reserve_flat_scratch 0
		.amdhsa_float_round_mode_32 0
		.amdhsa_float_round_mode_16_64 0
		.amdhsa_float_denorm_mode_32 3
		.amdhsa_float_denorm_mode_16_64 3
		.amdhsa_dx10_clamp 1
		.amdhsa_ieee_mode 1
		.amdhsa_fp16_overflow 0
		.amdhsa_workgroup_processor_mode 1
		.amdhsa_memory_ordered 1
		.amdhsa_forward_progress 1
		.amdhsa_shared_vgpr_count 0
		.amdhsa_exception_fp_ieee_invalid_op 0
		.amdhsa_exception_fp_denorm_src 0
		.amdhsa_exception_fp_ieee_div_zero 0
		.amdhsa_exception_fp_ieee_overflow 0
		.amdhsa_exception_fp_ieee_underflow 0
		.amdhsa_exception_fp_ieee_inexact 0
		.amdhsa_exception_int_div_zero 0
	.end_amdhsa_kernel
	.section	.text._ZN12_GLOBAL__N_127rocblas_gemm_batched_kernelIfLi16ELi16ELi32ELi32ELi8ELi32ELi8ELi8ELi32ELc67ELc84EKPKDF16_S3_KPDF16_EEvlllT_PT11_llS8_llS6_PT12_llPT13_lli,"axG",@progbits,_ZN12_GLOBAL__N_127rocblas_gemm_batched_kernelIfLi16ELi16ELi32ELi32ELi8ELi32ELi8ELi8ELi32ELc67ELc84EKPKDF16_S3_KPDF16_EEvlllT_PT11_llS8_llS6_PT12_llPT13_lli,comdat
.Lfunc_end100:
	.size	_ZN12_GLOBAL__N_127rocblas_gemm_batched_kernelIfLi16ELi16ELi32ELi32ELi8ELi32ELi8ELi8ELi32ELc67ELc84EKPKDF16_S3_KPDF16_EEvlllT_PT11_llS8_llS6_PT12_llPT13_lli, .Lfunc_end100-_ZN12_GLOBAL__N_127rocblas_gemm_batched_kernelIfLi16ELi16ELi32ELi32ELi8ELi32ELi8ELi8ELi32ELc67ELc84EKPKDF16_S3_KPDF16_EEvlllT_PT11_llS8_llS6_PT12_llPT13_lli
                                        ; -- End function
	.set _ZN12_GLOBAL__N_127rocblas_gemm_batched_kernelIfLi16ELi16ELi32ELi32ELi8ELi32ELi8ELi8ELi32ELc67ELc84EKPKDF16_S3_KPDF16_EEvlllT_PT11_llS8_llS6_PT12_llPT13_lli.num_vgpr, 46
	.set _ZN12_GLOBAL__N_127rocblas_gemm_batched_kernelIfLi16ELi16ELi32ELi32ELi8ELi32ELi8ELi8ELi32ELc67ELc84EKPKDF16_S3_KPDF16_EEvlllT_PT11_llS8_llS6_PT12_llPT13_lli.num_agpr, 0
	.set _ZN12_GLOBAL__N_127rocblas_gemm_batched_kernelIfLi16ELi16ELi32ELi32ELi8ELi32ELi8ELi8ELi32ELc67ELc84EKPKDF16_S3_KPDF16_EEvlllT_PT11_llS8_llS6_PT12_llPT13_lli.numbered_sgpr, 36
	.set _ZN12_GLOBAL__N_127rocblas_gemm_batched_kernelIfLi16ELi16ELi32ELi32ELi8ELi32ELi8ELi8ELi32ELc67ELc84EKPKDF16_S3_KPDF16_EEvlllT_PT11_llS8_llS6_PT12_llPT13_lli.num_named_barrier, 0
	.set _ZN12_GLOBAL__N_127rocblas_gemm_batched_kernelIfLi16ELi16ELi32ELi32ELi8ELi32ELi8ELi8ELi32ELc67ELc84EKPKDF16_S3_KPDF16_EEvlllT_PT11_llS8_llS6_PT12_llPT13_lli.private_seg_size, 0
	.set _ZN12_GLOBAL__N_127rocblas_gemm_batched_kernelIfLi16ELi16ELi32ELi32ELi8ELi32ELi8ELi8ELi32ELc67ELc84EKPKDF16_S3_KPDF16_EEvlllT_PT11_llS8_llS6_PT12_llPT13_lli.uses_vcc, 1
	.set _ZN12_GLOBAL__N_127rocblas_gemm_batched_kernelIfLi16ELi16ELi32ELi32ELi8ELi32ELi8ELi8ELi32ELc67ELc84EKPKDF16_S3_KPDF16_EEvlllT_PT11_llS8_llS6_PT12_llPT13_lli.uses_flat_scratch, 0
	.set _ZN12_GLOBAL__N_127rocblas_gemm_batched_kernelIfLi16ELi16ELi32ELi32ELi8ELi32ELi8ELi8ELi32ELc67ELc84EKPKDF16_S3_KPDF16_EEvlllT_PT11_llS8_llS6_PT12_llPT13_lli.has_dyn_sized_stack, 0
	.set _ZN12_GLOBAL__N_127rocblas_gemm_batched_kernelIfLi16ELi16ELi32ELi32ELi8ELi32ELi8ELi8ELi32ELc67ELc84EKPKDF16_S3_KPDF16_EEvlllT_PT11_llS8_llS6_PT12_llPT13_lli.has_recursion, 0
	.set _ZN12_GLOBAL__N_127rocblas_gemm_batched_kernelIfLi16ELi16ELi32ELi32ELi8ELi32ELi8ELi8ELi32ELc67ELc84EKPKDF16_S3_KPDF16_EEvlllT_PT11_llS8_llS6_PT12_llPT13_lli.has_indirect_call, 0
	.section	.AMDGPU.csdata,"",@progbits
; Kernel info:
; codeLenInByte = 1460
; TotalNumSgprs: 38
; NumVgprs: 46
; ScratchSize: 0
; MemoryBound: 0
; FloatMode: 240
; IeeeMode: 1
; LDSByteSize: 2048 bytes/workgroup (compile time only)
; SGPRBlocks: 0
; VGPRBlocks: 5
; NumSGPRsForWavesPerEU: 38
; NumVGPRsForWavesPerEU: 46
; Occupancy: 16
; WaveLimiterHint : 1
; COMPUTE_PGM_RSRC2:SCRATCH_EN: 0
; COMPUTE_PGM_RSRC2:USER_SGPR: 6
; COMPUTE_PGM_RSRC2:TRAP_HANDLER: 0
; COMPUTE_PGM_RSRC2:TGID_X_EN: 1
; COMPUTE_PGM_RSRC2:TGID_Y_EN: 1
; COMPUTE_PGM_RSRC2:TGID_Z_EN: 1
; COMPUTE_PGM_RSRC2:TIDIG_COMP_CNT: 1
	.section	.text._ZN12_GLOBAL__N_127rocblas_gemm_batched_kernelIfLi16ELi16ELi32ELi32ELi8ELi32ELi8ELi8ELi32ELc78ELc67EKPKDF16_S3_KPDF16_EEvlllT_PT11_llS8_llS6_PT12_llPT13_lli,"axG",@progbits,_ZN12_GLOBAL__N_127rocblas_gemm_batched_kernelIfLi16ELi16ELi32ELi32ELi8ELi32ELi8ELi8ELi32ELc78ELc67EKPKDF16_S3_KPDF16_EEvlllT_PT11_llS8_llS6_PT12_llPT13_lli,comdat
	.globl	_ZN12_GLOBAL__N_127rocblas_gemm_batched_kernelIfLi16ELi16ELi32ELi32ELi8ELi32ELi8ELi8ELi32ELc78ELc67EKPKDF16_S3_KPDF16_EEvlllT_PT11_llS8_llS6_PT12_llPT13_lli ; -- Begin function _ZN12_GLOBAL__N_127rocblas_gemm_batched_kernelIfLi16ELi16ELi32ELi32ELi8ELi32ELi8ELi8ELi32ELc78ELc67EKPKDF16_S3_KPDF16_EEvlllT_PT11_llS8_llS6_PT12_llPT13_lli
	.p2align	8
	.type	_ZN12_GLOBAL__N_127rocblas_gemm_batched_kernelIfLi16ELi16ELi32ELi32ELi8ELi32ELi8ELi8ELi32ELc78ELc67EKPKDF16_S3_KPDF16_EEvlllT_PT11_llS8_llS6_PT12_llPT13_lli,@function
_ZN12_GLOBAL__N_127rocblas_gemm_batched_kernelIfLi16ELi16ELi32ELi32ELi8ELi32ELi8ELi8ELi32ELc78ELc67EKPKDF16_S3_KPDF16_EEvlllT_PT11_llS8_llS6_PT12_llPT13_lli: ; @_ZN12_GLOBAL__N_127rocblas_gemm_batched_kernelIfLi16ELi16ELi32ELi32ELi8ELi32ELi8ELi8ELi32ELc78ELc67EKPKDF16_S3_KPDF16_EEvlllT_PT11_llS8_llS6_PT12_llPT13_lli
; %bb.0:
	s_clause 0x1
	s_load_dwordx8 s[12:19], s[4:5], 0x58
	s_load_dwordx2 s[28:29], s[4:5], 0x10
	s_mov_b32 s9, 0
	s_load_dwordx4 s[0:3], s[4:5], 0x78
	s_lshl_b64 s[34:35], s[8:9], 3
	s_mov_b32 s10, s7
	v_mov_b32_e32 v9, 0
	v_mov_b32_e32 v8, 0
	;; [unrolled: 1-line block ×4, first 2 shown]
	s_waitcnt lgkmcnt(0)
	s_add_u32 s8, s12, s34
	s_addc_u32 s9, s13, s35
	s_add_u32 s18, s18, s34
	s_addc_u32 s19, s19, s35
	s_load_dwordx2 s[12:13], s[8:9], 0x0
	s_load_dwordx2 s[18:19], s[18:19], 0x0
	v_cmp_lt_i64_e64 s8, s[28:29], 1
	s_ashr_i32 s7, s6, 31
	s_ashr_i32 s11, s10, 31
	s_lshl_b64 s[6:7], s[6:7], 5
	s_lshl_b64 s[30:31], s[10:11], 5
	s_and_b32 vcc_lo, exec_lo, s8
	s_cbranch_vccnz .LBB101_3
; %bb.1:
	s_clause 0x1
	s_load_dwordx8 s[20:27], s[4:5], 0x20
	s_load_dwordx4 s[8:11], s[4:5], 0x40
	v_lshl_add_u32 v4, v1, 4, v0
	v_mov_b32_e32 v3, 0
	v_and_b32_e32 v8, 7, v0
	v_lshlrev_b32_e32 v10, 2, v0
	v_lshl_add_u32 v11, v1, 5, 0x400
	v_lshrrev_b32_e32 v2, 3, v4
	v_lshrrev_b32_e32 v9, 5, v4
	v_and_b32_e32 v14, 31, v4
	v_lshlrev_b32_e32 v12, 2, v8
	v_lshlrev_b32_e32 v13, 2, v14
	v_lshl_or_b32 v15, v2, 5, v12
	v_lshl_or_b32 v12, v9, 7, v13
	s_waitcnt lgkmcnt(0)
	v_mad_u64_u32 v[6:7], null, s22, v9, s[6:7]
	v_mad_u64_u32 v[4:5], null, s8, v8, v[2:3]
	s_add_u32 s20, s20, s34
	s_addc_u32 s21, s21, s35
	s_add_u32 s26, s26, s34
	s_addc_u32 s27, s27, s35
	s_load_dwordx2 s[20:21], s[20:21], 0x0
	s_load_dwordx2 s[26:27], s[26:27], 0x0
	v_mov_b32_e32 v2, v5
	v_mov_b32_e32 v5, v7
	v_add_co_u32 v4, vcc_lo, v4, s30
	s_lshl_b64 s[10:11], s[10:11], 1
	v_mad_u64_u32 v[7:8], null, s9, v8, v[2:3]
	v_mad_u64_u32 v[8:9], null, s23, v9, v[5:6]
	v_add_nc_u32_e32 v13, 0x400, v15
	v_mov_b32_e32 v2, v3
	v_mov_b32_e32 v9, v3
	v_add_co_ci_u32_e64 v5, null, s31, v7, vcc_lo
	v_add_co_u32 v6, vcc_lo, v6, v14
	v_add_co_ci_u32_e64 v7, null, 0, v8, vcc_lo
	v_lshlrev_b64 v[4:5], 1, v[4:5]
	s_waitcnt lgkmcnt(0)
	s_add_u32 s26, s26, s10
	s_addc_u32 s27, s27, s11
	v_lshlrev_b64 v[6:7], 1, v[6:7]
	s_lshl_b64 s[10:11], s[24:25], 1
	s_lshl_b64 s[8:9], s[8:9], 4
	s_add_u32 s10, s20, s10
	v_add_co_u32 v4, vcc_lo, s26, v4
	s_addc_u32 s11, s21, s11
	v_add_co_ci_u32_e64 v5, null, s27, v5, vcc_lo
	v_add_co_u32 v6, vcc_lo, s10, v6
	v_add_co_ci_u32_e64 v7, null, s11, v7, vcc_lo
	v_mov_b32_e32 v8, v3
	s_lshl_b64 s[10:11], s[22:23], 4
	s_mov_b64 s[20:21], 0
.LBB101_2:                              ; =>This Inner Loop Header: Depth=1
	flat_load_ushort v14, v[6:7]
	flat_load_ushort v15, v[4:5]
	s_add_u32 s20, s20, 8
	s_addc_u32 s21, s21, 0
	v_add_co_u32 v4, vcc_lo, v4, s8
	v_cmp_lt_i64_e64 s22, s[20:21], s[28:29]
	v_add_co_ci_u32_e64 v5, null, s9, v5, vcc_lo
	v_add_co_u32 v6, vcc_lo, v6, s10
	v_add_co_ci_u32_e64 v7, null, s11, v7, vcc_lo
	s_and_b32 vcc_lo, exec_lo, s22
	s_waitcnt vmcnt(1) lgkmcnt(1)
	v_cvt_f32_f16_e32 v14, v14
	s_waitcnt vmcnt(0) lgkmcnt(0)
	v_cvt_f32_f16_e32 v15, v15
	ds_write_b32 v12, v14
	ds_write_b32 v13, v15
	s_waitcnt lgkmcnt(0)
	s_barrier
	buffer_gl0_inv
	ds_read_b128 v[14:17], v11
	ds_read2_b32 v[30:31], v10 offset1:16
	ds_read_b128 v[18:21], v11 offset:512
	ds_read2_b32 v[32:33], v10 offset0:32 offset1:48
	ds_read2_b32 v[34:35], v10 offset0:64 offset1:80
	ds_read_b128 v[22:25], v11 offset:16
	ds_read2_b32 v[36:37], v10 offset0:96 offset1:112
	ds_read2_b32 v[38:39], v10 offset0:128 offset1:144
	;; [unrolled: 3-line block ×3, first 2 shown]
	ds_read2_b32 v[44:45], v10 offset0:224 offset1:240
	s_waitcnt lgkmcnt(0)
	s_barrier
	buffer_gl0_inv
	v_fmac_f32_e32 v9, v30, v14
	v_fmac_f32_e32 v8, v31, v14
	;; [unrolled: 1-line block ×32, first 2 shown]
	s_cbranch_vccnz .LBB101_2
.LBB101_3:
	s_load_dword s8, s[4:5], 0x50
	s_lshl_b64 s[10:11], s[2:3], 1
	s_load_dword s2, s[4:5], 0x18
	v_add_co_u32 v4, s4, s30, v1
	v_add_co_ci_u32_e64 v7, null, s31, 0, s4
	v_add_co_u32 v0, s4, s6, v0
	v_add_co_ci_u32_e64 v1, null, s7, 0, s4
	v_mul_lo_u32 v5, v7, s0
	v_mul_lo_u32 v6, v4, s1
	s_waitcnt lgkmcnt(0)
	s_add_u32 s3, s18, s10
	v_lshlrev_b64 v[0:1], 1, v[0:1]
	s_addc_u32 s4, s19, s11
	v_cmp_neq_f32_e64 s5, s8, 0
	s_and_b32 vcc_lo, exec_lo, s5
	s_mov_b32 s5, 0
	s_cbranch_vccnz .LBB101_7
; %bb.4:
	v_mad_u64_u32 v[10:11], null, v4, s0, 0
	s_lshl_b64 s[6:7], s[0:1], 5
	v_fma_mixlo_f16 v14, s2, v9, 0
	v_fma_mixlo_f16 v15, s2, v8, 0
	;; [unrolled: 1-line block ×4, first 2 shown]
	v_add3_u32 v11, v11, v6, v5
	v_lshlrev_b64 v[10:11], 1, v[10:11]
	v_add_co_u32 v10, vcc_lo, s3, v10
	v_add_co_ci_u32_e64 v11, null, s4, v11, vcc_lo
	v_add_co_u32 v12, vcc_lo, v10, s6
	v_add_co_ci_u32_e64 v13, null, s7, v11, vcc_lo
	;; [unrolled: 2-line block ×4, first 2 shown]
	flat_store_short v[10:11], v14
	flat_store_short v[10:11], v15 offset:32
	flat_store_short v[12:13], v16
	flat_store_short v[12:13], v17 offset:32
	s_andn2_b32 vcc_lo, exec_lo, s5
	s_cbranch_vccnz .LBB101_6
.LBB101_5:
	v_mul_lo_u32 v7, v7, s14
	v_mul_lo_u32 v12, v4, s15
	v_mad_u64_u32 v[10:11], null, v4, s14, 0
	s_lshl_b64 s[6:7], s[16:17], 1
	s_add_u32 s5, s12, s6
	s_addc_u32 s6, s13, s7
	v_add3_u32 v11, v11, v12, v7
	v_mad_u64_u32 v[12:13], null, v4, s0, 0
	s_lshl_b64 s[0:1], s[0:1], 5
	v_lshlrev_b64 v[10:11], 1, v[10:11]
	v_add3_u32 v13, v13, v6, v5
	v_add_co_u32 v7, vcc_lo, s5, v10
	v_add_co_ci_u32_e64 v14, null, s6, v11, vcc_lo
	v_lshlrev_b64 v[4:5], 1, v[12:13]
	v_add_co_u32 v10, vcc_lo, v7, v0
	v_add_co_ci_u32_e64 v11, null, v14, v1, vcc_lo
	v_add_co_u32 v12, vcc_lo, s3, v4
	flat_load_ushort v15, v[10:11]
	v_add_co_ci_u32_e64 v13, null, s4, v5, vcc_lo
	v_add_co_u32 v4, vcc_lo, v12, v0
	s_lshl_b64 s[4:5], s[14:15], 5
	v_add_co_ci_u32_e64 v5, null, v13, v1, vcc_lo
	v_add_co_u32 v7, vcc_lo, v7, s4
	s_waitcnt vmcnt(0) lgkmcnt(0)
	v_cvt_f32_f16_e32 v6, v15
	v_mul_f32_e32 v6, s8, v6
	v_fma_mixlo_f16 v6, s2, v9, v6
	v_add_co_ci_u32_e64 v9, null, s5, v14, vcc_lo
	flat_store_short v[4:5], v6
	flat_load_ushort v6, v[10:11] offset:32
	s_waitcnt vmcnt(0) lgkmcnt(0)
	v_cvt_f32_f16_e32 v6, v6
	v_mul_f32_e32 v6, s8, v6
	v_fma_mixlo_f16 v8, s2, v8, v6
	v_add_co_u32 v6, vcc_lo, v7, v0
	v_add_co_ci_u32_e64 v7, null, v9, v1, vcc_lo
	flat_store_short v[4:5], v8 offset:32
	v_add_co_u32 v5, vcc_lo, v12, s0
	flat_load_ushort v4, v[6:7]
	v_add_co_ci_u32_e64 v8, null, s1, v13, vcc_lo
	v_add_co_u32 v0, vcc_lo, v5, v0
	v_add_co_ci_u32_e64 v1, null, v8, v1, vcc_lo
	s_waitcnt vmcnt(0) lgkmcnt(0)
	v_cvt_f32_f16_e32 v4, v4
	v_mul_f32_e32 v4, s8, v4
	v_fma_mixlo_f16 v2, s2, v2, v4
	flat_store_short v[0:1], v2
	flat_load_ushort v2, v[6:7] offset:32
	s_waitcnt vmcnt(0) lgkmcnt(0)
	v_cvt_f32_f16_e32 v2, v2
	v_mul_f32_e32 v2, s8, v2
	v_fma_mixlo_f16 v2, s2, v3, v2
	flat_store_short v[0:1], v2 offset:32
.LBB101_6:
	s_endpgm
.LBB101_7:
	s_branch .LBB101_5
	.section	.rodata,"a",@progbits
	.p2align	6, 0x0
	.amdhsa_kernel _ZN12_GLOBAL__N_127rocblas_gemm_batched_kernelIfLi16ELi16ELi32ELi32ELi8ELi32ELi8ELi8ELi32ELc78ELc67EKPKDF16_S3_KPDF16_EEvlllT_PT11_llS8_llS6_PT12_llPT13_lli
		.amdhsa_group_segment_fixed_size 2048
		.amdhsa_private_segment_fixed_size 0
		.amdhsa_kernarg_size 140
		.amdhsa_user_sgpr_count 6
		.amdhsa_user_sgpr_private_segment_buffer 1
		.amdhsa_user_sgpr_dispatch_ptr 0
		.amdhsa_user_sgpr_queue_ptr 0
		.amdhsa_user_sgpr_kernarg_segment_ptr 1
		.amdhsa_user_sgpr_dispatch_id 0
		.amdhsa_user_sgpr_flat_scratch_init 0
		.amdhsa_user_sgpr_private_segment_size 0
		.amdhsa_wavefront_size32 1
		.amdhsa_uses_dynamic_stack 0
		.amdhsa_system_sgpr_private_segment_wavefront_offset 0
		.amdhsa_system_sgpr_workgroup_id_x 1
		.amdhsa_system_sgpr_workgroup_id_y 1
		.amdhsa_system_sgpr_workgroup_id_z 1
		.amdhsa_system_sgpr_workgroup_info 0
		.amdhsa_system_vgpr_workitem_id 1
		.amdhsa_next_free_vgpr 46
		.amdhsa_next_free_sgpr 36
		.amdhsa_reserve_vcc 1
		.amdhsa_reserve_flat_scratch 0
		.amdhsa_float_round_mode_32 0
		.amdhsa_float_round_mode_16_64 0
		.amdhsa_float_denorm_mode_32 3
		.amdhsa_float_denorm_mode_16_64 3
		.amdhsa_dx10_clamp 1
		.amdhsa_ieee_mode 1
		.amdhsa_fp16_overflow 0
		.amdhsa_workgroup_processor_mode 1
		.amdhsa_memory_ordered 1
		.amdhsa_forward_progress 1
		.amdhsa_shared_vgpr_count 0
		.amdhsa_exception_fp_ieee_invalid_op 0
		.amdhsa_exception_fp_denorm_src 0
		.amdhsa_exception_fp_ieee_div_zero 0
		.amdhsa_exception_fp_ieee_overflow 0
		.amdhsa_exception_fp_ieee_underflow 0
		.amdhsa_exception_fp_ieee_inexact 0
		.amdhsa_exception_int_div_zero 0
	.end_amdhsa_kernel
	.section	.text._ZN12_GLOBAL__N_127rocblas_gemm_batched_kernelIfLi16ELi16ELi32ELi32ELi8ELi32ELi8ELi8ELi32ELc78ELc67EKPKDF16_S3_KPDF16_EEvlllT_PT11_llS8_llS6_PT12_llPT13_lli,"axG",@progbits,_ZN12_GLOBAL__N_127rocblas_gemm_batched_kernelIfLi16ELi16ELi32ELi32ELi8ELi32ELi8ELi8ELi32ELc78ELc67EKPKDF16_S3_KPDF16_EEvlllT_PT11_llS8_llS6_PT12_llPT13_lli,comdat
.Lfunc_end101:
	.size	_ZN12_GLOBAL__N_127rocblas_gemm_batched_kernelIfLi16ELi16ELi32ELi32ELi8ELi32ELi8ELi8ELi32ELc78ELc67EKPKDF16_S3_KPDF16_EEvlllT_PT11_llS8_llS6_PT12_llPT13_lli, .Lfunc_end101-_ZN12_GLOBAL__N_127rocblas_gemm_batched_kernelIfLi16ELi16ELi32ELi32ELi8ELi32ELi8ELi8ELi32ELc78ELc67EKPKDF16_S3_KPDF16_EEvlllT_PT11_llS8_llS6_PT12_llPT13_lli
                                        ; -- End function
	.set _ZN12_GLOBAL__N_127rocblas_gemm_batched_kernelIfLi16ELi16ELi32ELi32ELi8ELi32ELi8ELi8ELi32ELc78ELc67EKPKDF16_S3_KPDF16_EEvlllT_PT11_llS8_llS6_PT12_llPT13_lli.num_vgpr, 46
	.set _ZN12_GLOBAL__N_127rocblas_gemm_batched_kernelIfLi16ELi16ELi32ELi32ELi8ELi32ELi8ELi8ELi32ELc78ELc67EKPKDF16_S3_KPDF16_EEvlllT_PT11_llS8_llS6_PT12_llPT13_lli.num_agpr, 0
	.set _ZN12_GLOBAL__N_127rocblas_gemm_batched_kernelIfLi16ELi16ELi32ELi32ELi8ELi32ELi8ELi8ELi32ELc78ELc67EKPKDF16_S3_KPDF16_EEvlllT_PT11_llS8_llS6_PT12_llPT13_lli.numbered_sgpr, 36
	.set _ZN12_GLOBAL__N_127rocblas_gemm_batched_kernelIfLi16ELi16ELi32ELi32ELi8ELi32ELi8ELi8ELi32ELc78ELc67EKPKDF16_S3_KPDF16_EEvlllT_PT11_llS8_llS6_PT12_llPT13_lli.num_named_barrier, 0
	.set _ZN12_GLOBAL__N_127rocblas_gemm_batched_kernelIfLi16ELi16ELi32ELi32ELi8ELi32ELi8ELi8ELi32ELc78ELc67EKPKDF16_S3_KPDF16_EEvlllT_PT11_llS8_llS6_PT12_llPT13_lli.private_seg_size, 0
	.set _ZN12_GLOBAL__N_127rocblas_gemm_batched_kernelIfLi16ELi16ELi32ELi32ELi8ELi32ELi8ELi8ELi32ELc78ELc67EKPKDF16_S3_KPDF16_EEvlllT_PT11_llS8_llS6_PT12_llPT13_lli.uses_vcc, 1
	.set _ZN12_GLOBAL__N_127rocblas_gemm_batched_kernelIfLi16ELi16ELi32ELi32ELi8ELi32ELi8ELi8ELi32ELc78ELc67EKPKDF16_S3_KPDF16_EEvlllT_PT11_llS8_llS6_PT12_llPT13_lli.uses_flat_scratch, 0
	.set _ZN12_GLOBAL__N_127rocblas_gemm_batched_kernelIfLi16ELi16ELi32ELi32ELi8ELi32ELi8ELi8ELi32ELc78ELc67EKPKDF16_S3_KPDF16_EEvlllT_PT11_llS8_llS6_PT12_llPT13_lli.has_dyn_sized_stack, 0
	.set _ZN12_GLOBAL__N_127rocblas_gemm_batched_kernelIfLi16ELi16ELi32ELi32ELi8ELi32ELi8ELi8ELi32ELc78ELc67EKPKDF16_S3_KPDF16_EEvlllT_PT11_llS8_llS6_PT12_llPT13_lli.has_recursion, 0
	.set _ZN12_GLOBAL__N_127rocblas_gemm_batched_kernelIfLi16ELi16ELi32ELi32ELi8ELi32ELi8ELi8ELi32ELc78ELc67EKPKDF16_S3_KPDF16_EEvlllT_PT11_llS8_llS6_PT12_llPT13_lli.has_indirect_call, 0
	.section	.AMDGPU.csdata,"",@progbits
; Kernel info:
; codeLenInByte = 1424
; TotalNumSgprs: 38
; NumVgprs: 46
; ScratchSize: 0
; MemoryBound: 0
; FloatMode: 240
; IeeeMode: 1
; LDSByteSize: 2048 bytes/workgroup (compile time only)
; SGPRBlocks: 0
; VGPRBlocks: 5
; NumSGPRsForWavesPerEU: 38
; NumVGPRsForWavesPerEU: 46
; Occupancy: 16
; WaveLimiterHint : 1
; COMPUTE_PGM_RSRC2:SCRATCH_EN: 0
; COMPUTE_PGM_RSRC2:USER_SGPR: 6
; COMPUTE_PGM_RSRC2:TRAP_HANDLER: 0
; COMPUTE_PGM_RSRC2:TGID_X_EN: 1
; COMPUTE_PGM_RSRC2:TGID_Y_EN: 1
; COMPUTE_PGM_RSRC2:TGID_Z_EN: 1
; COMPUTE_PGM_RSRC2:TIDIG_COMP_CNT: 1
	.section	.text._ZN12_GLOBAL__N_127rocblas_gemm_batched_kernelIfLi16ELi16ELi32ELi32ELi8ELi32ELi8ELi8ELi32ELc84ELc67EKPKDF16_S3_KPDF16_EEvlllT_PT11_llS8_llS6_PT12_llPT13_lli,"axG",@progbits,_ZN12_GLOBAL__N_127rocblas_gemm_batched_kernelIfLi16ELi16ELi32ELi32ELi8ELi32ELi8ELi8ELi32ELc84ELc67EKPKDF16_S3_KPDF16_EEvlllT_PT11_llS8_llS6_PT12_llPT13_lli,comdat
	.globl	_ZN12_GLOBAL__N_127rocblas_gemm_batched_kernelIfLi16ELi16ELi32ELi32ELi8ELi32ELi8ELi8ELi32ELc84ELc67EKPKDF16_S3_KPDF16_EEvlllT_PT11_llS8_llS6_PT12_llPT13_lli ; -- Begin function _ZN12_GLOBAL__N_127rocblas_gemm_batched_kernelIfLi16ELi16ELi32ELi32ELi8ELi32ELi8ELi8ELi32ELc84ELc67EKPKDF16_S3_KPDF16_EEvlllT_PT11_llS8_llS6_PT12_llPT13_lli
	.p2align	8
	.type	_ZN12_GLOBAL__N_127rocblas_gemm_batched_kernelIfLi16ELi16ELi32ELi32ELi8ELi32ELi8ELi8ELi32ELc84ELc67EKPKDF16_S3_KPDF16_EEvlllT_PT11_llS8_llS6_PT12_llPT13_lli,@function
_ZN12_GLOBAL__N_127rocblas_gemm_batched_kernelIfLi16ELi16ELi32ELi32ELi8ELi32ELi8ELi8ELi32ELc84ELc67EKPKDF16_S3_KPDF16_EEvlllT_PT11_llS8_llS6_PT12_llPT13_lli: ; @_ZN12_GLOBAL__N_127rocblas_gemm_batched_kernelIfLi16ELi16ELi32ELi32ELi8ELi32ELi8ELi8ELi32ELc84ELc67EKPKDF16_S3_KPDF16_EEvlllT_PT11_llS8_llS6_PT12_llPT13_lli
; %bb.0:
	s_clause 0x1
	s_load_dwordx8 s[12:19], s[4:5], 0x58
	s_load_dwordx2 s[28:29], s[4:5], 0x10
	s_mov_b32 s9, 0
	s_load_dwordx4 s[0:3], s[4:5], 0x78
	s_lshl_b64 s[34:35], s[8:9], 3
	s_mov_b32 s10, s7
	v_mov_b32_e32 v9, 0
	v_mov_b32_e32 v8, 0
	;; [unrolled: 1-line block ×4, first 2 shown]
	s_waitcnt lgkmcnt(0)
	s_add_u32 s8, s12, s34
	s_addc_u32 s9, s13, s35
	s_add_u32 s18, s18, s34
	s_addc_u32 s19, s19, s35
	s_load_dwordx2 s[12:13], s[8:9], 0x0
	s_load_dwordx2 s[18:19], s[18:19], 0x0
	v_cmp_lt_i64_e64 s8, s[28:29], 1
	s_ashr_i32 s7, s6, 31
	s_ashr_i32 s11, s10, 31
	s_lshl_b64 s[6:7], s[6:7], 5
	s_lshl_b64 s[30:31], s[10:11], 5
	s_and_b32 vcc_lo, exec_lo, s8
	s_cbranch_vccnz .LBB102_3
; %bb.1:
	s_clause 0x1
	s_load_dwordx8 s[20:27], s[4:5], 0x20
	s_load_dwordx4 s[8:11], s[4:5], 0x40
	v_lshl_add_u32 v8, v1, 4, v0
	v_and_b32_e32 v9, 7, v0
	v_mov_b32_e32 v3, 0
	v_lshlrev_b32_e32 v10, 2, v0
	v_and_b32_e32 v11, 31, v8
	v_lshrrev_b32_e32 v2, 3, v8
	v_lshlrev_b32_e32 v12, 2, v9
	v_lshrrev_b32_e32 v8, 5, v8
	v_add_co_u32 v6, s33, s6, v11
	v_add_co_ci_u32_e64 v7, null, s7, 0, s33
	v_lshlrev_b32_e32 v15, 2, v11
	v_lshl_or_b32 v16, v2, 5, v12
	v_lshlrev_b32_e32 v17, 1, v8
	v_lshl_add_u32 v11, v1, 5, 0x400
	s_waitcnt lgkmcnt(0)
	s_add_u32 s20, s20, s34
	s_addc_u32 s21, s21, s35
	s_add_u32 s26, s26, s34
	s_addc_u32 s27, s27, s35
	v_mad_u64_u32 v[4:5], null, s8, v9, v[2:3]
	s_load_dwordx2 s[26:27], s[26:27], 0x0
	v_mul_lo_u32 v13, s23, v6
	v_mul_lo_u32 v14, s22, v7
	v_mad_u64_u32 v[6:7], null, s22, v6, 0
	v_lshl_or_b32 v12, v8, 7, v15
	v_mov_b32_e32 v2, v5
	s_load_dwordx2 s[20:21], s[20:21], 0x0
	s_lshl_b64 s[10:11], s[10:11], 1
	v_add3_u32 v7, v7, v14, v13
	v_mad_u64_u32 v[8:9], null, s9, v9, v[2:3]
	v_add_nc_u32_e32 v13, 0x400, v16
	v_mov_b32_e32 v9, v3
	v_lshlrev_b64 v[5:6], 1, v[6:7]
	v_add_co_u32 v7, vcc_lo, v4, s30
	v_add_co_ci_u32_e64 v8, null, s31, v8, vcc_lo
	s_waitcnt lgkmcnt(0)
	s_add_u32 s22, s26, s10
	s_addc_u32 s23, s27, s11
	s_lshl_b64 s[10:11], s[24:25], 1
	s_lshl_b64 s[8:9], s[8:9], 4
	v_add_co_u32 v2, vcc_lo, v5, s10
	v_add_co_ci_u32_e64 v6, null, s11, v6, vcc_lo
	v_lshlrev_b64 v[4:5], 1, v[7:8]
	v_add_co_u32 v2, vcc_lo, v2, v17
	v_add_co_ci_u32_e64 v7, null, 0, v6, vcc_lo
	v_mov_b32_e32 v8, v3
	v_add_co_u32 v4, vcc_lo, s22, v4
	v_add_co_ci_u32_e64 v5, null, s23, v5, vcc_lo
	v_add_co_u32 v6, vcc_lo, s20, v2
	v_add_co_ci_u32_e64 v7, null, s21, v7, vcc_lo
	v_mov_b32_e32 v2, v3
	s_mov_b64 s[10:11], 0
.LBB102_2:                              ; =>This Inner Loop Header: Depth=1
	flat_load_ushort v14, v[6:7]
	flat_load_ushort v15, v[4:5]
	s_add_u32 s10, s10, 8
	s_addc_u32 s11, s11, 0
	v_add_co_u32 v4, vcc_lo, v4, s8
	v_cmp_lt_i64_e64 s20, s[10:11], s[28:29]
	v_add_co_ci_u32_e64 v5, null, s9, v5, vcc_lo
	v_add_co_u32 v6, vcc_lo, v6, 16
	v_add_co_ci_u32_e64 v7, null, 0, v7, vcc_lo
	s_and_b32 vcc_lo, exec_lo, s20
	s_waitcnt vmcnt(1) lgkmcnt(1)
	v_cvt_f32_f16_e32 v14, v14
	s_waitcnt vmcnt(0) lgkmcnt(0)
	v_cvt_f32_f16_e32 v15, v15
	ds_write_b32 v12, v14
	ds_write_b32 v13, v15
	s_waitcnt lgkmcnt(0)
	s_barrier
	buffer_gl0_inv
	ds_read_b128 v[14:17], v11
	ds_read2_b32 v[30:31], v10 offset1:16
	ds_read_b128 v[18:21], v11 offset:512
	ds_read2_b32 v[32:33], v10 offset0:32 offset1:48
	ds_read2_b32 v[34:35], v10 offset0:64 offset1:80
	ds_read_b128 v[22:25], v11 offset:16
	ds_read2_b32 v[36:37], v10 offset0:96 offset1:112
	ds_read2_b32 v[38:39], v10 offset0:128 offset1:144
	;; [unrolled: 3-line block ×3, first 2 shown]
	ds_read2_b32 v[44:45], v10 offset0:224 offset1:240
	s_waitcnt lgkmcnt(0)
	s_barrier
	buffer_gl0_inv
	v_fmac_f32_e32 v9, v30, v14
	v_fmac_f32_e32 v8, v31, v14
	;; [unrolled: 1-line block ×32, first 2 shown]
	s_cbranch_vccnz .LBB102_2
.LBB102_3:
	s_load_dword s8, s[4:5], 0x50
	s_lshl_b64 s[10:11], s[2:3], 1
	s_load_dword s2, s[4:5], 0x18
	v_add_co_u32 v4, s4, s30, v1
	v_add_co_ci_u32_e64 v7, null, s31, 0, s4
	v_add_co_u32 v0, s4, s6, v0
	v_add_co_ci_u32_e64 v1, null, s7, 0, s4
	v_mul_lo_u32 v5, v7, s0
	v_mul_lo_u32 v6, v4, s1
	s_waitcnt lgkmcnt(0)
	s_add_u32 s3, s18, s10
	v_lshlrev_b64 v[0:1], 1, v[0:1]
	s_addc_u32 s4, s19, s11
	v_cmp_neq_f32_e64 s5, s8, 0
	s_and_b32 vcc_lo, exec_lo, s5
	s_mov_b32 s5, 0
	s_cbranch_vccnz .LBB102_7
; %bb.4:
	v_mad_u64_u32 v[10:11], null, v4, s0, 0
	s_lshl_b64 s[6:7], s[0:1], 5
	v_fma_mixlo_f16 v14, s2, v9, 0
	v_fma_mixlo_f16 v15, s2, v8, 0
	;; [unrolled: 1-line block ×4, first 2 shown]
	v_add3_u32 v11, v11, v6, v5
	v_lshlrev_b64 v[10:11], 1, v[10:11]
	v_add_co_u32 v10, vcc_lo, s3, v10
	v_add_co_ci_u32_e64 v11, null, s4, v11, vcc_lo
	v_add_co_u32 v12, vcc_lo, v10, s6
	v_add_co_ci_u32_e64 v13, null, s7, v11, vcc_lo
	;; [unrolled: 2-line block ×4, first 2 shown]
	flat_store_short v[10:11], v14
	flat_store_short v[10:11], v15 offset:32
	flat_store_short v[12:13], v16
	flat_store_short v[12:13], v17 offset:32
	s_andn2_b32 vcc_lo, exec_lo, s5
	s_cbranch_vccnz .LBB102_6
.LBB102_5:
	v_mul_lo_u32 v7, v7, s14
	v_mul_lo_u32 v12, v4, s15
	v_mad_u64_u32 v[10:11], null, v4, s14, 0
	s_lshl_b64 s[6:7], s[16:17], 1
	s_add_u32 s5, s12, s6
	s_addc_u32 s6, s13, s7
	v_add3_u32 v11, v11, v12, v7
	v_mad_u64_u32 v[12:13], null, v4, s0, 0
	s_lshl_b64 s[0:1], s[0:1], 5
	v_lshlrev_b64 v[10:11], 1, v[10:11]
	v_add3_u32 v13, v13, v6, v5
	v_add_co_u32 v7, vcc_lo, s5, v10
	v_add_co_ci_u32_e64 v14, null, s6, v11, vcc_lo
	v_lshlrev_b64 v[4:5], 1, v[12:13]
	v_add_co_u32 v10, vcc_lo, v7, v0
	v_add_co_ci_u32_e64 v11, null, v14, v1, vcc_lo
	v_add_co_u32 v12, vcc_lo, s3, v4
	flat_load_ushort v15, v[10:11]
	v_add_co_ci_u32_e64 v13, null, s4, v5, vcc_lo
	v_add_co_u32 v4, vcc_lo, v12, v0
	s_lshl_b64 s[4:5], s[14:15], 5
	v_add_co_ci_u32_e64 v5, null, v13, v1, vcc_lo
	v_add_co_u32 v7, vcc_lo, v7, s4
	s_waitcnt vmcnt(0) lgkmcnt(0)
	v_cvt_f32_f16_e32 v6, v15
	v_mul_f32_e32 v6, s8, v6
	v_fma_mixlo_f16 v6, s2, v9, v6
	v_add_co_ci_u32_e64 v9, null, s5, v14, vcc_lo
	flat_store_short v[4:5], v6
	flat_load_ushort v6, v[10:11] offset:32
	s_waitcnt vmcnt(0) lgkmcnt(0)
	v_cvt_f32_f16_e32 v6, v6
	v_mul_f32_e32 v6, s8, v6
	v_fma_mixlo_f16 v8, s2, v8, v6
	v_add_co_u32 v6, vcc_lo, v7, v0
	v_add_co_ci_u32_e64 v7, null, v9, v1, vcc_lo
	flat_store_short v[4:5], v8 offset:32
	v_add_co_u32 v5, vcc_lo, v12, s0
	flat_load_ushort v4, v[6:7]
	v_add_co_ci_u32_e64 v8, null, s1, v13, vcc_lo
	v_add_co_u32 v0, vcc_lo, v5, v0
	v_add_co_ci_u32_e64 v1, null, v8, v1, vcc_lo
	s_waitcnt vmcnt(0) lgkmcnt(0)
	v_cvt_f32_f16_e32 v4, v4
	v_mul_f32_e32 v4, s8, v4
	v_fma_mixlo_f16 v2, s2, v2, v4
	flat_store_short v[0:1], v2
	flat_load_ushort v2, v[6:7] offset:32
	s_waitcnt vmcnt(0) lgkmcnt(0)
	v_cvt_f32_f16_e32 v2, v2
	v_mul_f32_e32 v2, s8, v2
	v_fma_mixlo_f16 v2, s2, v3, v2
	flat_store_short v[0:1], v2 offset:32
.LBB102_6:
	s_endpgm
.LBB102_7:
	s_branch .LBB102_5
	.section	.rodata,"a",@progbits
	.p2align	6, 0x0
	.amdhsa_kernel _ZN12_GLOBAL__N_127rocblas_gemm_batched_kernelIfLi16ELi16ELi32ELi32ELi8ELi32ELi8ELi8ELi32ELc84ELc67EKPKDF16_S3_KPDF16_EEvlllT_PT11_llS8_llS6_PT12_llPT13_lli
		.amdhsa_group_segment_fixed_size 2048
		.amdhsa_private_segment_fixed_size 0
		.amdhsa_kernarg_size 140
		.amdhsa_user_sgpr_count 6
		.amdhsa_user_sgpr_private_segment_buffer 1
		.amdhsa_user_sgpr_dispatch_ptr 0
		.amdhsa_user_sgpr_queue_ptr 0
		.amdhsa_user_sgpr_kernarg_segment_ptr 1
		.amdhsa_user_sgpr_dispatch_id 0
		.amdhsa_user_sgpr_flat_scratch_init 0
		.amdhsa_user_sgpr_private_segment_size 0
		.amdhsa_wavefront_size32 1
		.amdhsa_uses_dynamic_stack 0
		.amdhsa_system_sgpr_private_segment_wavefront_offset 0
		.amdhsa_system_sgpr_workgroup_id_x 1
		.amdhsa_system_sgpr_workgroup_id_y 1
		.amdhsa_system_sgpr_workgroup_id_z 1
		.amdhsa_system_sgpr_workgroup_info 0
		.amdhsa_system_vgpr_workitem_id 1
		.amdhsa_next_free_vgpr 46
		.amdhsa_next_free_sgpr 36
		.amdhsa_reserve_vcc 1
		.amdhsa_reserve_flat_scratch 0
		.amdhsa_float_round_mode_32 0
		.amdhsa_float_round_mode_16_64 0
		.amdhsa_float_denorm_mode_32 3
		.amdhsa_float_denorm_mode_16_64 3
		.amdhsa_dx10_clamp 1
		.amdhsa_ieee_mode 1
		.amdhsa_fp16_overflow 0
		.amdhsa_workgroup_processor_mode 1
		.amdhsa_memory_ordered 1
		.amdhsa_forward_progress 1
		.amdhsa_shared_vgpr_count 0
		.amdhsa_exception_fp_ieee_invalid_op 0
		.amdhsa_exception_fp_denorm_src 0
		.amdhsa_exception_fp_ieee_div_zero 0
		.amdhsa_exception_fp_ieee_overflow 0
		.amdhsa_exception_fp_ieee_underflow 0
		.amdhsa_exception_fp_ieee_inexact 0
		.amdhsa_exception_int_div_zero 0
	.end_amdhsa_kernel
	.section	.text._ZN12_GLOBAL__N_127rocblas_gemm_batched_kernelIfLi16ELi16ELi32ELi32ELi8ELi32ELi8ELi8ELi32ELc84ELc67EKPKDF16_S3_KPDF16_EEvlllT_PT11_llS8_llS6_PT12_llPT13_lli,"axG",@progbits,_ZN12_GLOBAL__N_127rocblas_gemm_batched_kernelIfLi16ELi16ELi32ELi32ELi8ELi32ELi8ELi8ELi32ELc84ELc67EKPKDF16_S3_KPDF16_EEvlllT_PT11_llS8_llS6_PT12_llPT13_lli,comdat
.Lfunc_end102:
	.size	_ZN12_GLOBAL__N_127rocblas_gemm_batched_kernelIfLi16ELi16ELi32ELi32ELi8ELi32ELi8ELi8ELi32ELc84ELc67EKPKDF16_S3_KPDF16_EEvlllT_PT11_llS8_llS6_PT12_llPT13_lli, .Lfunc_end102-_ZN12_GLOBAL__N_127rocblas_gemm_batched_kernelIfLi16ELi16ELi32ELi32ELi8ELi32ELi8ELi8ELi32ELc84ELc67EKPKDF16_S3_KPDF16_EEvlllT_PT11_llS8_llS6_PT12_llPT13_lli
                                        ; -- End function
	.set _ZN12_GLOBAL__N_127rocblas_gemm_batched_kernelIfLi16ELi16ELi32ELi32ELi8ELi32ELi8ELi8ELi32ELc84ELc67EKPKDF16_S3_KPDF16_EEvlllT_PT11_llS8_llS6_PT12_llPT13_lli.num_vgpr, 46
	.set _ZN12_GLOBAL__N_127rocblas_gemm_batched_kernelIfLi16ELi16ELi32ELi32ELi8ELi32ELi8ELi8ELi32ELc84ELc67EKPKDF16_S3_KPDF16_EEvlllT_PT11_llS8_llS6_PT12_llPT13_lli.num_agpr, 0
	.set _ZN12_GLOBAL__N_127rocblas_gemm_batched_kernelIfLi16ELi16ELi32ELi32ELi8ELi32ELi8ELi8ELi32ELc84ELc67EKPKDF16_S3_KPDF16_EEvlllT_PT11_llS8_llS6_PT12_llPT13_lli.numbered_sgpr, 36
	.set _ZN12_GLOBAL__N_127rocblas_gemm_batched_kernelIfLi16ELi16ELi32ELi32ELi8ELi32ELi8ELi8ELi32ELc84ELc67EKPKDF16_S3_KPDF16_EEvlllT_PT11_llS8_llS6_PT12_llPT13_lli.num_named_barrier, 0
	.set _ZN12_GLOBAL__N_127rocblas_gemm_batched_kernelIfLi16ELi16ELi32ELi32ELi8ELi32ELi8ELi8ELi32ELc84ELc67EKPKDF16_S3_KPDF16_EEvlllT_PT11_llS8_llS6_PT12_llPT13_lli.private_seg_size, 0
	.set _ZN12_GLOBAL__N_127rocblas_gemm_batched_kernelIfLi16ELi16ELi32ELi32ELi8ELi32ELi8ELi8ELi32ELc84ELc67EKPKDF16_S3_KPDF16_EEvlllT_PT11_llS8_llS6_PT12_llPT13_lli.uses_vcc, 1
	.set _ZN12_GLOBAL__N_127rocblas_gemm_batched_kernelIfLi16ELi16ELi32ELi32ELi8ELi32ELi8ELi8ELi32ELc84ELc67EKPKDF16_S3_KPDF16_EEvlllT_PT11_llS8_llS6_PT12_llPT13_lli.uses_flat_scratch, 0
	.set _ZN12_GLOBAL__N_127rocblas_gemm_batched_kernelIfLi16ELi16ELi32ELi32ELi8ELi32ELi8ELi8ELi32ELc84ELc67EKPKDF16_S3_KPDF16_EEvlllT_PT11_llS8_llS6_PT12_llPT13_lli.has_dyn_sized_stack, 0
	.set _ZN12_GLOBAL__N_127rocblas_gemm_batched_kernelIfLi16ELi16ELi32ELi32ELi8ELi32ELi8ELi8ELi32ELc84ELc67EKPKDF16_S3_KPDF16_EEvlllT_PT11_llS8_llS6_PT12_llPT13_lli.has_recursion, 0
	.set _ZN12_GLOBAL__N_127rocblas_gemm_batched_kernelIfLi16ELi16ELi32ELi32ELi8ELi32ELi8ELi8ELi32ELc84ELc67EKPKDF16_S3_KPDF16_EEvlllT_PT11_llS8_llS6_PT12_llPT13_lli.has_indirect_call, 0
	.section	.AMDGPU.csdata,"",@progbits
; Kernel info:
; codeLenInByte = 1460
; TotalNumSgprs: 38
; NumVgprs: 46
; ScratchSize: 0
; MemoryBound: 0
; FloatMode: 240
; IeeeMode: 1
; LDSByteSize: 2048 bytes/workgroup (compile time only)
; SGPRBlocks: 0
; VGPRBlocks: 5
; NumSGPRsForWavesPerEU: 38
; NumVGPRsForWavesPerEU: 46
; Occupancy: 16
; WaveLimiterHint : 1
; COMPUTE_PGM_RSRC2:SCRATCH_EN: 0
; COMPUTE_PGM_RSRC2:USER_SGPR: 6
; COMPUTE_PGM_RSRC2:TRAP_HANDLER: 0
; COMPUTE_PGM_RSRC2:TGID_X_EN: 1
; COMPUTE_PGM_RSRC2:TGID_Y_EN: 1
; COMPUTE_PGM_RSRC2:TGID_Z_EN: 1
; COMPUTE_PGM_RSRC2:TIDIG_COMP_CNT: 1
	.section	.text._ZN12_GLOBAL__N_135rocblas_gemm_batched_general_kernelIfLi16ELi16ELi32ELi32ELi8ELi32ELi8ELi8ELi32ELc78ELc78EKPKDF16_S3_KPDF16_EEvlllT_PT11_llS8_llS6_PT12_llPT13_lli,"axG",@progbits,_ZN12_GLOBAL__N_135rocblas_gemm_batched_general_kernelIfLi16ELi16ELi32ELi32ELi8ELi32ELi8ELi8ELi32ELc78ELc78EKPKDF16_S3_KPDF16_EEvlllT_PT11_llS8_llS6_PT12_llPT13_lli,comdat
	.globl	_ZN12_GLOBAL__N_135rocblas_gemm_batched_general_kernelIfLi16ELi16ELi32ELi32ELi8ELi32ELi8ELi8ELi32ELc78ELc78EKPKDF16_S3_KPDF16_EEvlllT_PT11_llS8_llS6_PT12_llPT13_lli ; -- Begin function _ZN12_GLOBAL__N_135rocblas_gemm_batched_general_kernelIfLi16ELi16ELi32ELi32ELi8ELi32ELi8ELi8ELi32ELc78ELc78EKPKDF16_S3_KPDF16_EEvlllT_PT11_llS8_llS6_PT12_llPT13_lli
	.p2align	8
	.type	_ZN12_GLOBAL__N_135rocblas_gemm_batched_general_kernelIfLi16ELi16ELi32ELi32ELi8ELi32ELi8ELi8ELi32ELc78ELc78EKPKDF16_S3_KPDF16_EEvlllT_PT11_llS8_llS6_PT12_llPT13_lli,@function
_ZN12_GLOBAL__N_135rocblas_gemm_batched_general_kernelIfLi16ELi16ELi32ELi32ELi8ELi32ELi8ELi8ELi32ELc78ELc78EKPKDF16_S3_KPDF16_EEvlllT_PT11_llS8_llS6_PT12_llPT13_lli: ; @_ZN12_GLOBAL__N_135rocblas_gemm_batched_general_kernelIfLi16ELi16ELi32ELi32ELi8ELi32ELi8ELi8ELi32ELc78ELc78EKPKDF16_S3_KPDF16_EEvlllT_PT11_llS8_llS6_PT12_llPT13_lli
; %bb.0:
	s_clause 0x1
	s_load_dwordx8 s[12:19], s[4:5], 0x58
	s_load_dwordx2 s[36:37], s[4:5], 0x10
	s_mov_b32 s9, 0
	s_load_dwordx4 s[28:31], s[4:5], 0x0
	s_lshl_b64 s[40:41], s[8:9], 3
	s_load_dwordx4 s[8:11], s[4:5], 0x78
	s_mov_b32 s0, s7
	v_mov_b32_e32 v10, 0
	v_mov_b32_e32 v9, 0
	;; [unrolled: 1-line block ×4, first 2 shown]
	s_waitcnt lgkmcnt(0)
	s_add_u32 s2, s12, s40
	s_addc_u32 s3, s13, s41
	s_add_u32 s18, s18, s40
	s_addc_u32 s19, s19, s41
	s_load_dwordx2 s[12:13], s[2:3], 0x0
	s_load_dwordx2 s[34:35], s[18:19], 0x0
	v_cmp_lt_i64_e64 s2, s[36:37], 1
	s_ashr_i32 s7, s6, 31
	s_ashr_i32 s1, s0, 31
	s_lshl_b64 s[18:19], s[6:7], 5
	s_lshl_b64 s[38:39], s[0:1], 5
	s_and_b32 vcc_lo, exec_lo, s2
	s_cbranch_vccnz .LBB103_7
; %bb.1:
	s_clause 0x1
	s_load_dwordx4 s[0:3], s[4:5], 0x40
	s_load_dwordx8 s[20:27], s[4:5], 0x20
	v_lshl_add_u32 v2, v1, 4, v0
	v_mov_b32_e32 v3, s19
	v_and_b32_e32 v6, 7, v0
	v_mov_b32_e32 v7, 0
	v_lshlrev_b32_e32 v11, 2, v0
	v_lshrrev_b32_e32 v10, 3, v2
	v_lshrrev_b32_e32 v13, 5, v2
	v_and_b32_e32 v18, 31, v2
	v_lshlrev_b32_e32 v14, 2, v6
	v_lshl_add_u32 v12, v1, 5, 0x400
	v_add_co_u32 v4, s33, v10, s38
	v_add_co_ci_u32_e64 v5, null, 0, s39, s33
	v_or_b32_e32 v2, s18, v18
	v_lshlrev_b32_e32 v15, 2, v18
	v_lshl_or_b32 v10, v10, 5, v14
	s_waitcnt lgkmcnt(0)
	v_mul_lo_u32 v19, s1, v4
	v_mad_u64_u32 v[8:9], null, s22, v13, 0
	v_mul_lo_u32 v20, s0, v5
	v_mad_u64_u32 v[16:17], null, s0, v4, 0
	v_cmp_gt_i64_e64 s0, s[28:29], v[2:3]
	s_add_u32 s26, s26, s40
	s_addc_u32 s27, s27, s41
	v_mov_b32_e32 v2, v9
	s_add_u32 s20, s20, s40
	v_cmp_gt_i64_e64 s1, s[30:31], v[4:5]
	v_add3_u32 v17, v17, v20, v19
	s_load_dwordx2 s[26:27], s[26:27], 0x0
	v_mad_u64_u32 v[2:3], null, s23, v13, v[2:3]
	s_addc_u32 s21, s21, s41
	v_lshlrev_b64 v[3:4], 1, v[16:17]
	s_load_dwordx2 s[20:21], s[20:21], 0x0
	s_lshl_b64 s[2:3], s[2:3], 1
	v_lshl_or_b32 v14, v13, 7, v15
	v_add_nc_u32_e32 v15, 0x400, v10
	v_mov_b32_e32 v9, v2
	v_add_co_u32 v5, vcc_lo, v3, s2
	v_add_co_ci_u32_e64 v4, null, s3, v4, vcc_lo
	v_lshlrev_b64 v[2:3], 1, v[8:9]
	s_lshl_b64 s[2:3], s[6:7], 6
	s_lshl_b64 s[6:7], s[24:25], 1
	v_lshlrev_b32_e32 v8, 1, v6
	s_add_u32 s2, s6, s2
	s_addc_u32 s3, s7, s3
	v_add_co_u32 v2, vcc_lo, s2, v2
	v_lshlrev_b32_e32 v9, 1, v18
	v_add_co_ci_u32_e64 v3, null, s3, v3, vcc_lo
	v_add_co_u32 v5, vcc_lo, v5, v8
	v_add_co_ci_u32_e64 v4, null, 0, v4, vcc_lo
	v_add_co_u32 v8, vcc_lo, v2, v9
	v_add_co_ci_u32_e64 v9, null, 0, v3, vcc_lo
	s_waitcnt lgkmcnt(0)
	v_add_co_u32 v2, vcc_lo, s26, v5
	v_add_co_ci_u32_e64 v3, null, s27, v4, vcc_lo
	v_add_co_u32 v4, vcc_lo, s20, v8
	v_add_co_ci_u32_e64 v5, null, s21, v9, vcc_lo
	v_mov_b32_e32 v8, 0
	v_mov_b32_e32 v9, 0
	;; [unrolled: 1-line block ×3, first 2 shown]
	s_lshl_b64 s[2:3], s[22:23], 4
	s_mov_b64 s[6:7], 0
	s_branch .LBB103_3
.LBB103_2:                              ;   in Loop: Header=BB103_3 Depth=1
	s_or_b32 exec_lo, exec_lo, s20
	ds_write_b32 v15, v17
	s_waitcnt lgkmcnt(0)
	s_barrier
	buffer_gl0_inv
	ds_read_b128 v[16:19], v12
	ds_read2_b32 v[32:33], v11 offset1:16
	ds_read_b128 v[20:23], v12 offset:512
	ds_read2_b32 v[34:35], v11 offset0:32 offset1:48
	ds_read2_b32 v[36:37], v11 offset0:64 offset1:80
	;; [unrolled: 1-line block ×3, first 2 shown]
	ds_read_b128 v[24:27], v12 offset:16
	ds_read2_b32 v[40:41], v11 offset0:128 offset1:144
	ds_read_b128 v[28:31], v12 offset:528
	ds_read2_b32 v[42:43], v11 offset0:160 offset1:176
	s_add_u32 s6, s6, 8
	s_addc_u32 s7, s7, 0
	v_add_co_u32 v2, vcc_lo, v2, 16
	v_cmp_lt_i64_e64 s20, s[6:7], s[36:37]
	v_add_co_ci_u32_e64 v3, null, 0, v3, vcc_lo
	v_add_co_u32 v4, vcc_lo, v4, s2
	v_add_co_ci_u32_e64 v5, null, s3, v5, vcc_lo
	s_waitcnt lgkmcnt(8)
	v_fmac_f32_e32 v10, v32, v16
	v_fmac_f32_e32 v9, v33, v16
	s_waitcnt lgkmcnt(7)
	v_fmac_f32_e32 v8, v32, v20
	v_fmac_f32_e32 v7, v33, v20
	ds_read2_b32 v[32:33], v11 offset0:192 offset1:208
	s_waitcnt lgkmcnt(7)
	v_fmac_f32_e32 v10, v34, v17
	v_fmac_f32_e32 v9, v35, v17
	;; [unrolled: 1-line block ×4, first 2 shown]
	ds_read2_b32 v[16:17], v11 offset0:224 offset1:240
	s_waitcnt lgkmcnt(7)
	v_fmac_f32_e32 v10, v36, v18
	v_fmac_f32_e32 v9, v37, v18
	;; [unrolled: 1-line block ×4, first 2 shown]
	s_and_b32 vcc_lo, exec_lo, s20
	s_waitcnt lgkmcnt(6)
	v_fmac_f32_e32 v10, v38, v19
	v_fmac_f32_e32 v9, v39, v19
	;; [unrolled: 1-line block ×4, first 2 shown]
	s_waitcnt lgkmcnt(0)
	v_fmac_f32_e32 v10, v40, v24
	v_fmac_f32_e32 v9, v41, v24
	;; [unrolled: 1-line block ×4, first 2 shown]
	s_barrier
	v_fmac_f32_e32 v10, v42, v25
	v_fmac_f32_e32 v9, v43, v25
	;; [unrolled: 1-line block ×4, first 2 shown]
	buffer_gl0_inv
	v_fmac_f32_e32 v10, v32, v26
	v_fmac_f32_e32 v9, v33, v26
	;; [unrolled: 1-line block ×8, first 2 shown]
	s_cbranch_vccz .LBB103_7
.LBB103_3:                              ; =>This Inner Loop Header: Depth=1
	v_add_co_u32 v16, s20, v13, s6
	v_add_co_ci_u32_e64 v17, null, 0, s7, s20
	v_cmp_gt_i64_e32 vcc_lo, s[36:37], v[16:17]
	v_mov_b32_e32 v16, 0
	s_and_b32 s21, s0, vcc_lo
	s_and_saveexec_b32 s20, s21
	s_cbranch_execz .LBB103_5
; %bb.4:                                ;   in Loop: Header=BB103_3 Depth=1
	flat_load_ushort v16, v[4:5]
	s_waitcnt vmcnt(0) lgkmcnt(0)
	v_cvt_f32_f16_e32 v16, v16
.LBB103_5:                              ;   in Loop: Header=BB103_3 Depth=1
	s_or_b32 exec_lo, exec_lo, s20
	v_add_co_u32 v17, s20, v6, s6
	v_add_co_ci_u32_e64 v18, null, 0, s7, s20
	ds_write_b32 v14, v16
	v_cmp_gt_i64_e32 vcc_lo, s[36:37], v[17:18]
	v_mov_b32_e32 v17, 0
	s_and_b32 s21, vcc_lo, s1
	s_and_saveexec_b32 s20, s21
	s_cbranch_execz .LBB103_2
; %bb.6:                                ;   in Loop: Header=BB103_3 Depth=1
	flat_load_ushort v16, v[2:3]
	s_waitcnt vmcnt(0) lgkmcnt(0)
	v_cvt_f32_f16_e32 v17, v16
	s_branch .LBB103_2
.LBB103_7:
	s_clause 0x1
	s_load_dword s6, s[4:5], 0x50
	s_load_dword s3, s[4:5], 0x18
	v_add_co_u32 v1, s2, s38, v1
	v_add_co_ci_u32_e64 v2, null, s39, 0, s2
	s_lshl_b64 s[0:1], s[10:11], 1
	s_waitcnt lgkmcnt(0)
	s_add_u32 s4, s34, s0
	v_cmp_gt_i64_e64 s0, s[30:31], v[1:2]
	s_addc_u32 s5, s35, s1
	v_cmp_neq_f32_e64 s2, s6, 0
	s_and_b32 vcc_lo, exec_lo, s2
	s_cbranch_vccnz .LBB103_20
; %bb.8:
	s_and_saveexec_b32 s7, s0
	s_cbranch_execz .LBB103_18
; %bb.9:
	v_mul_lo_u32 v5, v2, s8
	v_mul_lo_u32 v6, v1, s9
	v_mad_u64_u32 v[3:4], null, v1, s8, 0
	v_add3_u32 v4, v4, v6, v5
	v_add_co_u32 v5, s1, s18, v0
	v_add_co_ci_u32_e64 v6, null, s19, 0, s1
	v_lshlrev_b64 v[11:12], 1, v[3:4]
	v_cmp_gt_i64_e32 vcc_lo, s[28:29], v[5:6]
	v_lshlrev_b64 v[3:4], 1, v[5:6]
	v_add_co_u32 v11, s1, s4, v11
	v_add_co_ci_u32_e64 v12, null, s5, v12, s1
	s_and_saveexec_b32 s2, vcc_lo
	s_cbranch_execz .LBB103_11
; %bb.10:
	v_add_co_u32 v13, s1, v11, v3
	v_add_co_ci_u32_e64 v14, null, v12, v4, s1
	v_fma_mixlo_f16 v15, s3, v10, 0
	flat_store_short v[13:14], v15
.LBB103_11:
	s_or_b32 exec_lo, exec_lo, s2
	v_add_co_u32 v5, s1, v5, 16
	v_add_co_ci_u32_e64 v6, null, 0, v6, s1
	v_cmp_gt_i64_e64 s1, s[28:29], v[5:6]
	s_and_saveexec_b32 s10, s1
	s_cbranch_execz .LBB103_13
; %bb.12:
	v_add_co_u32 v5, s2, v11, v3
	v_add_co_ci_u32_e64 v6, null, v12, v4, s2
	v_fma_mixlo_f16 v13, s3, v9, 0
	flat_store_short v[5:6], v13 offset:32
.LBB103_13:
	s_or_b32 exec_lo, exec_lo, s10
	v_add_co_u32 v5, s2, v1, 16
	v_add_co_ci_u32_e64 v6, null, 0, v2, s2
	v_cmp_gt_i64_e64 s2, s[30:31], v[5:6]
	s_and_b32 exec_lo, exec_lo, s2
	s_cbranch_execz .LBB103_18
; %bb.14:
	s_lshl_b64 s[10:11], s[8:9], 5
	v_add_co_u32 v5, s2, v11, s10
	v_add_co_ci_u32_e64 v6, null, s11, v12, s2
	v_add_co_u32 v3, s2, v5, v3
	v_add_co_ci_u32_e64 v4, null, v6, v4, s2
	s_and_saveexec_b32 s2, vcc_lo
	s_cbranch_execz .LBB103_16
; %bb.15:
	v_fma_mixlo_f16 v5, s3, v8, 0
	flat_store_short v[3:4], v5
.LBB103_16:
	s_or_b32 exec_lo, exec_lo, s2
	s_and_b32 exec_lo, exec_lo, s1
	s_cbranch_execz .LBB103_18
; %bb.17:
	v_fma_mixlo_f16 v5, s3, v7, 0
	flat_store_short v[3:4], v5 offset:32
.LBB103_18:
	s_or_b32 exec_lo, exec_lo, s7
	s_cbranch_execz .LBB103_21
.LBB103_19:
	s_endpgm
.LBB103_20:
.LBB103_21:
	s_and_saveexec_b32 s1, s0
	s_cbranch_execz .LBB103_19
; %bb.22:
	v_mul_lo_u32 v5, v2, s14
	v_mul_lo_u32 v6, v1, s15
	v_mad_u64_u32 v[3:4], null, v1, s14, 0
	v_mul_lo_u32 v13, v2, s8
	v_mul_lo_u32 v14, v1, s9
	v_mad_u64_u32 v[11:12], null, v1, s8, 0
	s_lshl_b64 s[0:1], s[16:17], 1
	v_add3_u32 v4, v4, v6, v5
	v_add_co_u32 v5, s2, s18, v0
	v_add_co_ci_u32_e64 v6, null, s19, 0, s2
	v_add3_u32 v12, v12, v14, v13
	v_lshlrev_b64 v[3:4], 1, v[3:4]
	s_add_u32 s0, s12, s0
	s_addc_u32 s1, s13, s1
	v_cmp_gt_i64_e32 vcc_lo, s[28:29], v[5:6]
	v_lshlrev_b64 v[12:13], 1, v[11:12]
	v_add_co_u32 v0, s0, s0, v3
	v_add_co_ci_u32_e64 v11, null, s1, v4, s0
	v_add_co_u32 v12, s0, s4, v12
	v_lshlrev_b64 v[3:4], 1, v[5:6]
	v_add_co_ci_u32_e64 v13, null, s5, v13, s0
	s_and_saveexec_b32 s1, vcc_lo
	s_cbranch_execz .LBB103_24
; %bb.23:
	v_add_co_u32 v14, s0, v0, v3
	v_add_co_ci_u32_e64 v15, null, v11, v4, s0
	flat_load_ushort v14, v[14:15]
	s_waitcnt vmcnt(0) lgkmcnt(0)
	v_cvt_f32_f16_e32 v14, v14
	v_mul_f32_e32 v14, s6, v14
	v_fma_mixlo_f16 v10, s3, v10, v14
	v_add_co_u32 v14, s0, v12, v3
	v_add_co_ci_u32_e64 v15, null, v13, v4, s0
	flat_store_short v[14:15], v10
.LBB103_24:
	s_or_b32 exec_lo, exec_lo, s1
	v_add_co_u32 v5, s0, v5, 16
	v_add_co_ci_u32_e64 v6, null, 0, v6, s0
	v_cmp_gt_i64_e64 s0, s[28:29], v[5:6]
	s_and_saveexec_b32 s2, s0
	s_cbranch_execz .LBB103_26
; %bb.25:
	v_add_co_u32 v5, s1, v0, v3
	v_add_co_ci_u32_e64 v6, null, v11, v4, s1
	flat_load_ushort v5, v[5:6] offset:32
	s_waitcnt vmcnt(0) lgkmcnt(0)
	v_cvt_f32_f16_e32 v5, v5
	v_mul_f32_e32 v5, s6, v5
	v_fma_mixlo_f16 v9, s3, v9, v5
	v_add_co_u32 v5, s1, v12, v3
	v_add_co_ci_u32_e64 v6, null, v13, v4, s1
	flat_store_short v[5:6], v9 offset:32
.LBB103_26:
	s_or_b32 exec_lo, exec_lo, s2
	v_add_co_u32 v1, s1, v1, 16
	v_add_co_ci_u32_e64 v2, null, 0, v2, s1
	v_cmp_gt_i64_e64 s1, s[30:31], v[1:2]
	s_and_b32 exec_lo, exec_lo, s1
	s_cbranch_execz .LBB103_19
; %bb.27:
	s_lshl_b64 s[4:5], s[14:15], 5
	v_add_co_u32 v0, s1, v0, s4
	v_add_co_ci_u32_e64 v1, null, s5, v11, s1
	s_lshl_b64 s[4:5], s[8:9], 5
	v_add_co_u32 v2, s1, v12, s4
	v_add_co_ci_u32_e64 v5, null, s5, v13, s1
	v_add_co_u32 v0, s1, v0, v3
	v_add_co_ci_u32_e64 v1, null, v1, v4, s1
	;; [unrolled: 2-line block ×3, first 2 shown]
	s_and_saveexec_b32 s1, vcc_lo
	s_cbranch_execz .LBB103_29
; %bb.28:
	flat_load_ushort v4, v[0:1]
	s_waitcnt vmcnt(0) lgkmcnt(0)
	v_cvt_f32_f16_e32 v4, v4
	v_mul_f32_e32 v4, s6, v4
	v_fma_mixlo_f16 v4, s3, v8, v4
	flat_store_short v[2:3], v4
.LBB103_29:
	s_or_b32 exec_lo, exec_lo, s1
	s_and_b32 exec_lo, exec_lo, s0
	s_cbranch_execz .LBB103_19
; %bb.30:
	flat_load_ushort v0, v[0:1] offset:32
	s_waitcnt vmcnt(0) lgkmcnt(0)
	v_cvt_f32_f16_e32 v0, v0
	v_mul_f32_e32 v0, s6, v0
	v_fma_mixlo_f16 v0, s3, v7, v0
	flat_store_short v[2:3], v0 offset:32
	s_endpgm
	.section	.rodata,"a",@progbits
	.p2align	6, 0x0
	.amdhsa_kernel _ZN12_GLOBAL__N_135rocblas_gemm_batched_general_kernelIfLi16ELi16ELi32ELi32ELi8ELi32ELi8ELi8ELi32ELc78ELc78EKPKDF16_S3_KPDF16_EEvlllT_PT11_llS8_llS6_PT12_llPT13_lli
		.amdhsa_group_segment_fixed_size 2048
		.amdhsa_private_segment_fixed_size 0
		.amdhsa_kernarg_size 140
		.amdhsa_user_sgpr_count 6
		.amdhsa_user_sgpr_private_segment_buffer 1
		.amdhsa_user_sgpr_dispatch_ptr 0
		.amdhsa_user_sgpr_queue_ptr 0
		.amdhsa_user_sgpr_kernarg_segment_ptr 1
		.amdhsa_user_sgpr_dispatch_id 0
		.amdhsa_user_sgpr_flat_scratch_init 0
		.amdhsa_user_sgpr_private_segment_size 0
		.amdhsa_wavefront_size32 1
		.amdhsa_uses_dynamic_stack 0
		.amdhsa_system_sgpr_private_segment_wavefront_offset 0
		.amdhsa_system_sgpr_workgroup_id_x 1
		.amdhsa_system_sgpr_workgroup_id_y 1
		.amdhsa_system_sgpr_workgroup_id_z 1
		.amdhsa_system_sgpr_workgroup_info 0
		.amdhsa_system_vgpr_workitem_id 1
		.amdhsa_next_free_vgpr 44
		.amdhsa_next_free_sgpr 42
		.amdhsa_reserve_vcc 1
		.amdhsa_reserve_flat_scratch 0
		.amdhsa_float_round_mode_32 0
		.amdhsa_float_round_mode_16_64 0
		.amdhsa_float_denorm_mode_32 3
		.amdhsa_float_denorm_mode_16_64 3
		.amdhsa_dx10_clamp 1
		.amdhsa_ieee_mode 1
		.amdhsa_fp16_overflow 0
		.amdhsa_workgroup_processor_mode 1
		.amdhsa_memory_ordered 1
		.amdhsa_forward_progress 1
		.amdhsa_shared_vgpr_count 0
		.amdhsa_exception_fp_ieee_invalid_op 0
		.amdhsa_exception_fp_denorm_src 0
		.amdhsa_exception_fp_ieee_div_zero 0
		.amdhsa_exception_fp_ieee_overflow 0
		.amdhsa_exception_fp_ieee_underflow 0
		.amdhsa_exception_fp_ieee_inexact 0
		.amdhsa_exception_int_div_zero 0
	.end_amdhsa_kernel
	.section	.text._ZN12_GLOBAL__N_135rocblas_gemm_batched_general_kernelIfLi16ELi16ELi32ELi32ELi8ELi32ELi8ELi8ELi32ELc78ELc78EKPKDF16_S3_KPDF16_EEvlllT_PT11_llS8_llS6_PT12_llPT13_lli,"axG",@progbits,_ZN12_GLOBAL__N_135rocblas_gemm_batched_general_kernelIfLi16ELi16ELi32ELi32ELi8ELi32ELi8ELi8ELi32ELc78ELc78EKPKDF16_S3_KPDF16_EEvlllT_PT11_llS8_llS6_PT12_llPT13_lli,comdat
.Lfunc_end103:
	.size	_ZN12_GLOBAL__N_135rocblas_gemm_batched_general_kernelIfLi16ELi16ELi32ELi32ELi8ELi32ELi8ELi8ELi32ELc78ELc78EKPKDF16_S3_KPDF16_EEvlllT_PT11_llS8_llS6_PT12_llPT13_lli, .Lfunc_end103-_ZN12_GLOBAL__N_135rocblas_gemm_batched_general_kernelIfLi16ELi16ELi32ELi32ELi8ELi32ELi8ELi8ELi32ELc78ELc78EKPKDF16_S3_KPDF16_EEvlllT_PT11_llS8_llS6_PT12_llPT13_lli
                                        ; -- End function
	.set _ZN12_GLOBAL__N_135rocblas_gemm_batched_general_kernelIfLi16ELi16ELi32ELi32ELi8ELi32ELi8ELi8ELi32ELc78ELc78EKPKDF16_S3_KPDF16_EEvlllT_PT11_llS8_llS6_PT12_llPT13_lli.num_vgpr, 44
	.set _ZN12_GLOBAL__N_135rocblas_gemm_batched_general_kernelIfLi16ELi16ELi32ELi32ELi8ELi32ELi8ELi8ELi32ELc78ELc78EKPKDF16_S3_KPDF16_EEvlllT_PT11_llS8_llS6_PT12_llPT13_lli.num_agpr, 0
	.set _ZN12_GLOBAL__N_135rocblas_gemm_batched_general_kernelIfLi16ELi16ELi32ELi32ELi8ELi32ELi8ELi8ELi32ELc78ELc78EKPKDF16_S3_KPDF16_EEvlllT_PT11_llS8_llS6_PT12_llPT13_lli.numbered_sgpr, 42
	.set _ZN12_GLOBAL__N_135rocblas_gemm_batched_general_kernelIfLi16ELi16ELi32ELi32ELi8ELi32ELi8ELi8ELi32ELc78ELc78EKPKDF16_S3_KPDF16_EEvlllT_PT11_llS8_llS6_PT12_llPT13_lli.num_named_barrier, 0
	.set _ZN12_GLOBAL__N_135rocblas_gemm_batched_general_kernelIfLi16ELi16ELi32ELi32ELi8ELi32ELi8ELi8ELi32ELc78ELc78EKPKDF16_S3_KPDF16_EEvlllT_PT11_llS8_llS6_PT12_llPT13_lli.private_seg_size, 0
	.set _ZN12_GLOBAL__N_135rocblas_gemm_batched_general_kernelIfLi16ELi16ELi32ELi32ELi8ELi32ELi8ELi8ELi32ELc78ELc78EKPKDF16_S3_KPDF16_EEvlllT_PT11_llS8_llS6_PT12_llPT13_lli.uses_vcc, 1
	.set _ZN12_GLOBAL__N_135rocblas_gemm_batched_general_kernelIfLi16ELi16ELi32ELi32ELi8ELi32ELi8ELi8ELi32ELc78ELc78EKPKDF16_S3_KPDF16_EEvlllT_PT11_llS8_llS6_PT12_llPT13_lli.uses_flat_scratch, 0
	.set _ZN12_GLOBAL__N_135rocblas_gemm_batched_general_kernelIfLi16ELi16ELi32ELi32ELi8ELi32ELi8ELi8ELi32ELc78ELc78EKPKDF16_S3_KPDF16_EEvlllT_PT11_llS8_llS6_PT12_llPT13_lli.has_dyn_sized_stack, 0
	.set _ZN12_GLOBAL__N_135rocblas_gemm_batched_general_kernelIfLi16ELi16ELi32ELi32ELi8ELi32ELi8ELi8ELi32ELc78ELc78EKPKDF16_S3_KPDF16_EEvlllT_PT11_llS8_llS6_PT12_llPT13_lli.has_recursion, 0
	.set _ZN12_GLOBAL__N_135rocblas_gemm_batched_general_kernelIfLi16ELi16ELi32ELi32ELi8ELi32ELi8ELi8ELi32ELc78ELc78EKPKDF16_S3_KPDF16_EEvlllT_PT11_llS8_llS6_PT12_llPT13_lli.has_indirect_call, 0
	.section	.AMDGPU.csdata,"",@progbits
; Kernel info:
; codeLenInByte = 1948
; TotalNumSgprs: 44
; NumVgprs: 44
; ScratchSize: 0
; MemoryBound: 0
; FloatMode: 240
; IeeeMode: 1
; LDSByteSize: 2048 bytes/workgroup (compile time only)
; SGPRBlocks: 0
; VGPRBlocks: 5
; NumSGPRsForWavesPerEU: 44
; NumVGPRsForWavesPerEU: 44
; Occupancy: 16
; WaveLimiterHint : 1
; COMPUTE_PGM_RSRC2:SCRATCH_EN: 0
; COMPUTE_PGM_RSRC2:USER_SGPR: 6
; COMPUTE_PGM_RSRC2:TRAP_HANDLER: 0
; COMPUTE_PGM_RSRC2:TGID_X_EN: 1
; COMPUTE_PGM_RSRC2:TGID_Y_EN: 1
; COMPUTE_PGM_RSRC2:TGID_Z_EN: 1
; COMPUTE_PGM_RSRC2:TIDIG_COMP_CNT: 1
	.section	.text._ZN12_GLOBAL__N_135rocblas_gemm_batched_general_kernelIfLi16ELi16ELi32ELi32ELi8ELi32ELi8ELi8ELi32ELc84ELc78EKPKDF16_S3_KPDF16_EEvlllT_PT11_llS8_llS6_PT12_llPT13_lli,"axG",@progbits,_ZN12_GLOBAL__N_135rocblas_gemm_batched_general_kernelIfLi16ELi16ELi32ELi32ELi8ELi32ELi8ELi8ELi32ELc84ELc78EKPKDF16_S3_KPDF16_EEvlllT_PT11_llS8_llS6_PT12_llPT13_lli,comdat
	.globl	_ZN12_GLOBAL__N_135rocblas_gemm_batched_general_kernelIfLi16ELi16ELi32ELi32ELi8ELi32ELi8ELi8ELi32ELc84ELc78EKPKDF16_S3_KPDF16_EEvlllT_PT11_llS8_llS6_PT12_llPT13_lli ; -- Begin function _ZN12_GLOBAL__N_135rocblas_gemm_batched_general_kernelIfLi16ELi16ELi32ELi32ELi8ELi32ELi8ELi8ELi32ELc84ELc78EKPKDF16_S3_KPDF16_EEvlllT_PT11_llS8_llS6_PT12_llPT13_lli
	.p2align	8
	.type	_ZN12_GLOBAL__N_135rocblas_gemm_batched_general_kernelIfLi16ELi16ELi32ELi32ELi8ELi32ELi8ELi8ELi32ELc84ELc78EKPKDF16_S3_KPDF16_EEvlllT_PT11_llS8_llS6_PT12_llPT13_lli,@function
_ZN12_GLOBAL__N_135rocblas_gemm_batched_general_kernelIfLi16ELi16ELi32ELi32ELi8ELi32ELi8ELi8ELi32ELc84ELc78EKPKDF16_S3_KPDF16_EEvlllT_PT11_llS8_llS6_PT12_llPT13_lli: ; @_ZN12_GLOBAL__N_135rocblas_gemm_batched_general_kernelIfLi16ELi16ELi32ELi32ELi8ELi32ELi8ELi8ELi32ELc84ELc78EKPKDF16_S3_KPDF16_EEvlllT_PT11_llS8_llS6_PT12_llPT13_lli
; %bb.0:
	s_clause 0x1
	s_load_dwordx8 s[12:19], s[4:5], 0x58
	s_load_dwordx2 s[34:35], s[4:5], 0x10
	s_mov_b32 s9, 0
	s_load_dwordx4 s[28:31], s[4:5], 0x0
	s_lshl_b64 s[38:39], s[8:9], 3
	s_load_dwordx4 s[8:11], s[4:5], 0x78
	s_mov_b32 s0, s7
	v_mov_b32_e32 v10, 0
	v_mov_b32_e32 v9, 0
	;; [unrolled: 1-line block ×4, first 2 shown]
	s_waitcnt lgkmcnt(0)
	s_add_u32 s2, s12, s38
	s_addc_u32 s3, s13, s39
	s_add_u32 s18, s18, s38
	s_addc_u32 s19, s19, s39
	s_load_dwordx2 s[12:13], s[2:3], 0x0
	s_load_dwordx2 s[18:19], s[18:19], 0x0
	v_cmp_lt_i64_e64 s2, s[34:35], 1
	s_ashr_i32 s7, s6, 31
	s_ashr_i32 s1, s0, 31
	s_lshl_b64 s[6:7], s[6:7], 5
	s_lshl_b64 s[36:37], s[0:1], 5
	s_and_b32 vcc_lo, exec_lo, s2
	s_cbranch_vccnz .LBB104_7
; %bb.1:
	s_clause 0x1
	s_load_dwordx8 s[20:27], s[4:5], 0x20
	s_load_dwordx4 s[0:3], s[4:5], 0x40
	v_lshl_add_u32 v2, v1, 4, v0
	v_mov_b32_e32 v3, s7
	v_and_b32_e32 v6, 7, v0
	v_mov_b32_e32 v7, 0
	v_lshrrev_b32_e32 v10, 3, v2
	v_and_b32_e32 v8, 31, v2
	v_lshrrev_b32_e32 v11, 5, v2
	v_lshlrev_b32_e32 v12, 2, v6
	v_add_co_u32 v4, s33, v10, s36
	v_add_co_ci_u32_e64 v5, null, 0, s37, s33
	v_or_b32_e32 v2, s6, v8
	v_lshlrev_b32_e32 v13, 2, v8
	v_lshl_or_b32 v10, v10, 5, v12
	s_waitcnt lgkmcnt(0)
	s_add_u32 s26, s26, s38
	v_mul_lo_u32 v14, s1, v4
	v_add_co_u32 v15, s1, s6, v8
	v_add_co_ci_u32_e64 v16, null, s7, 0, s1
	v_mul_lo_u32 v18, s0, v5
	v_mad_u64_u32 v[8:9], null, s0, v4, 0
	v_mul_lo_u32 v19, s23, v15
	v_mul_lo_u32 v20, s22, v16
	v_mad_u64_u32 v[16:17], null, s22, v15, 0
	s_addc_u32 s27, s27, s39
	s_add_u32 s20, s20, s38
	v_add3_u32 v9, v9, v18, v14
	s_load_dwordx2 s[26:27], s[26:27], 0x0
	s_addc_u32 s21, s21, s39
	v_cmp_gt_i64_e64 s0, s[28:29], v[2:3]
	v_add3_u32 v17, v17, v20, v19
	s_load_dwordx2 s[20:21], s[20:21], 0x0
	v_lshlrev_b64 v[2:3], 1, v[8:9]
	v_cmp_gt_i64_e64 s1, s[30:31], v[4:5]
	s_lshl_b64 s[2:3], s[2:3], 1
	v_lshlrev_b64 v[4:5], 1, v[16:17]
	v_lshlrev_b32_e32 v8, 1, v6
	v_lshlrev_b32_e32 v9, 1, v11
	v_add_co_u32 v2, vcc_lo, v2, s2
	v_add_co_ci_u32_e64 v3, null, s3, v3, vcc_lo
	s_lshl_b64 s[2:3], s[24:25], 1
	v_lshl_or_b32 v12, v11, 7, v13
	v_add_co_u32 v4, vcc_lo, v4, s2
	v_add_co_ci_u32_e64 v5, null, s3, v5, vcc_lo
	v_add_co_u32 v2, vcc_lo, v2, v8
	v_add_co_ci_u32_e64 v3, null, 0, v3, vcc_lo
	;; [unrolled: 2-line block ×3, first 2 shown]
	s_waitcnt lgkmcnt(0)
	v_add_co_u32 v2, vcc_lo, s26, v2
	v_add_co_ci_u32_e64 v3, null, s27, v3, vcc_lo
	v_add_co_u32 v4, vcc_lo, s20, v4
	v_add_nc_u32_e32 v13, 0x400, v10
	v_lshlrev_b32_e32 v14, 2, v0
	v_lshl_add_u32 v15, v1, 5, 0x400
	v_add_co_ci_u32_e64 v5, null, s21, v5, vcc_lo
	v_mov_b32_e32 v8, 0
	v_mov_b32_e32 v9, 0
	;; [unrolled: 1-line block ×3, first 2 shown]
	s_mov_b64 s[2:3], 0
	s_branch .LBB104_3
.LBB104_2:                              ;   in Loop: Header=BB104_3 Depth=1
	s_or_b32 exec_lo, exec_lo, s20
	ds_write_b32 v13, v17
	s_waitcnt lgkmcnt(0)
	s_barrier
	buffer_gl0_inv
	ds_read_b128 v[16:19], v15
	ds_read2_b32 v[32:33], v14 offset1:16
	ds_read_b128 v[20:23], v15 offset:512
	ds_read2_b32 v[34:35], v14 offset0:32 offset1:48
	ds_read2_b32 v[36:37], v14 offset0:64 offset1:80
	;; [unrolled: 1-line block ×3, first 2 shown]
	ds_read_b128 v[24:27], v15 offset:16
	ds_read2_b32 v[40:41], v14 offset0:128 offset1:144
	ds_read_b128 v[28:31], v15 offset:528
	ds_read2_b32 v[42:43], v14 offset0:160 offset1:176
	s_add_u32 s2, s2, 8
	s_addc_u32 s3, s3, 0
	v_add_co_u32 v2, vcc_lo, v2, 16
	v_cmp_lt_i64_e64 s20, s[2:3], s[34:35]
	v_add_co_ci_u32_e64 v3, null, 0, v3, vcc_lo
	v_add_co_u32 v4, vcc_lo, v4, 16
	v_add_co_ci_u32_e64 v5, null, 0, v5, vcc_lo
	s_waitcnt lgkmcnt(8)
	v_fmac_f32_e32 v10, v32, v16
	v_fmac_f32_e32 v9, v33, v16
	s_waitcnt lgkmcnt(7)
	v_fmac_f32_e32 v8, v32, v20
	v_fmac_f32_e32 v7, v33, v20
	ds_read2_b32 v[32:33], v14 offset0:192 offset1:208
	s_waitcnt lgkmcnt(7)
	v_fmac_f32_e32 v10, v34, v17
	v_fmac_f32_e32 v9, v35, v17
	;; [unrolled: 1-line block ×4, first 2 shown]
	ds_read2_b32 v[16:17], v14 offset0:224 offset1:240
	s_waitcnt lgkmcnt(7)
	v_fmac_f32_e32 v10, v36, v18
	v_fmac_f32_e32 v9, v37, v18
	;; [unrolled: 1-line block ×4, first 2 shown]
	s_and_b32 vcc_lo, exec_lo, s20
	s_waitcnt lgkmcnt(6)
	v_fmac_f32_e32 v10, v38, v19
	v_fmac_f32_e32 v9, v39, v19
	;; [unrolled: 1-line block ×4, first 2 shown]
	s_waitcnt lgkmcnt(0)
	v_fmac_f32_e32 v10, v40, v24
	v_fmac_f32_e32 v9, v41, v24
	;; [unrolled: 1-line block ×4, first 2 shown]
	s_barrier
	v_fmac_f32_e32 v10, v42, v25
	v_fmac_f32_e32 v9, v43, v25
	;; [unrolled: 1-line block ×4, first 2 shown]
	buffer_gl0_inv
	v_fmac_f32_e32 v10, v32, v26
	v_fmac_f32_e32 v9, v33, v26
	;; [unrolled: 1-line block ×8, first 2 shown]
	s_cbranch_vccz .LBB104_7
.LBB104_3:                              ; =>This Inner Loop Header: Depth=1
	v_add_co_u32 v16, s20, v11, s2
	v_add_co_ci_u32_e64 v17, null, 0, s3, s20
	v_cmp_gt_i64_e32 vcc_lo, s[34:35], v[16:17]
	v_mov_b32_e32 v16, 0
	s_and_b32 s21, s0, vcc_lo
	s_and_saveexec_b32 s20, s21
	s_cbranch_execz .LBB104_5
; %bb.4:                                ;   in Loop: Header=BB104_3 Depth=1
	flat_load_ushort v16, v[4:5]
	s_waitcnt vmcnt(0) lgkmcnt(0)
	v_cvt_f32_f16_e32 v16, v16
.LBB104_5:                              ;   in Loop: Header=BB104_3 Depth=1
	s_or_b32 exec_lo, exec_lo, s20
	v_add_co_u32 v17, s20, v6, s2
	v_add_co_ci_u32_e64 v18, null, 0, s3, s20
	ds_write_b32 v12, v16
	v_cmp_gt_i64_e32 vcc_lo, s[34:35], v[17:18]
	v_mov_b32_e32 v17, 0
	s_and_b32 s21, vcc_lo, s1
	s_and_saveexec_b32 s20, s21
	s_cbranch_execz .LBB104_2
; %bb.6:                                ;   in Loop: Header=BB104_3 Depth=1
	flat_load_ushort v16, v[2:3]
	s_waitcnt vmcnt(0) lgkmcnt(0)
	v_cvt_f32_f16_e32 v17, v16
	s_branch .LBB104_2
.LBB104_7:
	s_clause 0x1
	s_load_dword s20, s[4:5], 0x50
	s_load_dword s3, s[4:5], 0x18
	v_add_co_u32 v1, s2, s36, v1
	v_add_co_ci_u32_e64 v2, null, s37, 0, s2
	s_lshl_b64 s[0:1], s[10:11], 1
	s_waitcnt lgkmcnt(0)
	s_add_u32 s4, s18, s0
	v_cmp_gt_i64_e64 s0, s[30:31], v[1:2]
	s_addc_u32 s5, s19, s1
	v_cmp_neq_f32_e64 s2, s20, 0
	s_and_b32 vcc_lo, exec_lo, s2
	s_cbranch_vccnz .LBB104_20
; %bb.8:
	s_and_saveexec_b32 s10, s0
	s_cbranch_execz .LBB104_18
; %bb.9:
	v_mul_lo_u32 v5, v2, s8
	v_mul_lo_u32 v6, v1, s9
	v_mad_u64_u32 v[3:4], null, v1, s8, 0
	v_add3_u32 v4, v4, v6, v5
	v_add_co_u32 v5, s1, s6, v0
	v_add_co_ci_u32_e64 v6, null, s7, 0, s1
	v_lshlrev_b64 v[11:12], 1, v[3:4]
	v_cmp_gt_i64_e32 vcc_lo, s[28:29], v[5:6]
	v_lshlrev_b64 v[3:4], 1, v[5:6]
	v_add_co_u32 v11, s1, s4, v11
	v_add_co_ci_u32_e64 v12, null, s5, v12, s1
	s_and_saveexec_b32 s2, vcc_lo
	s_cbranch_execz .LBB104_11
; %bb.10:
	v_add_co_u32 v13, s1, v11, v3
	v_add_co_ci_u32_e64 v14, null, v12, v4, s1
	v_fma_mixlo_f16 v15, s3, v10, 0
	flat_store_short v[13:14], v15
.LBB104_11:
	s_or_b32 exec_lo, exec_lo, s2
	v_add_co_u32 v5, s1, v5, 16
	v_add_co_ci_u32_e64 v6, null, 0, v6, s1
	v_cmp_gt_i64_e64 s1, s[28:29], v[5:6]
	s_and_saveexec_b32 s11, s1
	s_cbranch_execz .LBB104_13
; %bb.12:
	v_add_co_u32 v5, s2, v11, v3
	v_add_co_ci_u32_e64 v6, null, v12, v4, s2
	v_fma_mixlo_f16 v13, s3, v9, 0
	flat_store_short v[5:6], v13 offset:32
.LBB104_13:
	s_or_b32 exec_lo, exec_lo, s11
	v_add_co_u32 v5, s2, v1, 16
	v_add_co_ci_u32_e64 v6, null, 0, v2, s2
	v_cmp_gt_i64_e64 s2, s[30:31], v[5:6]
	s_and_b32 exec_lo, exec_lo, s2
	s_cbranch_execz .LBB104_18
; %bb.14:
	s_lshl_b64 s[18:19], s[8:9], 5
	v_add_co_u32 v5, s2, v11, s18
	v_add_co_ci_u32_e64 v6, null, s19, v12, s2
	v_add_co_u32 v3, s2, v5, v3
	v_add_co_ci_u32_e64 v4, null, v6, v4, s2
	s_and_saveexec_b32 s2, vcc_lo
	s_cbranch_execz .LBB104_16
; %bb.15:
	v_fma_mixlo_f16 v5, s3, v8, 0
	flat_store_short v[3:4], v5
.LBB104_16:
	s_or_b32 exec_lo, exec_lo, s2
	s_and_b32 exec_lo, exec_lo, s1
	s_cbranch_execz .LBB104_18
; %bb.17:
	v_fma_mixlo_f16 v5, s3, v7, 0
	flat_store_short v[3:4], v5 offset:32
.LBB104_18:
	s_or_b32 exec_lo, exec_lo, s10
	s_cbranch_execz .LBB104_21
.LBB104_19:
	s_endpgm
.LBB104_20:
.LBB104_21:
	s_and_saveexec_b32 s1, s0
	s_cbranch_execz .LBB104_19
; %bb.22:
	v_mul_lo_u32 v5, v2, s14
	v_mul_lo_u32 v6, v1, s15
	v_mad_u64_u32 v[3:4], null, v1, s14, 0
	v_mul_lo_u32 v13, v2, s8
	v_mul_lo_u32 v14, v1, s9
	v_mad_u64_u32 v[11:12], null, v1, s8, 0
	s_lshl_b64 s[0:1], s[16:17], 1
	v_add3_u32 v4, v4, v6, v5
	v_add_co_u32 v5, s2, s6, v0
	v_add_co_ci_u32_e64 v6, null, s7, 0, s2
	v_add3_u32 v12, v12, v14, v13
	v_lshlrev_b64 v[3:4], 1, v[3:4]
	s_add_u32 s0, s12, s0
	s_addc_u32 s1, s13, s1
	v_cmp_gt_i64_e32 vcc_lo, s[28:29], v[5:6]
	v_lshlrev_b64 v[12:13], 1, v[11:12]
	v_add_co_u32 v0, s0, s0, v3
	v_add_co_ci_u32_e64 v11, null, s1, v4, s0
	v_add_co_u32 v12, s0, s4, v12
	v_lshlrev_b64 v[3:4], 1, v[5:6]
	v_add_co_ci_u32_e64 v13, null, s5, v13, s0
	s_and_saveexec_b32 s1, vcc_lo
	s_cbranch_execz .LBB104_24
; %bb.23:
	v_add_co_u32 v14, s0, v0, v3
	v_add_co_ci_u32_e64 v15, null, v11, v4, s0
	flat_load_ushort v14, v[14:15]
	s_waitcnt vmcnt(0) lgkmcnt(0)
	v_cvt_f32_f16_e32 v14, v14
	v_mul_f32_e32 v14, s20, v14
	v_fma_mixlo_f16 v10, s3, v10, v14
	v_add_co_u32 v14, s0, v12, v3
	v_add_co_ci_u32_e64 v15, null, v13, v4, s0
	flat_store_short v[14:15], v10
.LBB104_24:
	s_or_b32 exec_lo, exec_lo, s1
	v_add_co_u32 v5, s0, v5, 16
	v_add_co_ci_u32_e64 v6, null, 0, v6, s0
	v_cmp_gt_i64_e64 s0, s[28:29], v[5:6]
	s_and_saveexec_b32 s2, s0
	s_cbranch_execz .LBB104_26
; %bb.25:
	v_add_co_u32 v5, s1, v0, v3
	v_add_co_ci_u32_e64 v6, null, v11, v4, s1
	flat_load_ushort v5, v[5:6] offset:32
	s_waitcnt vmcnt(0) lgkmcnt(0)
	v_cvt_f32_f16_e32 v5, v5
	v_mul_f32_e32 v5, s20, v5
	v_fma_mixlo_f16 v9, s3, v9, v5
	v_add_co_u32 v5, s1, v12, v3
	v_add_co_ci_u32_e64 v6, null, v13, v4, s1
	flat_store_short v[5:6], v9 offset:32
.LBB104_26:
	s_or_b32 exec_lo, exec_lo, s2
	v_add_co_u32 v1, s1, v1, 16
	v_add_co_ci_u32_e64 v2, null, 0, v2, s1
	v_cmp_gt_i64_e64 s1, s[30:31], v[1:2]
	s_and_b32 exec_lo, exec_lo, s1
	s_cbranch_execz .LBB104_19
; %bb.27:
	s_lshl_b64 s[4:5], s[14:15], 5
	v_add_co_u32 v0, s1, v0, s4
	v_add_co_ci_u32_e64 v1, null, s5, v11, s1
	s_lshl_b64 s[4:5], s[8:9], 5
	v_add_co_u32 v2, s1, v12, s4
	v_add_co_ci_u32_e64 v5, null, s5, v13, s1
	v_add_co_u32 v0, s1, v0, v3
	v_add_co_ci_u32_e64 v1, null, v1, v4, s1
	;; [unrolled: 2-line block ×3, first 2 shown]
	s_and_saveexec_b32 s1, vcc_lo
	s_cbranch_execz .LBB104_29
; %bb.28:
	flat_load_ushort v4, v[0:1]
	s_waitcnt vmcnt(0) lgkmcnt(0)
	v_cvt_f32_f16_e32 v4, v4
	v_mul_f32_e32 v4, s20, v4
	v_fma_mixlo_f16 v4, s3, v8, v4
	flat_store_short v[2:3], v4
.LBB104_29:
	s_or_b32 exec_lo, exec_lo, s1
	s_and_b32 exec_lo, exec_lo, s0
	s_cbranch_execz .LBB104_19
; %bb.30:
	flat_load_ushort v0, v[0:1] offset:32
	s_waitcnt vmcnt(0) lgkmcnt(0)
	v_cvt_f32_f16_e32 v0, v0
	v_mul_f32_e32 v0, s20, v0
	v_fma_mixlo_f16 v0, s3, v7, v0
	flat_store_short v[2:3], v0 offset:32
	s_endpgm
	.section	.rodata,"a",@progbits
	.p2align	6, 0x0
	.amdhsa_kernel _ZN12_GLOBAL__N_135rocblas_gemm_batched_general_kernelIfLi16ELi16ELi32ELi32ELi8ELi32ELi8ELi8ELi32ELc84ELc78EKPKDF16_S3_KPDF16_EEvlllT_PT11_llS8_llS6_PT12_llPT13_lli
		.amdhsa_group_segment_fixed_size 2048
		.amdhsa_private_segment_fixed_size 0
		.amdhsa_kernarg_size 140
		.amdhsa_user_sgpr_count 6
		.amdhsa_user_sgpr_private_segment_buffer 1
		.amdhsa_user_sgpr_dispatch_ptr 0
		.amdhsa_user_sgpr_queue_ptr 0
		.amdhsa_user_sgpr_kernarg_segment_ptr 1
		.amdhsa_user_sgpr_dispatch_id 0
		.amdhsa_user_sgpr_flat_scratch_init 0
		.amdhsa_user_sgpr_private_segment_size 0
		.amdhsa_wavefront_size32 1
		.amdhsa_uses_dynamic_stack 0
		.amdhsa_system_sgpr_private_segment_wavefront_offset 0
		.amdhsa_system_sgpr_workgroup_id_x 1
		.amdhsa_system_sgpr_workgroup_id_y 1
		.amdhsa_system_sgpr_workgroup_id_z 1
		.amdhsa_system_sgpr_workgroup_info 0
		.amdhsa_system_vgpr_workitem_id 1
		.amdhsa_next_free_vgpr 44
		.amdhsa_next_free_sgpr 40
		.amdhsa_reserve_vcc 1
		.amdhsa_reserve_flat_scratch 0
		.amdhsa_float_round_mode_32 0
		.amdhsa_float_round_mode_16_64 0
		.amdhsa_float_denorm_mode_32 3
		.amdhsa_float_denorm_mode_16_64 3
		.amdhsa_dx10_clamp 1
		.amdhsa_ieee_mode 1
		.amdhsa_fp16_overflow 0
		.amdhsa_workgroup_processor_mode 1
		.amdhsa_memory_ordered 1
		.amdhsa_forward_progress 1
		.amdhsa_shared_vgpr_count 0
		.amdhsa_exception_fp_ieee_invalid_op 0
		.amdhsa_exception_fp_denorm_src 0
		.amdhsa_exception_fp_ieee_div_zero 0
		.amdhsa_exception_fp_ieee_overflow 0
		.amdhsa_exception_fp_ieee_underflow 0
		.amdhsa_exception_fp_ieee_inexact 0
		.amdhsa_exception_int_div_zero 0
	.end_amdhsa_kernel
	.section	.text._ZN12_GLOBAL__N_135rocblas_gemm_batched_general_kernelIfLi16ELi16ELi32ELi32ELi8ELi32ELi8ELi8ELi32ELc84ELc78EKPKDF16_S3_KPDF16_EEvlllT_PT11_llS8_llS6_PT12_llPT13_lli,"axG",@progbits,_ZN12_GLOBAL__N_135rocblas_gemm_batched_general_kernelIfLi16ELi16ELi32ELi32ELi8ELi32ELi8ELi8ELi32ELc84ELc78EKPKDF16_S3_KPDF16_EEvlllT_PT11_llS8_llS6_PT12_llPT13_lli,comdat
.Lfunc_end104:
	.size	_ZN12_GLOBAL__N_135rocblas_gemm_batched_general_kernelIfLi16ELi16ELi32ELi32ELi8ELi32ELi8ELi8ELi32ELc84ELc78EKPKDF16_S3_KPDF16_EEvlllT_PT11_llS8_llS6_PT12_llPT13_lli, .Lfunc_end104-_ZN12_GLOBAL__N_135rocblas_gemm_batched_general_kernelIfLi16ELi16ELi32ELi32ELi8ELi32ELi8ELi8ELi32ELc84ELc78EKPKDF16_S3_KPDF16_EEvlllT_PT11_llS8_llS6_PT12_llPT13_lli
                                        ; -- End function
	.set _ZN12_GLOBAL__N_135rocblas_gemm_batched_general_kernelIfLi16ELi16ELi32ELi32ELi8ELi32ELi8ELi8ELi32ELc84ELc78EKPKDF16_S3_KPDF16_EEvlllT_PT11_llS8_llS6_PT12_llPT13_lli.num_vgpr, 44
	.set _ZN12_GLOBAL__N_135rocblas_gemm_batched_general_kernelIfLi16ELi16ELi32ELi32ELi8ELi32ELi8ELi8ELi32ELc84ELc78EKPKDF16_S3_KPDF16_EEvlllT_PT11_llS8_llS6_PT12_llPT13_lli.num_agpr, 0
	.set _ZN12_GLOBAL__N_135rocblas_gemm_batched_general_kernelIfLi16ELi16ELi32ELi32ELi8ELi32ELi8ELi8ELi32ELc84ELc78EKPKDF16_S3_KPDF16_EEvlllT_PT11_llS8_llS6_PT12_llPT13_lli.numbered_sgpr, 40
	.set _ZN12_GLOBAL__N_135rocblas_gemm_batched_general_kernelIfLi16ELi16ELi32ELi32ELi8ELi32ELi8ELi8ELi32ELc84ELc78EKPKDF16_S3_KPDF16_EEvlllT_PT11_llS8_llS6_PT12_llPT13_lli.num_named_barrier, 0
	.set _ZN12_GLOBAL__N_135rocblas_gemm_batched_general_kernelIfLi16ELi16ELi32ELi32ELi8ELi32ELi8ELi8ELi32ELc84ELc78EKPKDF16_S3_KPDF16_EEvlllT_PT11_llS8_llS6_PT12_llPT13_lli.private_seg_size, 0
	.set _ZN12_GLOBAL__N_135rocblas_gemm_batched_general_kernelIfLi16ELi16ELi32ELi32ELi8ELi32ELi8ELi8ELi32ELc84ELc78EKPKDF16_S3_KPDF16_EEvlllT_PT11_llS8_llS6_PT12_llPT13_lli.uses_vcc, 1
	.set _ZN12_GLOBAL__N_135rocblas_gemm_batched_general_kernelIfLi16ELi16ELi32ELi32ELi8ELi32ELi8ELi8ELi32ELc84ELc78EKPKDF16_S3_KPDF16_EEvlllT_PT11_llS8_llS6_PT12_llPT13_lli.uses_flat_scratch, 0
	.set _ZN12_GLOBAL__N_135rocblas_gemm_batched_general_kernelIfLi16ELi16ELi32ELi32ELi8ELi32ELi8ELi8ELi32ELc84ELc78EKPKDF16_S3_KPDF16_EEvlllT_PT11_llS8_llS6_PT12_llPT13_lli.has_dyn_sized_stack, 0
	.set _ZN12_GLOBAL__N_135rocblas_gemm_batched_general_kernelIfLi16ELi16ELi32ELi32ELi8ELi32ELi8ELi8ELi32ELc84ELc78EKPKDF16_S3_KPDF16_EEvlllT_PT11_llS8_llS6_PT12_llPT13_lli.has_recursion, 0
	.set _ZN12_GLOBAL__N_135rocblas_gemm_batched_general_kernelIfLi16ELi16ELi32ELi32ELi8ELi32ELi8ELi8ELi32ELc84ELc78EKPKDF16_S3_KPDF16_EEvlllT_PT11_llS8_llS6_PT12_llPT13_lli.has_indirect_call, 0
	.section	.AMDGPU.csdata,"",@progbits
; Kernel info:
; codeLenInByte = 1956
; TotalNumSgprs: 42
; NumVgprs: 44
; ScratchSize: 0
; MemoryBound: 0
; FloatMode: 240
; IeeeMode: 1
; LDSByteSize: 2048 bytes/workgroup (compile time only)
; SGPRBlocks: 0
; VGPRBlocks: 5
; NumSGPRsForWavesPerEU: 42
; NumVGPRsForWavesPerEU: 44
; Occupancy: 16
; WaveLimiterHint : 1
; COMPUTE_PGM_RSRC2:SCRATCH_EN: 0
; COMPUTE_PGM_RSRC2:USER_SGPR: 6
; COMPUTE_PGM_RSRC2:TRAP_HANDLER: 0
; COMPUTE_PGM_RSRC2:TGID_X_EN: 1
; COMPUTE_PGM_RSRC2:TGID_Y_EN: 1
; COMPUTE_PGM_RSRC2:TGID_Z_EN: 1
; COMPUTE_PGM_RSRC2:TIDIG_COMP_CNT: 1
	.section	.text._ZN12_GLOBAL__N_135rocblas_gemm_batched_general_kernelIfLi16ELi16ELi32ELi32ELi8ELi32ELi8ELi8ELi32ELc78ELc84EKPKDF16_S3_KPDF16_EEvlllT_PT11_llS8_llS6_PT12_llPT13_lli,"axG",@progbits,_ZN12_GLOBAL__N_135rocblas_gemm_batched_general_kernelIfLi16ELi16ELi32ELi32ELi8ELi32ELi8ELi8ELi32ELc78ELc84EKPKDF16_S3_KPDF16_EEvlllT_PT11_llS8_llS6_PT12_llPT13_lli,comdat
	.globl	_ZN12_GLOBAL__N_135rocblas_gemm_batched_general_kernelIfLi16ELi16ELi32ELi32ELi8ELi32ELi8ELi8ELi32ELc78ELc84EKPKDF16_S3_KPDF16_EEvlllT_PT11_llS8_llS6_PT12_llPT13_lli ; -- Begin function _ZN12_GLOBAL__N_135rocblas_gemm_batched_general_kernelIfLi16ELi16ELi32ELi32ELi8ELi32ELi8ELi8ELi32ELc78ELc84EKPKDF16_S3_KPDF16_EEvlllT_PT11_llS8_llS6_PT12_llPT13_lli
	.p2align	8
	.type	_ZN12_GLOBAL__N_135rocblas_gemm_batched_general_kernelIfLi16ELi16ELi32ELi32ELi8ELi32ELi8ELi8ELi32ELc78ELc84EKPKDF16_S3_KPDF16_EEvlllT_PT11_llS8_llS6_PT12_llPT13_lli,@function
_ZN12_GLOBAL__N_135rocblas_gemm_batched_general_kernelIfLi16ELi16ELi32ELi32ELi8ELi32ELi8ELi8ELi32ELc78ELc84EKPKDF16_S3_KPDF16_EEvlllT_PT11_llS8_llS6_PT12_llPT13_lli: ; @_ZN12_GLOBAL__N_135rocblas_gemm_batched_general_kernelIfLi16ELi16ELi32ELi32ELi8ELi32ELi8ELi8ELi32ELc78ELc84EKPKDF16_S3_KPDF16_EEvlllT_PT11_llS8_llS6_PT12_llPT13_lli
; %bb.0:
	s_clause 0x1
	s_load_dwordx8 s[12:19], s[4:5], 0x58
	s_load_dwordx2 s[34:35], s[4:5], 0x10
	s_mov_b32 s9, 0
	s_load_dwordx4 s[28:31], s[4:5], 0x0
	s_lshl_b64 s[44:45], s[8:9], 3
	s_load_dwordx4 s[8:11], s[4:5], 0x78
	s_mov_b32 s42, s7
	v_mov_b32_e32 v10, 0
	v_mov_b32_e32 v9, 0
	;; [unrolled: 1-line block ×4, first 2 shown]
	s_waitcnt lgkmcnt(0)
	s_add_u32 s0, s12, s44
	s_addc_u32 s1, s13, s45
	s_add_u32 s2, s18, s44
	s_addc_u32 s3, s19, s45
	s_load_dwordx2 s[12:13], s[0:1], 0x0
	s_load_dwordx2 s[2:3], s[2:3], 0x0
	v_cmp_lt_i64_e64 s0, s[34:35], 1
	s_ashr_i32 s7, s6, 31
	s_ashr_i32 s43, s42, 31
	s_lshl_b64 s[18:19], s[6:7], 5
	s_lshl_b64 s[40:41], s[42:43], 5
	s_and_b32 vcc_lo, exec_lo, s0
	s_cbranch_vccnz .LBB105_7
; %bb.1:
	s_clause 0x1
	s_load_dwordx4 s[36:39], s[4:5], 0x40
	s_load_dwordx8 s[20:27], s[4:5], 0x20
	v_lshl_add_u32 v2, v1, 4, v0
	v_and_b32_e32 v6, 7, v0
	v_mov_b32_e32 v3, s19
	v_mov_b32_e32 v7, 0
	v_lshlrev_b32_e32 v11, 2, v0
	v_lshrrev_b32_e32 v13, 5, v2
	v_and_b32_e32 v18, 31, v2
	v_lshrrev_b32_e32 v10, 3, v2
	v_lshlrev_b32_e32 v14, 2, v6
	v_lshl_add_u32 v12, v1, 5, 0x400
	v_or_b32_e32 v2, s18, v18
	v_add_co_u32 v4, s0, v10, s40
	v_add_co_ci_u32_e64 v5, null, 0, s41, s0
	v_cmp_gt_i64_e64 s0, s[28:29], v[2:3]
	v_lshl_or_b32 v19, v10, 5, v14
	s_waitcnt lgkmcnt(0)
	v_mad_u64_u32 v[8:9], null, s36, v6, 0
	v_mad_u64_u32 v[16:17], null, s22, v13, 0
	v_cmp_gt_i64_e64 s1, s[30:31], v[4:5]
	s_add_u32 s26, s26, s44
	s_addc_u32 s27, s27, s45
	s_add_u32 s20, s20, s44
	v_mov_b32_e32 v2, v9
	s_load_dwordx2 s[26:27], s[26:27], 0x0
	v_mov_b32_e32 v3, v17
	s_addc_u32 s21, s21, s45
	s_lshl_b64 s[42:43], s[42:43], 6
	s_load_dwordx2 s[20:21], s[20:21], 0x0
	s_lshl_b64 s[38:39], s[38:39], 1
	v_mad_u64_u32 v[4:5], null, s37, v6, v[2:3]
	s_add_u32 s33, s38, s42
	s_addc_u32 s42, s39, s43
	s_lshl_b64 s[38:39], s[6:7], 6
	s_lshl_b64 s[24:25], s[24:25], 1
	;; [unrolled: 1-line block ×3, first 2 shown]
	v_lshlrev_b32_e32 v10, 1, v10
	v_mad_u64_u32 v[2:3], null, s23, v13, v[3:4]
	v_mov_b32_e32 v9, v4
	s_add_u32 s24, s24, s38
	s_addc_u32 s25, s25, s39
	v_lshlrev_b32_e32 v15, 2, v18
	v_mov_b32_e32 v17, v2
	v_lshlrev_b64 v[2:3], 1, v[8:9]
	v_lshlrev_b32_e32 v8, 1, v18
	v_lshl_or_b32 v14, v13, 7, v15
	v_add_nc_u32_e32 v15, 0x400, v19
	v_lshlrev_b64 v[4:5], 1, v[16:17]
	v_mov_b32_e32 v9, 0
	v_add_co_u32 v2, vcc_lo, s33, v2
	v_add_co_ci_u32_e64 v3, null, s42, v3, vcc_lo
	v_add_co_u32 v4, vcc_lo, s24, v4
	v_add_co_ci_u32_e64 v5, null, s25, v5, vcc_lo
	;; [unrolled: 2-line block ×4, first 2 shown]
	s_waitcnt lgkmcnt(0)
	v_add_co_u32 v2, vcc_lo, s26, v2
	v_add_co_ci_u32_e64 v3, null, s27, v3, vcc_lo
	v_add_co_u32 v4, vcc_lo, s20, v4
	v_add_co_ci_u32_e64 v5, null, s21, v5, vcc_lo
	v_mov_b32_e32 v8, 0
	v_mov_b32_e32 v10, 0
	s_lshl_b64 s[20:21], s[22:23], 4
	s_mov_b64 s[22:23], 0
	s_branch .LBB105_3
.LBB105_2:                              ;   in Loop: Header=BB105_3 Depth=1
	s_or_b32 exec_lo, exec_lo, s24
	ds_write_b32 v15, v17
	s_waitcnt lgkmcnt(0)
	s_barrier
	buffer_gl0_inv
	ds_read_b128 v[16:19], v12
	ds_read2_b32 v[32:33], v11 offset1:16
	ds_read_b128 v[20:23], v12 offset:512
	ds_read2_b32 v[34:35], v11 offset0:32 offset1:48
	ds_read2_b32 v[36:37], v11 offset0:64 offset1:80
	;; [unrolled: 1-line block ×3, first 2 shown]
	ds_read_b128 v[24:27], v12 offset:16
	ds_read2_b32 v[40:41], v11 offset0:128 offset1:144
	ds_read_b128 v[28:31], v12 offset:528
	ds_read2_b32 v[42:43], v11 offset0:160 offset1:176
	s_add_u32 s22, s22, 8
	s_addc_u32 s23, s23, 0
	v_add_co_u32 v2, vcc_lo, v2, s6
	v_cmp_lt_i64_e64 s24, s[22:23], s[34:35]
	v_add_co_ci_u32_e64 v3, null, s7, v3, vcc_lo
	v_add_co_u32 v4, vcc_lo, v4, s20
	v_add_co_ci_u32_e64 v5, null, s21, v5, vcc_lo
	s_waitcnt lgkmcnt(8)
	v_fmac_f32_e32 v10, v32, v16
	v_fmac_f32_e32 v9, v33, v16
	s_waitcnt lgkmcnt(7)
	v_fmac_f32_e32 v8, v32, v20
	v_fmac_f32_e32 v7, v33, v20
	ds_read2_b32 v[32:33], v11 offset0:192 offset1:208
	s_waitcnt lgkmcnt(7)
	v_fmac_f32_e32 v10, v34, v17
	v_fmac_f32_e32 v9, v35, v17
	;; [unrolled: 1-line block ×4, first 2 shown]
	ds_read2_b32 v[16:17], v11 offset0:224 offset1:240
	s_waitcnt lgkmcnt(7)
	v_fmac_f32_e32 v10, v36, v18
	v_fmac_f32_e32 v9, v37, v18
	;; [unrolled: 1-line block ×4, first 2 shown]
	s_and_b32 vcc_lo, exec_lo, s24
	s_waitcnt lgkmcnt(6)
	v_fmac_f32_e32 v10, v38, v19
	v_fmac_f32_e32 v9, v39, v19
	;; [unrolled: 1-line block ×4, first 2 shown]
	s_waitcnt lgkmcnt(0)
	v_fmac_f32_e32 v10, v40, v24
	v_fmac_f32_e32 v9, v41, v24
	;; [unrolled: 1-line block ×4, first 2 shown]
	s_barrier
	v_fmac_f32_e32 v10, v42, v25
	v_fmac_f32_e32 v9, v43, v25
	;; [unrolled: 1-line block ×4, first 2 shown]
	buffer_gl0_inv
	v_fmac_f32_e32 v10, v32, v26
	v_fmac_f32_e32 v9, v33, v26
	;; [unrolled: 1-line block ×8, first 2 shown]
	s_cbranch_vccz .LBB105_7
.LBB105_3:                              ; =>This Inner Loop Header: Depth=1
	v_add_co_u32 v16, s24, v13, s22
	v_add_co_ci_u32_e64 v17, null, 0, s23, s24
	v_cmp_gt_i64_e32 vcc_lo, s[34:35], v[16:17]
	v_mov_b32_e32 v16, 0
	s_and_b32 s25, s0, vcc_lo
	s_and_saveexec_b32 s24, s25
	s_cbranch_execz .LBB105_5
; %bb.4:                                ;   in Loop: Header=BB105_3 Depth=1
	flat_load_ushort v16, v[4:5]
	s_waitcnt vmcnt(0) lgkmcnt(0)
	v_cvt_f32_f16_e32 v16, v16
.LBB105_5:                              ;   in Loop: Header=BB105_3 Depth=1
	s_or_b32 exec_lo, exec_lo, s24
	v_add_co_u32 v17, s24, v6, s22
	v_add_co_ci_u32_e64 v18, null, 0, s23, s24
	ds_write_b32 v14, v16
	v_cmp_gt_i64_e32 vcc_lo, s[34:35], v[17:18]
	v_mov_b32_e32 v17, 0
	s_and_b32 s25, vcc_lo, s1
	s_and_saveexec_b32 s24, s25
	s_cbranch_execz .LBB105_2
; %bb.6:                                ;   in Loop: Header=BB105_3 Depth=1
	flat_load_ushort v16, v[2:3]
	s_waitcnt vmcnt(0) lgkmcnt(0)
	v_cvt_f32_f16_e32 v17, v16
	s_branch .LBB105_2
.LBB105_7:
	s_clause 0x1
	s_load_dword s6, s[4:5], 0x50
	s_load_dword s4, s[4:5], 0x18
	v_add_co_u32 v1, s5, s40, v1
	v_add_co_ci_u32_e64 v2, null, s41, 0, s5
	s_lshl_b64 s[0:1], s[10:11], 1
	s_waitcnt lgkmcnt(0)
	s_add_u32 s5, s2, s0
	v_cmp_gt_i64_e64 s0, s[30:31], v[1:2]
	s_addc_u32 s3, s3, s1
	v_cmp_neq_f32_e64 s7, s6, 0
	s_and_b32 vcc_lo, exec_lo, s7
	s_cbranch_vccnz .LBB105_20
; %bb.8:
	s_and_saveexec_b32 s7, s0
	s_cbranch_execz .LBB105_18
; %bb.9:
	v_mul_lo_u32 v5, v2, s8
	v_mul_lo_u32 v6, v1, s9
	v_mad_u64_u32 v[3:4], null, v1, s8, 0
	v_add3_u32 v4, v4, v6, v5
	v_add_co_u32 v5, s1, s18, v0
	v_add_co_ci_u32_e64 v6, null, s19, 0, s1
	v_lshlrev_b64 v[11:12], 1, v[3:4]
	v_cmp_gt_i64_e32 vcc_lo, s[28:29], v[5:6]
	v_lshlrev_b64 v[3:4], 1, v[5:6]
	v_add_co_u32 v11, s1, s5, v11
	v_add_co_ci_u32_e64 v12, null, s3, v12, s1
	s_and_saveexec_b32 s2, vcc_lo
	s_cbranch_execz .LBB105_11
; %bb.10:
	v_add_co_u32 v13, s1, v11, v3
	v_add_co_ci_u32_e64 v14, null, v12, v4, s1
	v_fma_mixlo_f16 v15, s4, v10, 0
	flat_store_short v[13:14], v15
.LBB105_11:
	s_or_b32 exec_lo, exec_lo, s2
	v_add_co_u32 v5, s1, v5, 16
	v_add_co_ci_u32_e64 v6, null, 0, v6, s1
	v_cmp_gt_i64_e64 s1, s[28:29], v[5:6]
	s_and_saveexec_b32 s10, s1
	s_cbranch_execz .LBB105_13
; %bb.12:
	v_add_co_u32 v5, s2, v11, v3
	v_add_co_ci_u32_e64 v6, null, v12, v4, s2
	v_fma_mixlo_f16 v13, s4, v9, 0
	flat_store_short v[5:6], v13 offset:32
.LBB105_13:
	s_or_b32 exec_lo, exec_lo, s10
	v_add_co_u32 v5, s2, v1, 16
	v_add_co_ci_u32_e64 v6, null, 0, v2, s2
	v_cmp_gt_i64_e64 s2, s[30:31], v[5:6]
	s_and_b32 exec_lo, exec_lo, s2
	s_cbranch_execz .LBB105_18
; %bb.14:
	s_lshl_b64 s[10:11], s[8:9], 5
	v_add_co_u32 v5, s2, v11, s10
	v_add_co_ci_u32_e64 v6, null, s11, v12, s2
	v_add_co_u32 v3, s2, v5, v3
	v_add_co_ci_u32_e64 v4, null, v6, v4, s2
	s_and_saveexec_b32 s2, vcc_lo
	s_cbranch_execz .LBB105_16
; %bb.15:
	v_fma_mixlo_f16 v5, s4, v8, 0
	flat_store_short v[3:4], v5
.LBB105_16:
	s_or_b32 exec_lo, exec_lo, s2
	s_and_b32 exec_lo, exec_lo, s1
	s_cbranch_execz .LBB105_18
; %bb.17:
	v_fma_mixlo_f16 v5, s4, v7, 0
	flat_store_short v[3:4], v5 offset:32
.LBB105_18:
	s_or_b32 exec_lo, exec_lo, s7
	s_cbranch_execz .LBB105_21
.LBB105_19:
	s_endpgm
.LBB105_20:
.LBB105_21:
	s_and_saveexec_b32 s1, s0
	s_cbranch_execz .LBB105_19
; %bb.22:
	v_mul_lo_u32 v5, v2, s14
	v_mul_lo_u32 v6, v1, s15
	v_mad_u64_u32 v[3:4], null, v1, s14, 0
	v_mul_lo_u32 v13, v2, s8
	v_mul_lo_u32 v14, v1, s9
	v_mad_u64_u32 v[11:12], null, v1, s8, 0
	s_lshl_b64 s[0:1], s[16:17], 1
	v_add3_u32 v4, v4, v6, v5
	v_add_co_u32 v5, s2, s18, v0
	v_add_co_ci_u32_e64 v6, null, s19, 0, s2
	v_add3_u32 v12, v12, v14, v13
	v_lshlrev_b64 v[3:4], 1, v[3:4]
	s_add_u32 s0, s12, s0
	s_addc_u32 s1, s13, s1
	v_cmp_gt_i64_e32 vcc_lo, s[28:29], v[5:6]
	v_lshlrev_b64 v[12:13], 1, v[11:12]
	v_add_co_u32 v0, s0, s0, v3
	v_add_co_ci_u32_e64 v11, null, s1, v4, s0
	v_add_co_u32 v12, s0, s5, v12
	v_lshlrev_b64 v[3:4], 1, v[5:6]
	v_add_co_ci_u32_e64 v13, null, s3, v13, s0
	s_and_saveexec_b32 s1, vcc_lo
	s_cbranch_execz .LBB105_24
; %bb.23:
	v_add_co_u32 v14, s0, v0, v3
	v_add_co_ci_u32_e64 v15, null, v11, v4, s0
	flat_load_ushort v14, v[14:15]
	s_waitcnt vmcnt(0) lgkmcnt(0)
	v_cvt_f32_f16_e32 v14, v14
	v_mul_f32_e32 v14, s6, v14
	v_fma_mixlo_f16 v10, s4, v10, v14
	v_add_co_u32 v14, s0, v12, v3
	v_add_co_ci_u32_e64 v15, null, v13, v4, s0
	flat_store_short v[14:15], v10
.LBB105_24:
	s_or_b32 exec_lo, exec_lo, s1
	v_add_co_u32 v5, s0, v5, 16
	v_add_co_ci_u32_e64 v6, null, 0, v6, s0
	v_cmp_gt_i64_e64 s0, s[28:29], v[5:6]
	s_and_saveexec_b32 s2, s0
	s_cbranch_execz .LBB105_26
; %bb.25:
	v_add_co_u32 v5, s1, v0, v3
	v_add_co_ci_u32_e64 v6, null, v11, v4, s1
	flat_load_ushort v5, v[5:6] offset:32
	s_waitcnt vmcnt(0) lgkmcnt(0)
	v_cvt_f32_f16_e32 v5, v5
	v_mul_f32_e32 v5, s6, v5
	v_fma_mixlo_f16 v9, s4, v9, v5
	v_add_co_u32 v5, s1, v12, v3
	v_add_co_ci_u32_e64 v6, null, v13, v4, s1
	flat_store_short v[5:6], v9 offset:32
.LBB105_26:
	s_or_b32 exec_lo, exec_lo, s2
	v_add_co_u32 v1, s1, v1, 16
	v_add_co_ci_u32_e64 v2, null, 0, v2, s1
	v_cmp_gt_i64_e64 s1, s[30:31], v[1:2]
	s_and_b32 exec_lo, exec_lo, s1
	s_cbranch_execz .LBB105_19
; %bb.27:
	s_lshl_b64 s[2:3], s[14:15], 5
	v_add_co_u32 v0, s1, v0, s2
	v_add_co_ci_u32_e64 v1, null, s3, v11, s1
	s_lshl_b64 s[2:3], s[8:9], 5
	v_add_co_u32 v2, s1, v12, s2
	v_add_co_ci_u32_e64 v5, null, s3, v13, s1
	v_add_co_u32 v0, s1, v0, v3
	v_add_co_ci_u32_e64 v1, null, v1, v4, s1
	;; [unrolled: 2-line block ×3, first 2 shown]
	s_and_saveexec_b32 s1, vcc_lo
	s_cbranch_execz .LBB105_29
; %bb.28:
	flat_load_ushort v4, v[0:1]
	s_waitcnt vmcnt(0) lgkmcnt(0)
	v_cvt_f32_f16_e32 v4, v4
	v_mul_f32_e32 v4, s6, v4
	v_fma_mixlo_f16 v4, s4, v8, v4
	flat_store_short v[2:3], v4
.LBB105_29:
	s_or_b32 exec_lo, exec_lo, s1
	s_and_b32 exec_lo, exec_lo, s0
	s_cbranch_execz .LBB105_19
; %bb.30:
	flat_load_ushort v0, v[0:1] offset:32
	s_waitcnt vmcnt(0) lgkmcnt(0)
	v_cvt_f32_f16_e32 v0, v0
	v_mul_f32_e32 v0, s6, v0
	v_fma_mixlo_f16 v0, s4, v7, v0
	flat_store_short v[2:3], v0 offset:32
	s_endpgm
	.section	.rodata,"a",@progbits
	.p2align	6, 0x0
	.amdhsa_kernel _ZN12_GLOBAL__N_135rocblas_gemm_batched_general_kernelIfLi16ELi16ELi32ELi32ELi8ELi32ELi8ELi8ELi32ELc78ELc84EKPKDF16_S3_KPDF16_EEvlllT_PT11_llS8_llS6_PT12_llPT13_lli
		.amdhsa_group_segment_fixed_size 2048
		.amdhsa_private_segment_fixed_size 0
		.amdhsa_kernarg_size 140
		.amdhsa_user_sgpr_count 6
		.amdhsa_user_sgpr_private_segment_buffer 1
		.amdhsa_user_sgpr_dispatch_ptr 0
		.amdhsa_user_sgpr_queue_ptr 0
		.amdhsa_user_sgpr_kernarg_segment_ptr 1
		.amdhsa_user_sgpr_dispatch_id 0
		.amdhsa_user_sgpr_flat_scratch_init 0
		.amdhsa_user_sgpr_private_segment_size 0
		.amdhsa_wavefront_size32 1
		.amdhsa_uses_dynamic_stack 0
		.amdhsa_system_sgpr_private_segment_wavefront_offset 0
		.amdhsa_system_sgpr_workgroup_id_x 1
		.amdhsa_system_sgpr_workgroup_id_y 1
		.amdhsa_system_sgpr_workgroup_id_z 1
		.amdhsa_system_sgpr_workgroup_info 0
		.amdhsa_system_vgpr_workitem_id 1
		.amdhsa_next_free_vgpr 44
		.amdhsa_next_free_sgpr 46
		.amdhsa_reserve_vcc 1
		.amdhsa_reserve_flat_scratch 0
		.amdhsa_float_round_mode_32 0
		.amdhsa_float_round_mode_16_64 0
		.amdhsa_float_denorm_mode_32 3
		.amdhsa_float_denorm_mode_16_64 3
		.amdhsa_dx10_clamp 1
		.amdhsa_ieee_mode 1
		.amdhsa_fp16_overflow 0
		.amdhsa_workgroup_processor_mode 1
		.amdhsa_memory_ordered 1
		.amdhsa_forward_progress 1
		.amdhsa_shared_vgpr_count 0
		.amdhsa_exception_fp_ieee_invalid_op 0
		.amdhsa_exception_fp_denorm_src 0
		.amdhsa_exception_fp_ieee_div_zero 0
		.amdhsa_exception_fp_ieee_overflow 0
		.amdhsa_exception_fp_ieee_underflow 0
		.amdhsa_exception_fp_ieee_inexact 0
		.amdhsa_exception_int_div_zero 0
	.end_amdhsa_kernel
	.section	.text._ZN12_GLOBAL__N_135rocblas_gemm_batched_general_kernelIfLi16ELi16ELi32ELi32ELi8ELi32ELi8ELi8ELi32ELc78ELc84EKPKDF16_S3_KPDF16_EEvlllT_PT11_llS8_llS6_PT12_llPT13_lli,"axG",@progbits,_ZN12_GLOBAL__N_135rocblas_gemm_batched_general_kernelIfLi16ELi16ELi32ELi32ELi8ELi32ELi8ELi8ELi32ELc78ELc84EKPKDF16_S3_KPDF16_EEvlllT_PT11_llS8_llS6_PT12_llPT13_lli,comdat
.Lfunc_end105:
	.size	_ZN12_GLOBAL__N_135rocblas_gemm_batched_general_kernelIfLi16ELi16ELi32ELi32ELi8ELi32ELi8ELi8ELi32ELc78ELc84EKPKDF16_S3_KPDF16_EEvlllT_PT11_llS8_llS6_PT12_llPT13_lli, .Lfunc_end105-_ZN12_GLOBAL__N_135rocblas_gemm_batched_general_kernelIfLi16ELi16ELi32ELi32ELi8ELi32ELi8ELi8ELi32ELc78ELc84EKPKDF16_S3_KPDF16_EEvlllT_PT11_llS8_llS6_PT12_llPT13_lli
                                        ; -- End function
	.set _ZN12_GLOBAL__N_135rocblas_gemm_batched_general_kernelIfLi16ELi16ELi32ELi32ELi8ELi32ELi8ELi8ELi32ELc78ELc84EKPKDF16_S3_KPDF16_EEvlllT_PT11_llS8_llS6_PT12_llPT13_lli.num_vgpr, 44
	.set _ZN12_GLOBAL__N_135rocblas_gemm_batched_general_kernelIfLi16ELi16ELi32ELi32ELi8ELi32ELi8ELi8ELi32ELc78ELc84EKPKDF16_S3_KPDF16_EEvlllT_PT11_llS8_llS6_PT12_llPT13_lli.num_agpr, 0
	.set _ZN12_GLOBAL__N_135rocblas_gemm_batched_general_kernelIfLi16ELi16ELi32ELi32ELi8ELi32ELi8ELi8ELi32ELc78ELc84EKPKDF16_S3_KPDF16_EEvlllT_PT11_llS8_llS6_PT12_llPT13_lli.numbered_sgpr, 46
	.set _ZN12_GLOBAL__N_135rocblas_gemm_batched_general_kernelIfLi16ELi16ELi32ELi32ELi8ELi32ELi8ELi8ELi32ELc78ELc84EKPKDF16_S3_KPDF16_EEvlllT_PT11_llS8_llS6_PT12_llPT13_lli.num_named_barrier, 0
	.set _ZN12_GLOBAL__N_135rocblas_gemm_batched_general_kernelIfLi16ELi16ELi32ELi32ELi8ELi32ELi8ELi8ELi32ELc78ELc84EKPKDF16_S3_KPDF16_EEvlllT_PT11_llS8_llS6_PT12_llPT13_lli.private_seg_size, 0
	.set _ZN12_GLOBAL__N_135rocblas_gemm_batched_general_kernelIfLi16ELi16ELi32ELi32ELi8ELi32ELi8ELi8ELi32ELc78ELc84EKPKDF16_S3_KPDF16_EEvlllT_PT11_llS8_llS6_PT12_llPT13_lli.uses_vcc, 1
	.set _ZN12_GLOBAL__N_135rocblas_gemm_batched_general_kernelIfLi16ELi16ELi32ELi32ELi8ELi32ELi8ELi8ELi32ELc78ELc84EKPKDF16_S3_KPDF16_EEvlllT_PT11_llS8_llS6_PT12_llPT13_lli.uses_flat_scratch, 0
	.set _ZN12_GLOBAL__N_135rocblas_gemm_batched_general_kernelIfLi16ELi16ELi32ELi32ELi8ELi32ELi8ELi8ELi32ELc78ELc84EKPKDF16_S3_KPDF16_EEvlllT_PT11_llS8_llS6_PT12_llPT13_lli.has_dyn_sized_stack, 0
	.set _ZN12_GLOBAL__N_135rocblas_gemm_batched_general_kernelIfLi16ELi16ELi32ELi32ELi8ELi32ELi8ELi8ELi32ELc78ELc84EKPKDF16_S3_KPDF16_EEvlllT_PT11_llS8_llS6_PT12_llPT13_lli.has_recursion, 0
	.set _ZN12_GLOBAL__N_135rocblas_gemm_batched_general_kernelIfLi16ELi16ELi32ELi32ELi8ELi32ELi8ELi8ELi32ELc78ELc84EKPKDF16_S3_KPDF16_EEvlllT_PT11_llS8_llS6_PT12_llPT13_lli.has_indirect_call, 0
	.section	.AMDGPU.csdata,"",@progbits
; Kernel info:
; codeLenInByte = 1956
; TotalNumSgprs: 48
; NumVgprs: 44
; ScratchSize: 0
; MemoryBound: 0
; FloatMode: 240
; IeeeMode: 1
; LDSByteSize: 2048 bytes/workgroup (compile time only)
; SGPRBlocks: 0
; VGPRBlocks: 5
; NumSGPRsForWavesPerEU: 48
; NumVGPRsForWavesPerEU: 44
; Occupancy: 16
; WaveLimiterHint : 1
; COMPUTE_PGM_RSRC2:SCRATCH_EN: 0
; COMPUTE_PGM_RSRC2:USER_SGPR: 6
; COMPUTE_PGM_RSRC2:TRAP_HANDLER: 0
; COMPUTE_PGM_RSRC2:TGID_X_EN: 1
; COMPUTE_PGM_RSRC2:TGID_Y_EN: 1
; COMPUTE_PGM_RSRC2:TGID_Z_EN: 1
; COMPUTE_PGM_RSRC2:TIDIG_COMP_CNT: 1
	.section	.text._ZN12_GLOBAL__N_135rocblas_gemm_batched_general_kernelIfLi16ELi16ELi32ELi32ELi8ELi32ELi8ELi8ELi32ELc84ELc84EKPKDF16_S3_KPDF16_EEvlllT_PT11_llS8_llS6_PT12_llPT13_lli,"axG",@progbits,_ZN12_GLOBAL__N_135rocblas_gemm_batched_general_kernelIfLi16ELi16ELi32ELi32ELi8ELi32ELi8ELi8ELi32ELc84ELc84EKPKDF16_S3_KPDF16_EEvlllT_PT11_llS8_llS6_PT12_llPT13_lli,comdat
	.globl	_ZN12_GLOBAL__N_135rocblas_gemm_batched_general_kernelIfLi16ELi16ELi32ELi32ELi8ELi32ELi8ELi8ELi32ELc84ELc84EKPKDF16_S3_KPDF16_EEvlllT_PT11_llS8_llS6_PT12_llPT13_lli ; -- Begin function _ZN12_GLOBAL__N_135rocblas_gemm_batched_general_kernelIfLi16ELi16ELi32ELi32ELi8ELi32ELi8ELi8ELi32ELc84ELc84EKPKDF16_S3_KPDF16_EEvlllT_PT11_llS8_llS6_PT12_llPT13_lli
	.p2align	8
	.type	_ZN12_GLOBAL__N_135rocblas_gemm_batched_general_kernelIfLi16ELi16ELi32ELi32ELi8ELi32ELi8ELi8ELi32ELc84ELc84EKPKDF16_S3_KPDF16_EEvlllT_PT11_llS8_llS6_PT12_llPT13_lli,@function
_ZN12_GLOBAL__N_135rocblas_gemm_batched_general_kernelIfLi16ELi16ELi32ELi32ELi8ELi32ELi8ELi8ELi32ELc84ELc84EKPKDF16_S3_KPDF16_EEvlllT_PT11_llS8_llS6_PT12_llPT13_lli: ; @_ZN12_GLOBAL__N_135rocblas_gemm_batched_general_kernelIfLi16ELi16ELi32ELi32ELi8ELi32ELi8ELi8ELi32ELc84ELc84EKPKDF16_S3_KPDF16_EEvlllT_PT11_llS8_llS6_PT12_llPT13_lli
; %bb.0:
	s_clause 0x1
	s_load_dwordx8 s[12:19], s[4:5], 0x58
	s_load_dwordx2 s[34:35], s[4:5], 0x10
	s_mov_b32 s9, 0
	s_load_dwordx4 s[28:31], s[4:5], 0x0
	s_lshl_b64 s[42:43], s[8:9], 3
	s_load_dwordx4 s[8:11], s[4:5], 0x78
	s_mov_b32 s40, s7
	v_mov_b32_e32 v10, 0
	v_mov_b32_e32 v9, 0
	;; [unrolled: 1-line block ×4, first 2 shown]
	s_waitcnt lgkmcnt(0)
	s_add_u32 s0, s12, s42
	s_addc_u32 s1, s13, s43
	s_add_u32 s2, s18, s42
	s_addc_u32 s3, s19, s43
	s_load_dwordx2 s[12:13], s[0:1], 0x0
	s_load_dwordx2 s[2:3], s[2:3], 0x0
	v_cmp_lt_i64_e64 s0, s[34:35], 1
	s_ashr_i32 s7, s6, 31
	s_ashr_i32 s41, s40, 31
	s_lshl_b64 s[6:7], s[6:7], 5
	s_lshl_b64 s[18:19], s[40:41], 5
	s_and_b32 vcc_lo, exec_lo, s0
	s_cbranch_vccnz .LBB106_7
; %bb.1:
	s_clause 0x1
	s_load_dwordx4 s[36:39], s[4:5], 0x40
	s_load_dwordx8 s[20:27], s[4:5], 0x20
	v_lshl_add_u32 v2, v1, 4, v0
	v_and_b32_e32 v6, 7, v0
	v_mov_b32_e32 v3, s7
	v_mov_b32_e32 v7, 0
	v_lshlrev_b32_e32 v11, 2, v0
	v_and_b32_e32 v14, 31, v2
	v_lshrrev_b32_e32 v10, 3, v2
	v_lshrrev_b32_e32 v13, 5, v2
	v_lshlrev_b32_e32 v15, 2, v6
	v_lshl_add_u32 v12, v1, 5, 0x400
	v_or_b32_e32 v2, s6, v14
	v_add_co_u32 v4, s0, v10, s18
	v_add_co_ci_u32_e64 v5, null, 0, s19, s0
	v_add_co_u32 v17, s0, s6, v14
	v_add_co_ci_u32_e64 v18, null, s7, 0, s0
	s_waitcnt lgkmcnt(0)
	v_mad_u64_u32 v[8:9], null, s36, v6, 0
	v_cmp_gt_i64_e64 s0, s[28:29], v[2:3]
	v_lshlrev_b32_e32 v16, 2, v14
	v_cmp_gt_i64_e64 s1, s[30:31], v[4:5]
	v_mul_lo_u32 v5, s23, v17
	s_add_u32 s26, s26, s42
	s_addc_u32 s27, s27, s43
	v_mov_b32_e32 v2, v9
	v_lshl_or_b32 v14, v13, 7, v16
	v_mul_lo_u32 v16, s22, v18
	s_add_u32 s20, s20, s42
	s_addc_u32 s21, s21, s43
	v_mad_u64_u32 v[2:3], null, s37, v6, v[2:3]
	v_mad_u64_u32 v[3:4], null, s22, v17, 0
	s_load_dwordx2 s[22:23], s[26:27], 0x0
	s_load_dwordx2 s[20:21], s[20:21], 0x0
	s_lshl_b64 s[26:27], s[40:41], 6
	s_lshl_b64 s[38:39], s[38:39], 1
	v_mov_b32_e32 v9, v2
	s_add_u32 s26, s38, s26
	v_add3_u32 v4, v4, v16, v5
	s_addc_u32 s27, s39, s27
	s_lshl_b64 s[24:25], s[24:25], 1
	v_lshlrev_b64 v[8:9], 1, v[8:9]
	v_lshl_or_b32 v15, v10, 5, v15
	v_lshlrev_b64 v[2:3], 1, v[3:4]
	v_add_nc_u32_e32 v15, 0x400, v15
	v_add_co_u32 v4, vcc_lo, s26, v8
	v_lshlrev_b32_e32 v8, 1, v10
	v_add_co_ci_u32_e64 v5, null, s27, v9, vcc_lo
	v_add_co_u32 v2, vcc_lo, v2, s24
	v_lshlrev_b32_e32 v9, 1, v13
	v_add_co_ci_u32_e64 v3, null, s25, v3, vcc_lo
	v_add_co_u32 v4, vcc_lo, v4, v8
	v_add_co_ci_u32_e64 v5, null, 0, v5, vcc_lo
	v_add_co_u32 v8, vcc_lo, v2, v9
	v_add_co_ci_u32_e64 v9, null, 0, v3, vcc_lo
	s_waitcnt lgkmcnt(0)
	v_add_co_u32 v2, vcc_lo, s22, v4
	v_add_co_ci_u32_e64 v3, null, s23, v5, vcc_lo
	v_add_co_u32 v4, vcc_lo, s20, v8
	v_add_co_ci_u32_e64 v5, null, s21, v9, vcc_lo
	v_mov_b32_e32 v8, 0
	v_mov_b32_e32 v9, 0
	;; [unrolled: 1-line block ×3, first 2 shown]
	s_lshl_b64 s[20:21], s[36:37], 4
	s_mov_b64 s[22:23], 0
	s_branch .LBB106_3
.LBB106_2:                              ;   in Loop: Header=BB106_3 Depth=1
	s_or_b32 exec_lo, exec_lo, s24
	ds_write_b32 v15, v17
	s_waitcnt lgkmcnt(0)
	s_barrier
	buffer_gl0_inv
	ds_read_b128 v[16:19], v12
	ds_read2_b32 v[32:33], v11 offset1:16
	ds_read_b128 v[20:23], v12 offset:512
	ds_read2_b32 v[34:35], v11 offset0:32 offset1:48
	ds_read2_b32 v[36:37], v11 offset0:64 offset1:80
	;; [unrolled: 1-line block ×3, first 2 shown]
	ds_read_b128 v[24:27], v12 offset:16
	ds_read2_b32 v[40:41], v11 offset0:128 offset1:144
	ds_read_b128 v[28:31], v12 offset:528
	ds_read2_b32 v[42:43], v11 offset0:160 offset1:176
	s_add_u32 s22, s22, 8
	s_addc_u32 s23, s23, 0
	v_add_co_u32 v2, vcc_lo, v2, s20
	v_cmp_lt_i64_e64 s24, s[22:23], s[34:35]
	v_add_co_ci_u32_e64 v3, null, s21, v3, vcc_lo
	v_add_co_u32 v4, vcc_lo, v4, 16
	v_add_co_ci_u32_e64 v5, null, 0, v5, vcc_lo
	s_waitcnt lgkmcnt(8)
	v_fmac_f32_e32 v10, v32, v16
	v_fmac_f32_e32 v9, v33, v16
	s_waitcnt lgkmcnt(7)
	v_fmac_f32_e32 v8, v32, v20
	v_fmac_f32_e32 v7, v33, v20
	ds_read2_b32 v[32:33], v11 offset0:192 offset1:208
	s_waitcnt lgkmcnt(7)
	v_fmac_f32_e32 v10, v34, v17
	v_fmac_f32_e32 v9, v35, v17
	;; [unrolled: 1-line block ×4, first 2 shown]
	ds_read2_b32 v[16:17], v11 offset0:224 offset1:240
	s_waitcnt lgkmcnt(7)
	v_fmac_f32_e32 v10, v36, v18
	v_fmac_f32_e32 v9, v37, v18
	;; [unrolled: 1-line block ×4, first 2 shown]
	s_and_b32 vcc_lo, exec_lo, s24
	s_waitcnt lgkmcnt(6)
	v_fmac_f32_e32 v10, v38, v19
	v_fmac_f32_e32 v9, v39, v19
	;; [unrolled: 1-line block ×4, first 2 shown]
	s_waitcnt lgkmcnt(0)
	v_fmac_f32_e32 v10, v40, v24
	v_fmac_f32_e32 v9, v41, v24
	;; [unrolled: 1-line block ×4, first 2 shown]
	s_barrier
	v_fmac_f32_e32 v10, v42, v25
	v_fmac_f32_e32 v9, v43, v25
	;; [unrolled: 1-line block ×4, first 2 shown]
	buffer_gl0_inv
	v_fmac_f32_e32 v10, v32, v26
	v_fmac_f32_e32 v9, v33, v26
	;; [unrolled: 1-line block ×8, first 2 shown]
	s_cbranch_vccz .LBB106_7
.LBB106_3:                              ; =>This Inner Loop Header: Depth=1
	v_add_co_u32 v16, s24, v13, s22
	v_add_co_ci_u32_e64 v17, null, 0, s23, s24
	v_cmp_gt_i64_e32 vcc_lo, s[34:35], v[16:17]
	v_mov_b32_e32 v16, 0
	s_and_b32 s25, s0, vcc_lo
	s_and_saveexec_b32 s24, s25
	s_cbranch_execz .LBB106_5
; %bb.4:                                ;   in Loop: Header=BB106_3 Depth=1
	flat_load_ushort v16, v[4:5]
	s_waitcnt vmcnt(0) lgkmcnt(0)
	v_cvt_f32_f16_e32 v16, v16
.LBB106_5:                              ;   in Loop: Header=BB106_3 Depth=1
	s_or_b32 exec_lo, exec_lo, s24
	v_add_co_u32 v17, s24, v6, s22
	v_add_co_ci_u32_e64 v18, null, 0, s23, s24
	ds_write_b32 v14, v16
	v_cmp_gt_i64_e32 vcc_lo, s[34:35], v[17:18]
	v_mov_b32_e32 v17, 0
	s_and_b32 s25, vcc_lo, s1
	s_and_saveexec_b32 s24, s25
	s_cbranch_execz .LBB106_2
; %bb.6:                                ;   in Loop: Header=BB106_3 Depth=1
	flat_load_ushort v16, v[2:3]
	s_waitcnt vmcnt(0) lgkmcnt(0)
	v_cvt_f32_f16_e32 v17, v16
	s_branch .LBB106_2
.LBB106_7:
	s_clause 0x1
	s_load_dword s20, s[4:5], 0x50
	s_load_dword s4, s[4:5], 0x18
	v_add_co_u32 v1, s5, s18, v1
	v_add_co_ci_u32_e64 v2, null, s19, 0, s5
	s_lshl_b64 s[0:1], s[10:11], 1
	s_waitcnt lgkmcnt(0)
	s_add_u32 s5, s2, s0
	v_cmp_gt_i64_e64 s0, s[30:31], v[1:2]
	s_addc_u32 s3, s3, s1
	v_cmp_neq_f32_e64 s10, s20, 0
	s_and_b32 vcc_lo, exec_lo, s10
	s_cbranch_vccnz .LBB106_20
; %bb.8:
	s_and_saveexec_b32 s10, s0
	s_cbranch_execz .LBB106_18
; %bb.9:
	v_mul_lo_u32 v5, v2, s8
	v_mul_lo_u32 v6, v1, s9
	v_mad_u64_u32 v[3:4], null, v1, s8, 0
	v_add3_u32 v4, v4, v6, v5
	v_add_co_u32 v5, s1, s6, v0
	v_add_co_ci_u32_e64 v6, null, s7, 0, s1
	v_lshlrev_b64 v[11:12], 1, v[3:4]
	v_cmp_gt_i64_e32 vcc_lo, s[28:29], v[5:6]
	v_lshlrev_b64 v[3:4], 1, v[5:6]
	v_add_co_u32 v11, s1, s5, v11
	v_add_co_ci_u32_e64 v12, null, s3, v12, s1
	s_and_saveexec_b32 s2, vcc_lo
	s_cbranch_execz .LBB106_11
; %bb.10:
	v_add_co_u32 v13, s1, v11, v3
	v_add_co_ci_u32_e64 v14, null, v12, v4, s1
	v_fma_mixlo_f16 v15, s4, v10, 0
	flat_store_short v[13:14], v15
.LBB106_11:
	s_or_b32 exec_lo, exec_lo, s2
	v_add_co_u32 v5, s1, v5, 16
	v_add_co_ci_u32_e64 v6, null, 0, v6, s1
	v_cmp_gt_i64_e64 s1, s[28:29], v[5:6]
	s_and_saveexec_b32 s11, s1
	s_cbranch_execz .LBB106_13
; %bb.12:
	v_add_co_u32 v5, s2, v11, v3
	v_add_co_ci_u32_e64 v6, null, v12, v4, s2
	v_fma_mixlo_f16 v13, s4, v9, 0
	flat_store_short v[5:6], v13 offset:32
.LBB106_13:
	s_or_b32 exec_lo, exec_lo, s11
	v_add_co_u32 v5, s2, v1, 16
	v_add_co_ci_u32_e64 v6, null, 0, v2, s2
	v_cmp_gt_i64_e64 s2, s[30:31], v[5:6]
	s_and_b32 exec_lo, exec_lo, s2
	s_cbranch_execz .LBB106_18
; %bb.14:
	s_lshl_b64 s[18:19], s[8:9], 5
	v_add_co_u32 v5, s2, v11, s18
	v_add_co_ci_u32_e64 v6, null, s19, v12, s2
	v_add_co_u32 v3, s2, v5, v3
	v_add_co_ci_u32_e64 v4, null, v6, v4, s2
	s_and_saveexec_b32 s2, vcc_lo
	s_cbranch_execz .LBB106_16
; %bb.15:
	v_fma_mixlo_f16 v5, s4, v8, 0
	flat_store_short v[3:4], v5
.LBB106_16:
	s_or_b32 exec_lo, exec_lo, s2
	s_and_b32 exec_lo, exec_lo, s1
	s_cbranch_execz .LBB106_18
; %bb.17:
	v_fma_mixlo_f16 v5, s4, v7, 0
	flat_store_short v[3:4], v5 offset:32
.LBB106_18:
	s_or_b32 exec_lo, exec_lo, s10
	s_cbranch_execz .LBB106_21
.LBB106_19:
	s_endpgm
.LBB106_20:
.LBB106_21:
	s_and_saveexec_b32 s1, s0
	s_cbranch_execz .LBB106_19
; %bb.22:
	v_mul_lo_u32 v5, v2, s14
	v_mul_lo_u32 v6, v1, s15
	v_mad_u64_u32 v[3:4], null, v1, s14, 0
	v_mul_lo_u32 v13, v2, s8
	v_mul_lo_u32 v14, v1, s9
	v_mad_u64_u32 v[11:12], null, v1, s8, 0
	s_lshl_b64 s[0:1], s[16:17], 1
	v_add3_u32 v4, v4, v6, v5
	v_add_co_u32 v5, s2, s6, v0
	v_add_co_ci_u32_e64 v6, null, s7, 0, s2
	v_add3_u32 v12, v12, v14, v13
	v_lshlrev_b64 v[3:4], 1, v[3:4]
	s_add_u32 s0, s12, s0
	s_addc_u32 s1, s13, s1
	v_cmp_gt_i64_e32 vcc_lo, s[28:29], v[5:6]
	v_lshlrev_b64 v[12:13], 1, v[11:12]
	v_add_co_u32 v0, s0, s0, v3
	v_add_co_ci_u32_e64 v11, null, s1, v4, s0
	v_add_co_u32 v12, s0, s5, v12
	v_lshlrev_b64 v[3:4], 1, v[5:6]
	v_add_co_ci_u32_e64 v13, null, s3, v13, s0
	s_and_saveexec_b32 s1, vcc_lo
	s_cbranch_execz .LBB106_24
; %bb.23:
	v_add_co_u32 v14, s0, v0, v3
	v_add_co_ci_u32_e64 v15, null, v11, v4, s0
	flat_load_ushort v14, v[14:15]
	s_waitcnt vmcnt(0) lgkmcnt(0)
	v_cvt_f32_f16_e32 v14, v14
	v_mul_f32_e32 v14, s20, v14
	v_fma_mixlo_f16 v10, s4, v10, v14
	v_add_co_u32 v14, s0, v12, v3
	v_add_co_ci_u32_e64 v15, null, v13, v4, s0
	flat_store_short v[14:15], v10
.LBB106_24:
	s_or_b32 exec_lo, exec_lo, s1
	v_add_co_u32 v5, s0, v5, 16
	v_add_co_ci_u32_e64 v6, null, 0, v6, s0
	v_cmp_gt_i64_e64 s0, s[28:29], v[5:6]
	s_and_saveexec_b32 s2, s0
	s_cbranch_execz .LBB106_26
; %bb.25:
	v_add_co_u32 v5, s1, v0, v3
	v_add_co_ci_u32_e64 v6, null, v11, v4, s1
	flat_load_ushort v5, v[5:6] offset:32
	s_waitcnt vmcnt(0) lgkmcnt(0)
	v_cvt_f32_f16_e32 v5, v5
	v_mul_f32_e32 v5, s20, v5
	v_fma_mixlo_f16 v9, s4, v9, v5
	v_add_co_u32 v5, s1, v12, v3
	v_add_co_ci_u32_e64 v6, null, v13, v4, s1
	flat_store_short v[5:6], v9 offset:32
.LBB106_26:
	s_or_b32 exec_lo, exec_lo, s2
	v_add_co_u32 v1, s1, v1, 16
	v_add_co_ci_u32_e64 v2, null, 0, v2, s1
	v_cmp_gt_i64_e64 s1, s[30:31], v[1:2]
	s_and_b32 exec_lo, exec_lo, s1
	s_cbranch_execz .LBB106_19
; %bb.27:
	s_lshl_b64 s[2:3], s[14:15], 5
	v_add_co_u32 v0, s1, v0, s2
	v_add_co_ci_u32_e64 v1, null, s3, v11, s1
	s_lshl_b64 s[2:3], s[8:9], 5
	v_add_co_u32 v2, s1, v12, s2
	v_add_co_ci_u32_e64 v5, null, s3, v13, s1
	v_add_co_u32 v0, s1, v0, v3
	v_add_co_ci_u32_e64 v1, null, v1, v4, s1
	;; [unrolled: 2-line block ×3, first 2 shown]
	s_and_saveexec_b32 s1, vcc_lo
	s_cbranch_execz .LBB106_29
; %bb.28:
	flat_load_ushort v4, v[0:1]
	s_waitcnt vmcnt(0) lgkmcnt(0)
	v_cvt_f32_f16_e32 v4, v4
	v_mul_f32_e32 v4, s20, v4
	v_fma_mixlo_f16 v4, s4, v8, v4
	flat_store_short v[2:3], v4
.LBB106_29:
	s_or_b32 exec_lo, exec_lo, s1
	s_and_b32 exec_lo, exec_lo, s0
	s_cbranch_execz .LBB106_19
; %bb.30:
	flat_load_ushort v0, v[0:1] offset:32
	s_waitcnt vmcnt(0) lgkmcnt(0)
	v_cvt_f32_f16_e32 v0, v0
	v_mul_f32_e32 v0, s20, v0
	v_fma_mixlo_f16 v0, s4, v7, v0
	flat_store_short v[2:3], v0 offset:32
	s_endpgm
	.section	.rodata,"a",@progbits
	.p2align	6, 0x0
	.amdhsa_kernel _ZN12_GLOBAL__N_135rocblas_gemm_batched_general_kernelIfLi16ELi16ELi32ELi32ELi8ELi32ELi8ELi8ELi32ELc84ELc84EKPKDF16_S3_KPDF16_EEvlllT_PT11_llS8_llS6_PT12_llPT13_lli
		.amdhsa_group_segment_fixed_size 2048
		.amdhsa_private_segment_fixed_size 0
		.amdhsa_kernarg_size 140
		.amdhsa_user_sgpr_count 6
		.amdhsa_user_sgpr_private_segment_buffer 1
		.amdhsa_user_sgpr_dispatch_ptr 0
		.amdhsa_user_sgpr_queue_ptr 0
		.amdhsa_user_sgpr_kernarg_segment_ptr 1
		.amdhsa_user_sgpr_dispatch_id 0
		.amdhsa_user_sgpr_flat_scratch_init 0
		.amdhsa_user_sgpr_private_segment_size 0
		.amdhsa_wavefront_size32 1
		.amdhsa_uses_dynamic_stack 0
		.amdhsa_system_sgpr_private_segment_wavefront_offset 0
		.amdhsa_system_sgpr_workgroup_id_x 1
		.amdhsa_system_sgpr_workgroup_id_y 1
		.amdhsa_system_sgpr_workgroup_id_z 1
		.amdhsa_system_sgpr_workgroup_info 0
		.amdhsa_system_vgpr_workitem_id 1
		.amdhsa_next_free_vgpr 44
		.amdhsa_next_free_sgpr 44
		.amdhsa_reserve_vcc 1
		.amdhsa_reserve_flat_scratch 0
		.amdhsa_float_round_mode_32 0
		.amdhsa_float_round_mode_16_64 0
		.amdhsa_float_denorm_mode_32 3
		.amdhsa_float_denorm_mode_16_64 3
		.amdhsa_dx10_clamp 1
		.amdhsa_ieee_mode 1
		.amdhsa_fp16_overflow 0
		.amdhsa_workgroup_processor_mode 1
		.amdhsa_memory_ordered 1
		.amdhsa_forward_progress 1
		.amdhsa_shared_vgpr_count 0
		.amdhsa_exception_fp_ieee_invalid_op 0
		.amdhsa_exception_fp_denorm_src 0
		.amdhsa_exception_fp_ieee_div_zero 0
		.amdhsa_exception_fp_ieee_overflow 0
		.amdhsa_exception_fp_ieee_underflow 0
		.amdhsa_exception_fp_ieee_inexact 0
		.amdhsa_exception_int_div_zero 0
	.end_amdhsa_kernel
	.section	.text._ZN12_GLOBAL__N_135rocblas_gemm_batched_general_kernelIfLi16ELi16ELi32ELi32ELi8ELi32ELi8ELi8ELi32ELc84ELc84EKPKDF16_S3_KPDF16_EEvlllT_PT11_llS8_llS6_PT12_llPT13_lli,"axG",@progbits,_ZN12_GLOBAL__N_135rocblas_gemm_batched_general_kernelIfLi16ELi16ELi32ELi32ELi8ELi32ELi8ELi8ELi32ELc84ELc84EKPKDF16_S3_KPDF16_EEvlllT_PT11_llS8_llS6_PT12_llPT13_lli,comdat
.Lfunc_end106:
	.size	_ZN12_GLOBAL__N_135rocblas_gemm_batched_general_kernelIfLi16ELi16ELi32ELi32ELi8ELi32ELi8ELi8ELi32ELc84ELc84EKPKDF16_S3_KPDF16_EEvlllT_PT11_llS8_llS6_PT12_llPT13_lli, .Lfunc_end106-_ZN12_GLOBAL__N_135rocblas_gemm_batched_general_kernelIfLi16ELi16ELi32ELi32ELi8ELi32ELi8ELi8ELi32ELc84ELc84EKPKDF16_S3_KPDF16_EEvlllT_PT11_llS8_llS6_PT12_llPT13_lli
                                        ; -- End function
	.set _ZN12_GLOBAL__N_135rocblas_gemm_batched_general_kernelIfLi16ELi16ELi32ELi32ELi8ELi32ELi8ELi8ELi32ELc84ELc84EKPKDF16_S3_KPDF16_EEvlllT_PT11_llS8_llS6_PT12_llPT13_lli.num_vgpr, 44
	.set _ZN12_GLOBAL__N_135rocblas_gemm_batched_general_kernelIfLi16ELi16ELi32ELi32ELi8ELi32ELi8ELi8ELi32ELc84ELc84EKPKDF16_S3_KPDF16_EEvlllT_PT11_llS8_llS6_PT12_llPT13_lli.num_agpr, 0
	.set _ZN12_GLOBAL__N_135rocblas_gemm_batched_general_kernelIfLi16ELi16ELi32ELi32ELi8ELi32ELi8ELi8ELi32ELc84ELc84EKPKDF16_S3_KPDF16_EEvlllT_PT11_llS8_llS6_PT12_llPT13_lli.numbered_sgpr, 44
	.set _ZN12_GLOBAL__N_135rocblas_gemm_batched_general_kernelIfLi16ELi16ELi32ELi32ELi8ELi32ELi8ELi8ELi32ELc84ELc84EKPKDF16_S3_KPDF16_EEvlllT_PT11_llS8_llS6_PT12_llPT13_lli.num_named_barrier, 0
	.set _ZN12_GLOBAL__N_135rocblas_gemm_batched_general_kernelIfLi16ELi16ELi32ELi32ELi8ELi32ELi8ELi8ELi32ELc84ELc84EKPKDF16_S3_KPDF16_EEvlllT_PT11_llS8_llS6_PT12_llPT13_lli.private_seg_size, 0
	.set _ZN12_GLOBAL__N_135rocblas_gemm_batched_general_kernelIfLi16ELi16ELi32ELi32ELi8ELi32ELi8ELi8ELi32ELc84ELc84EKPKDF16_S3_KPDF16_EEvlllT_PT11_llS8_llS6_PT12_llPT13_lli.uses_vcc, 1
	.set _ZN12_GLOBAL__N_135rocblas_gemm_batched_general_kernelIfLi16ELi16ELi32ELi32ELi8ELi32ELi8ELi8ELi32ELc84ELc84EKPKDF16_S3_KPDF16_EEvlllT_PT11_llS8_llS6_PT12_llPT13_lli.uses_flat_scratch, 0
	.set _ZN12_GLOBAL__N_135rocblas_gemm_batched_general_kernelIfLi16ELi16ELi32ELi32ELi8ELi32ELi8ELi8ELi32ELc84ELc84EKPKDF16_S3_KPDF16_EEvlllT_PT11_llS8_llS6_PT12_llPT13_lli.has_dyn_sized_stack, 0
	.set _ZN12_GLOBAL__N_135rocblas_gemm_batched_general_kernelIfLi16ELi16ELi32ELi32ELi8ELi32ELi8ELi8ELi32ELc84ELc84EKPKDF16_S3_KPDF16_EEvlllT_PT11_llS8_llS6_PT12_llPT13_lli.has_recursion, 0
	.set _ZN12_GLOBAL__N_135rocblas_gemm_batched_general_kernelIfLi16ELi16ELi32ELi32ELi8ELi32ELi8ELi8ELi32ELc84ELc84EKPKDF16_S3_KPDF16_EEvlllT_PT11_llS8_llS6_PT12_llPT13_lli.has_indirect_call, 0
	.section	.AMDGPU.csdata,"",@progbits
; Kernel info:
; codeLenInByte = 1964
; TotalNumSgprs: 46
; NumVgprs: 44
; ScratchSize: 0
; MemoryBound: 0
; FloatMode: 240
; IeeeMode: 1
; LDSByteSize: 2048 bytes/workgroup (compile time only)
; SGPRBlocks: 0
; VGPRBlocks: 5
; NumSGPRsForWavesPerEU: 46
; NumVGPRsForWavesPerEU: 44
; Occupancy: 16
; WaveLimiterHint : 1
; COMPUTE_PGM_RSRC2:SCRATCH_EN: 0
; COMPUTE_PGM_RSRC2:USER_SGPR: 6
; COMPUTE_PGM_RSRC2:TRAP_HANDLER: 0
; COMPUTE_PGM_RSRC2:TGID_X_EN: 1
; COMPUTE_PGM_RSRC2:TGID_Y_EN: 1
; COMPUTE_PGM_RSRC2:TGID_Z_EN: 1
; COMPUTE_PGM_RSRC2:TIDIG_COMP_CNT: 1
	.section	.text._ZN12_GLOBAL__N_135rocblas_gemm_batched_general_kernelIfLi16ELi16ELi32ELi32ELi8ELi32ELi8ELi8ELi32ELc67ELc67EKPKDF16_S3_KPDF16_EEvlllT_PT11_llS8_llS6_PT12_llPT13_lli,"axG",@progbits,_ZN12_GLOBAL__N_135rocblas_gemm_batched_general_kernelIfLi16ELi16ELi32ELi32ELi8ELi32ELi8ELi8ELi32ELc67ELc67EKPKDF16_S3_KPDF16_EEvlllT_PT11_llS8_llS6_PT12_llPT13_lli,comdat
	.globl	_ZN12_GLOBAL__N_135rocblas_gemm_batched_general_kernelIfLi16ELi16ELi32ELi32ELi8ELi32ELi8ELi8ELi32ELc67ELc67EKPKDF16_S3_KPDF16_EEvlllT_PT11_llS8_llS6_PT12_llPT13_lli ; -- Begin function _ZN12_GLOBAL__N_135rocblas_gemm_batched_general_kernelIfLi16ELi16ELi32ELi32ELi8ELi32ELi8ELi8ELi32ELc67ELc67EKPKDF16_S3_KPDF16_EEvlllT_PT11_llS8_llS6_PT12_llPT13_lli
	.p2align	8
	.type	_ZN12_GLOBAL__N_135rocblas_gemm_batched_general_kernelIfLi16ELi16ELi32ELi32ELi8ELi32ELi8ELi8ELi32ELc67ELc67EKPKDF16_S3_KPDF16_EEvlllT_PT11_llS8_llS6_PT12_llPT13_lli,@function
_ZN12_GLOBAL__N_135rocblas_gemm_batched_general_kernelIfLi16ELi16ELi32ELi32ELi8ELi32ELi8ELi8ELi32ELc67ELc67EKPKDF16_S3_KPDF16_EEvlllT_PT11_llS8_llS6_PT12_llPT13_lli: ; @_ZN12_GLOBAL__N_135rocblas_gemm_batched_general_kernelIfLi16ELi16ELi32ELi32ELi8ELi32ELi8ELi8ELi32ELc67ELc67EKPKDF16_S3_KPDF16_EEvlllT_PT11_llS8_llS6_PT12_llPT13_lli
; %bb.0:
	s_clause 0x1
	s_load_dwordx8 s[12:19], s[4:5], 0x58
	s_load_dwordx2 s[34:35], s[4:5], 0x10
	s_mov_b32 s9, 0
	s_load_dwordx4 s[28:31], s[4:5], 0x0
	s_lshl_b64 s[42:43], s[8:9], 3
	s_load_dwordx4 s[8:11], s[4:5], 0x78
	s_mov_b32 s40, s7
	v_mov_b32_e32 v10, 0
	v_mov_b32_e32 v9, 0
	v_mov_b32_e32 v8, 0
	v_mov_b32_e32 v7, 0
	s_waitcnt lgkmcnt(0)
	s_add_u32 s0, s12, s42
	s_addc_u32 s1, s13, s43
	s_add_u32 s2, s18, s42
	s_addc_u32 s3, s19, s43
	s_load_dwordx2 s[12:13], s[0:1], 0x0
	s_load_dwordx2 s[2:3], s[2:3], 0x0
	v_cmp_lt_i64_e64 s0, s[34:35], 1
	s_ashr_i32 s7, s6, 31
	s_ashr_i32 s41, s40, 31
	s_lshl_b64 s[6:7], s[6:7], 5
	s_lshl_b64 s[18:19], s[40:41], 5
	s_and_b32 vcc_lo, exec_lo, s0
	s_cbranch_vccnz .LBB107_7
; %bb.1:
	s_clause 0x1
	s_load_dwordx4 s[36:39], s[4:5], 0x40
	s_load_dwordx8 s[20:27], s[4:5], 0x20
	v_lshl_add_u32 v2, v1, 4, v0
	v_and_b32_e32 v6, 7, v0
	v_mov_b32_e32 v3, s7
	v_mov_b32_e32 v7, 0
	v_lshlrev_b32_e32 v11, 2, v0
	v_and_b32_e32 v14, 31, v2
	v_lshrrev_b32_e32 v10, 3, v2
	v_lshrrev_b32_e32 v13, 5, v2
	v_lshlrev_b32_e32 v15, 2, v6
	v_lshl_add_u32 v12, v1, 5, 0x400
	v_or_b32_e32 v2, s6, v14
	v_add_co_u32 v4, s0, v10, s18
	v_add_co_ci_u32_e64 v5, null, 0, s19, s0
	v_add_co_u32 v17, s0, s6, v14
	v_add_co_ci_u32_e64 v18, null, s7, 0, s0
	s_waitcnt lgkmcnt(0)
	v_mad_u64_u32 v[8:9], null, s36, v6, 0
	v_cmp_gt_i64_e64 s0, s[28:29], v[2:3]
	v_lshlrev_b32_e32 v16, 2, v14
	v_cmp_gt_i64_e64 s1, s[30:31], v[4:5]
	v_mul_lo_u32 v5, s23, v17
	s_add_u32 s26, s26, s42
	s_addc_u32 s27, s27, s43
	v_mov_b32_e32 v2, v9
	v_lshl_or_b32 v14, v13, 7, v16
	v_mul_lo_u32 v16, s22, v18
	s_add_u32 s20, s20, s42
	s_addc_u32 s21, s21, s43
	v_mad_u64_u32 v[2:3], null, s37, v6, v[2:3]
	v_mad_u64_u32 v[3:4], null, s22, v17, 0
	s_load_dwordx2 s[22:23], s[26:27], 0x0
	s_load_dwordx2 s[20:21], s[20:21], 0x0
	s_lshl_b64 s[26:27], s[40:41], 6
	s_lshl_b64 s[38:39], s[38:39], 1
	v_mov_b32_e32 v9, v2
	s_add_u32 s26, s38, s26
	v_add3_u32 v4, v4, v16, v5
	s_addc_u32 s27, s39, s27
	s_lshl_b64 s[24:25], s[24:25], 1
	v_lshlrev_b64 v[8:9], 1, v[8:9]
	v_lshl_or_b32 v15, v10, 5, v15
	v_lshlrev_b64 v[2:3], 1, v[3:4]
	v_add_nc_u32_e32 v15, 0x400, v15
	v_add_co_u32 v4, vcc_lo, s26, v8
	v_lshlrev_b32_e32 v8, 1, v10
	v_add_co_ci_u32_e64 v5, null, s27, v9, vcc_lo
	v_add_co_u32 v2, vcc_lo, v2, s24
	v_lshlrev_b32_e32 v9, 1, v13
	v_add_co_ci_u32_e64 v3, null, s25, v3, vcc_lo
	v_add_co_u32 v4, vcc_lo, v4, v8
	v_add_co_ci_u32_e64 v5, null, 0, v5, vcc_lo
	v_add_co_u32 v8, vcc_lo, v2, v9
	v_add_co_ci_u32_e64 v9, null, 0, v3, vcc_lo
	s_waitcnt lgkmcnt(0)
	v_add_co_u32 v2, vcc_lo, s22, v4
	v_add_co_ci_u32_e64 v3, null, s23, v5, vcc_lo
	v_add_co_u32 v4, vcc_lo, s20, v8
	v_add_co_ci_u32_e64 v5, null, s21, v9, vcc_lo
	v_mov_b32_e32 v8, 0
	v_mov_b32_e32 v9, 0
	;; [unrolled: 1-line block ×3, first 2 shown]
	s_lshl_b64 s[20:21], s[36:37], 4
	s_mov_b64 s[22:23], 0
	s_branch .LBB107_3
.LBB107_2:                              ;   in Loop: Header=BB107_3 Depth=1
	s_or_b32 exec_lo, exec_lo, s24
	ds_write_b32 v15, v17
	s_waitcnt lgkmcnt(0)
	s_barrier
	buffer_gl0_inv
	ds_read_b128 v[16:19], v12
	ds_read2_b32 v[32:33], v11 offset1:16
	ds_read_b128 v[20:23], v12 offset:512
	ds_read2_b32 v[34:35], v11 offset0:32 offset1:48
	ds_read2_b32 v[36:37], v11 offset0:64 offset1:80
	;; [unrolled: 1-line block ×3, first 2 shown]
	ds_read_b128 v[24:27], v12 offset:16
	ds_read2_b32 v[40:41], v11 offset0:128 offset1:144
	ds_read_b128 v[28:31], v12 offset:528
	ds_read2_b32 v[42:43], v11 offset0:160 offset1:176
	s_add_u32 s22, s22, 8
	s_addc_u32 s23, s23, 0
	v_add_co_u32 v2, vcc_lo, v2, s20
	v_cmp_lt_i64_e64 s24, s[22:23], s[34:35]
	v_add_co_ci_u32_e64 v3, null, s21, v3, vcc_lo
	v_add_co_u32 v4, vcc_lo, v4, 16
	v_add_co_ci_u32_e64 v5, null, 0, v5, vcc_lo
	s_waitcnt lgkmcnt(8)
	v_fmac_f32_e32 v10, v32, v16
	v_fmac_f32_e32 v9, v33, v16
	s_waitcnt lgkmcnt(7)
	v_fmac_f32_e32 v8, v32, v20
	v_fmac_f32_e32 v7, v33, v20
	ds_read2_b32 v[32:33], v11 offset0:192 offset1:208
	s_waitcnt lgkmcnt(7)
	v_fmac_f32_e32 v10, v34, v17
	v_fmac_f32_e32 v9, v35, v17
	;; [unrolled: 1-line block ×4, first 2 shown]
	ds_read2_b32 v[16:17], v11 offset0:224 offset1:240
	s_waitcnt lgkmcnt(7)
	v_fmac_f32_e32 v10, v36, v18
	v_fmac_f32_e32 v9, v37, v18
	;; [unrolled: 1-line block ×4, first 2 shown]
	s_and_b32 vcc_lo, exec_lo, s24
	s_waitcnt lgkmcnt(6)
	v_fmac_f32_e32 v10, v38, v19
	v_fmac_f32_e32 v9, v39, v19
	;; [unrolled: 1-line block ×4, first 2 shown]
	s_waitcnt lgkmcnt(0)
	v_fmac_f32_e32 v10, v40, v24
	v_fmac_f32_e32 v9, v41, v24
	;; [unrolled: 1-line block ×4, first 2 shown]
	s_barrier
	v_fmac_f32_e32 v10, v42, v25
	v_fmac_f32_e32 v9, v43, v25
	;; [unrolled: 1-line block ×4, first 2 shown]
	buffer_gl0_inv
	v_fmac_f32_e32 v10, v32, v26
	v_fmac_f32_e32 v9, v33, v26
	;; [unrolled: 1-line block ×8, first 2 shown]
	s_cbranch_vccz .LBB107_7
.LBB107_3:                              ; =>This Inner Loop Header: Depth=1
	v_add_co_u32 v16, s24, v13, s22
	v_add_co_ci_u32_e64 v17, null, 0, s23, s24
	v_cmp_gt_i64_e32 vcc_lo, s[34:35], v[16:17]
	v_mov_b32_e32 v16, 0
	s_and_b32 s25, s0, vcc_lo
	s_and_saveexec_b32 s24, s25
	s_cbranch_execz .LBB107_5
; %bb.4:                                ;   in Loop: Header=BB107_3 Depth=1
	flat_load_ushort v16, v[4:5]
	s_waitcnt vmcnt(0) lgkmcnt(0)
	v_cvt_f32_f16_e32 v16, v16
.LBB107_5:                              ;   in Loop: Header=BB107_3 Depth=1
	s_or_b32 exec_lo, exec_lo, s24
	v_add_co_u32 v17, s24, v6, s22
	v_add_co_ci_u32_e64 v18, null, 0, s23, s24
	ds_write_b32 v14, v16
	v_cmp_gt_i64_e32 vcc_lo, s[34:35], v[17:18]
	v_mov_b32_e32 v17, 0
	s_and_b32 s25, vcc_lo, s1
	s_and_saveexec_b32 s24, s25
	s_cbranch_execz .LBB107_2
; %bb.6:                                ;   in Loop: Header=BB107_3 Depth=1
	flat_load_ushort v16, v[2:3]
	s_waitcnt vmcnt(0) lgkmcnt(0)
	v_cvt_f32_f16_e32 v17, v16
	s_branch .LBB107_2
.LBB107_7:
	s_clause 0x1
	s_load_dword s20, s[4:5], 0x50
	s_load_dword s4, s[4:5], 0x18
	v_add_co_u32 v1, s5, s18, v1
	v_add_co_ci_u32_e64 v2, null, s19, 0, s5
	s_lshl_b64 s[0:1], s[10:11], 1
	s_waitcnt lgkmcnt(0)
	s_add_u32 s5, s2, s0
	v_cmp_gt_i64_e64 s0, s[30:31], v[1:2]
	s_addc_u32 s3, s3, s1
	v_cmp_neq_f32_e64 s10, s20, 0
	s_and_b32 vcc_lo, exec_lo, s10
	s_cbranch_vccnz .LBB107_20
; %bb.8:
	s_and_saveexec_b32 s10, s0
	s_cbranch_execz .LBB107_18
; %bb.9:
	v_mul_lo_u32 v5, v2, s8
	v_mul_lo_u32 v6, v1, s9
	v_mad_u64_u32 v[3:4], null, v1, s8, 0
	v_add3_u32 v4, v4, v6, v5
	v_add_co_u32 v5, s1, s6, v0
	v_add_co_ci_u32_e64 v6, null, s7, 0, s1
	v_lshlrev_b64 v[11:12], 1, v[3:4]
	v_cmp_gt_i64_e32 vcc_lo, s[28:29], v[5:6]
	v_lshlrev_b64 v[3:4], 1, v[5:6]
	v_add_co_u32 v11, s1, s5, v11
	v_add_co_ci_u32_e64 v12, null, s3, v12, s1
	s_and_saveexec_b32 s2, vcc_lo
	s_cbranch_execz .LBB107_11
; %bb.10:
	v_add_co_u32 v13, s1, v11, v3
	v_add_co_ci_u32_e64 v14, null, v12, v4, s1
	v_fma_mixlo_f16 v15, s4, v10, 0
	flat_store_short v[13:14], v15
.LBB107_11:
	s_or_b32 exec_lo, exec_lo, s2
	v_add_co_u32 v5, s1, v5, 16
	v_add_co_ci_u32_e64 v6, null, 0, v6, s1
	v_cmp_gt_i64_e64 s1, s[28:29], v[5:6]
	s_and_saveexec_b32 s11, s1
	s_cbranch_execz .LBB107_13
; %bb.12:
	v_add_co_u32 v5, s2, v11, v3
	v_add_co_ci_u32_e64 v6, null, v12, v4, s2
	v_fma_mixlo_f16 v13, s4, v9, 0
	flat_store_short v[5:6], v13 offset:32
.LBB107_13:
	s_or_b32 exec_lo, exec_lo, s11
	v_add_co_u32 v5, s2, v1, 16
	v_add_co_ci_u32_e64 v6, null, 0, v2, s2
	v_cmp_gt_i64_e64 s2, s[30:31], v[5:6]
	s_and_b32 exec_lo, exec_lo, s2
	s_cbranch_execz .LBB107_18
; %bb.14:
	s_lshl_b64 s[18:19], s[8:9], 5
	v_add_co_u32 v5, s2, v11, s18
	v_add_co_ci_u32_e64 v6, null, s19, v12, s2
	v_add_co_u32 v3, s2, v5, v3
	v_add_co_ci_u32_e64 v4, null, v6, v4, s2
	s_and_saveexec_b32 s2, vcc_lo
	s_cbranch_execz .LBB107_16
; %bb.15:
	v_fma_mixlo_f16 v5, s4, v8, 0
	flat_store_short v[3:4], v5
.LBB107_16:
	s_or_b32 exec_lo, exec_lo, s2
	s_and_b32 exec_lo, exec_lo, s1
	s_cbranch_execz .LBB107_18
; %bb.17:
	v_fma_mixlo_f16 v5, s4, v7, 0
	flat_store_short v[3:4], v5 offset:32
.LBB107_18:
	s_or_b32 exec_lo, exec_lo, s10
	s_cbranch_execz .LBB107_21
.LBB107_19:
	s_endpgm
.LBB107_20:
.LBB107_21:
	s_and_saveexec_b32 s1, s0
	s_cbranch_execz .LBB107_19
; %bb.22:
	v_mul_lo_u32 v5, v2, s14
	v_mul_lo_u32 v6, v1, s15
	v_mad_u64_u32 v[3:4], null, v1, s14, 0
	v_mul_lo_u32 v13, v2, s8
	v_mul_lo_u32 v14, v1, s9
	v_mad_u64_u32 v[11:12], null, v1, s8, 0
	s_lshl_b64 s[0:1], s[16:17], 1
	v_add3_u32 v4, v4, v6, v5
	v_add_co_u32 v5, s2, s6, v0
	v_add_co_ci_u32_e64 v6, null, s7, 0, s2
	v_add3_u32 v12, v12, v14, v13
	v_lshlrev_b64 v[3:4], 1, v[3:4]
	s_add_u32 s0, s12, s0
	s_addc_u32 s1, s13, s1
	v_cmp_gt_i64_e32 vcc_lo, s[28:29], v[5:6]
	v_lshlrev_b64 v[12:13], 1, v[11:12]
	v_add_co_u32 v0, s0, s0, v3
	v_add_co_ci_u32_e64 v11, null, s1, v4, s0
	v_add_co_u32 v12, s0, s5, v12
	v_lshlrev_b64 v[3:4], 1, v[5:6]
	v_add_co_ci_u32_e64 v13, null, s3, v13, s0
	s_and_saveexec_b32 s1, vcc_lo
	s_cbranch_execz .LBB107_24
; %bb.23:
	v_add_co_u32 v14, s0, v0, v3
	v_add_co_ci_u32_e64 v15, null, v11, v4, s0
	flat_load_ushort v14, v[14:15]
	s_waitcnt vmcnt(0) lgkmcnt(0)
	v_cvt_f32_f16_e32 v14, v14
	v_mul_f32_e32 v14, s20, v14
	v_fma_mixlo_f16 v10, s4, v10, v14
	v_add_co_u32 v14, s0, v12, v3
	v_add_co_ci_u32_e64 v15, null, v13, v4, s0
	flat_store_short v[14:15], v10
.LBB107_24:
	s_or_b32 exec_lo, exec_lo, s1
	v_add_co_u32 v5, s0, v5, 16
	v_add_co_ci_u32_e64 v6, null, 0, v6, s0
	v_cmp_gt_i64_e64 s0, s[28:29], v[5:6]
	s_and_saveexec_b32 s2, s0
	s_cbranch_execz .LBB107_26
; %bb.25:
	v_add_co_u32 v5, s1, v0, v3
	v_add_co_ci_u32_e64 v6, null, v11, v4, s1
	flat_load_ushort v5, v[5:6] offset:32
	s_waitcnt vmcnt(0) lgkmcnt(0)
	v_cvt_f32_f16_e32 v5, v5
	v_mul_f32_e32 v5, s20, v5
	v_fma_mixlo_f16 v9, s4, v9, v5
	v_add_co_u32 v5, s1, v12, v3
	v_add_co_ci_u32_e64 v6, null, v13, v4, s1
	flat_store_short v[5:6], v9 offset:32
.LBB107_26:
	s_or_b32 exec_lo, exec_lo, s2
	v_add_co_u32 v1, s1, v1, 16
	v_add_co_ci_u32_e64 v2, null, 0, v2, s1
	v_cmp_gt_i64_e64 s1, s[30:31], v[1:2]
	s_and_b32 exec_lo, exec_lo, s1
	s_cbranch_execz .LBB107_19
; %bb.27:
	s_lshl_b64 s[2:3], s[14:15], 5
	v_add_co_u32 v0, s1, v0, s2
	v_add_co_ci_u32_e64 v1, null, s3, v11, s1
	s_lshl_b64 s[2:3], s[8:9], 5
	v_add_co_u32 v2, s1, v12, s2
	v_add_co_ci_u32_e64 v5, null, s3, v13, s1
	v_add_co_u32 v0, s1, v0, v3
	v_add_co_ci_u32_e64 v1, null, v1, v4, s1
	;; [unrolled: 2-line block ×3, first 2 shown]
	s_and_saveexec_b32 s1, vcc_lo
	s_cbranch_execz .LBB107_29
; %bb.28:
	flat_load_ushort v4, v[0:1]
	s_waitcnt vmcnt(0) lgkmcnt(0)
	v_cvt_f32_f16_e32 v4, v4
	v_mul_f32_e32 v4, s20, v4
	v_fma_mixlo_f16 v4, s4, v8, v4
	flat_store_short v[2:3], v4
.LBB107_29:
	s_or_b32 exec_lo, exec_lo, s1
	s_and_b32 exec_lo, exec_lo, s0
	s_cbranch_execz .LBB107_19
; %bb.30:
	flat_load_ushort v0, v[0:1] offset:32
	s_waitcnt vmcnt(0) lgkmcnt(0)
	v_cvt_f32_f16_e32 v0, v0
	v_mul_f32_e32 v0, s20, v0
	v_fma_mixlo_f16 v0, s4, v7, v0
	flat_store_short v[2:3], v0 offset:32
	s_endpgm
	.section	.rodata,"a",@progbits
	.p2align	6, 0x0
	.amdhsa_kernel _ZN12_GLOBAL__N_135rocblas_gemm_batched_general_kernelIfLi16ELi16ELi32ELi32ELi8ELi32ELi8ELi8ELi32ELc67ELc67EKPKDF16_S3_KPDF16_EEvlllT_PT11_llS8_llS6_PT12_llPT13_lli
		.amdhsa_group_segment_fixed_size 2048
		.amdhsa_private_segment_fixed_size 0
		.amdhsa_kernarg_size 140
		.amdhsa_user_sgpr_count 6
		.amdhsa_user_sgpr_private_segment_buffer 1
		.amdhsa_user_sgpr_dispatch_ptr 0
		.amdhsa_user_sgpr_queue_ptr 0
		.amdhsa_user_sgpr_kernarg_segment_ptr 1
		.amdhsa_user_sgpr_dispatch_id 0
		.amdhsa_user_sgpr_flat_scratch_init 0
		.amdhsa_user_sgpr_private_segment_size 0
		.amdhsa_wavefront_size32 1
		.amdhsa_uses_dynamic_stack 0
		.amdhsa_system_sgpr_private_segment_wavefront_offset 0
		.amdhsa_system_sgpr_workgroup_id_x 1
		.amdhsa_system_sgpr_workgroup_id_y 1
		.amdhsa_system_sgpr_workgroup_id_z 1
		.amdhsa_system_sgpr_workgroup_info 0
		.amdhsa_system_vgpr_workitem_id 1
		.amdhsa_next_free_vgpr 44
		.amdhsa_next_free_sgpr 44
		.amdhsa_reserve_vcc 1
		.amdhsa_reserve_flat_scratch 0
		.amdhsa_float_round_mode_32 0
		.amdhsa_float_round_mode_16_64 0
		.amdhsa_float_denorm_mode_32 3
		.amdhsa_float_denorm_mode_16_64 3
		.amdhsa_dx10_clamp 1
		.amdhsa_ieee_mode 1
		.amdhsa_fp16_overflow 0
		.amdhsa_workgroup_processor_mode 1
		.amdhsa_memory_ordered 1
		.amdhsa_forward_progress 1
		.amdhsa_shared_vgpr_count 0
		.amdhsa_exception_fp_ieee_invalid_op 0
		.amdhsa_exception_fp_denorm_src 0
		.amdhsa_exception_fp_ieee_div_zero 0
		.amdhsa_exception_fp_ieee_overflow 0
		.amdhsa_exception_fp_ieee_underflow 0
		.amdhsa_exception_fp_ieee_inexact 0
		.amdhsa_exception_int_div_zero 0
	.end_amdhsa_kernel
	.section	.text._ZN12_GLOBAL__N_135rocblas_gemm_batched_general_kernelIfLi16ELi16ELi32ELi32ELi8ELi32ELi8ELi8ELi32ELc67ELc67EKPKDF16_S3_KPDF16_EEvlllT_PT11_llS8_llS6_PT12_llPT13_lli,"axG",@progbits,_ZN12_GLOBAL__N_135rocblas_gemm_batched_general_kernelIfLi16ELi16ELi32ELi32ELi8ELi32ELi8ELi8ELi32ELc67ELc67EKPKDF16_S3_KPDF16_EEvlllT_PT11_llS8_llS6_PT12_llPT13_lli,comdat
.Lfunc_end107:
	.size	_ZN12_GLOBAL__N_135rocblas_gemm_batched_general_kernelIfLi16ELi16ELi32ELi32ELi8ELi32ELi8ELi8ELi32ELc67ELc67EKPKDF16_S3_KPDF16_EEvlllT_PT11_llS8_llS6_PT12_llPT13_lli, .Lfunc_end107-_ZN12_GLOBAL__N_135rocblas_gemm_batched_general_kernelIfLi16ELi16ELi32ELi32ELi8ELi32ELi8ELi8ELi32ELc67ELc67EKPKDF16_S3_KPDF16_EEvlllT_PT11_llS8_llS6_PT12_llPT13_lli
                                        ; -- End function
	.set _ZN12_GLOBAL__N_135rocblas_gemm_batched_general_kernelIfLi16ELi16ELi32ELi32ELi8ELi32ELi8ELi8ELi32ELc67ELc67EKPKDF16_S3_KPDF16_EEvlllT_PT11_llS8_llS6_PT12_llPT13_lli.num_vgpr, 44
	.set _ZN12_GLOBAL__N_135rocblas_gemm_batched_general_kernelIfLi16ELi16ELi32ELi32ELi8ELi32ELi8ELi8ELi32ELc67ELc67EKPKDF16_S3_KPDF16_EEvlllT_PT11_llS8_llS6_PT12_llPT13_lli.num_agpr, 0
	.set _ZN12_GLOBAL__N_135rocblas_gemm_batched_general_kernelIfLi16ELi16ELi32ELi32ELi8ELi32ELi8ELi8ELi32ELc67ELc67EKPKDF16_S3_KPDF16_EEvlllT_PT11_llS8_llS6_PT12_llPT13_lli.numbered_sgpr, 44
	.set _ZN12_GLOBAL__N_135rocblas_gemm_batched_general_kernelIfLi16ELi16ELi32ELi32ELi8ELi32ELi8ELi8ELi32ELc67ELc67EKPKDF16_S3_KPDF16_EEvlllT_PT11_llS8_llS6_PT12_llPT13_lli.num_named_barrier, 0
	.set _ZN12_GLOBAL__N_135rocblas_gemm_batched_general_kernelIfLi16ELi16ELi32ELi32ELi8ELi32ELi8ELi8ELi32ELc67ELc67EKPKDF16_S3_KPDF16_EEvlllT_PT11_llS8_llS6_PT12_llPT13_lli.private_seg_size, 0
	.set _ZN12_GLOBAL__N_135rocblas_gemm_batched_general_kernelIfLi16ELi16ELi32ELi32ELi8ELi32ELi8ELi8ELi32ELc67ELc67EKPKDF16_S3_KPDF16_EEvlllT_PT11_llS8_llS6_PT12_llPT13_lli.uses_vcc, 1
	.set _ZN12_GLOBAL__N_135rocblas_gemm_batched_general_kernelIfLi16ELi16ELi32ELi32ELi8ELi32ELi8ELi8ELi32ELc67ELc67EKPKDF16_S3_KPDF16_EEvlllT_PT11_llS8_llS6_PT12_llPT13_lli.uses_flat_scratch, 0
	.set _ZN12_GLOBAL__N_135rocblas_gemm_batched_general_kernelIfLi16ELi16ELi32ELi32ELi8ELi32ELi8ELi8ELi32ELc67ELc67EKPKDF16_S3_KPDF16_EEvlllT_PT11_llS8_llS6_PT12_llPT13_lli.has_dyn_sized_stack, 0
	.set _ZN12_GLOBAL__N_135rocblas_gemm_batched_general_kernelIfLi16ELi16ELi32ELi32ELi8ELi32ELi8ELi8ELi32ELc67ELc67EKPKDF16_S3_KPDF16_EEvlllT_PT11_llS8_llS6_PT12_llPT13_lli.has_recursion, 0
	.set _ZN12_GLOBAL__N_135rocblas_gemm_batched_general_kernelIfLi16ELi16ELi32ELi32ELi8ELi32ELi8ELi8ELi32ELc67ELc67EKPKDF16_S3_KPDF16_EEvlllT_PT11_llS8_llS6_PT12_llPT13_lli.has_indirect_call, 0
	.section	.AMDGPU.csdata,"",@progbits
; Kernel info:
; codeLenInByte = 1964
; TotalNumSgprs: 46
; NumVgprs: 44
; ScratchSize: 0
; MemoryBound: 0
; FloatMode: 240
; IeeeMode: 1
; LDSByteSize: 2048 bytes/workgroup (compile time only)
; SGPRBlocks: 0
; VGPRBlocks: 5
; NumSGPRsForWavesPerEU: 46
; NumVGPRsForWavesPerEU: 44
; Occupancy: 16
; WaveLimiterHint : 1
; COMPUTE_PGM_RSRC2:SCRATCH_EN: 0
; COMPUTE_PGM_RSRC2:USER_SGPR: 6
; COMPUTE_PGM_RSRC2:TRAP_HANDLER: 0
; COMPUTE_PGM_RSRC2:TGID_X_EN: 1
; COMPUTE_PGM_RSRC2:TGID_Y_EN: 1
; COMPUTE_PGM_RSRC2:TGID_Z_EN: 1
; COMPUTE_PGM_RSRC2:TIDIG_COMP_CNT: 1
	.section	.text._ZN12_GLOBAL__N_135rocblas_gemm_batched_general_kernelIfLi16ELi16ELi32ELi32ELi8ELi32ELi8ELi8ELi32ELc67ELc78EKPKDF16_S3_KPDF16_EEvlllT_PT11_llS8_llS6_PT12_llPT13_lli,"axG",@progbits,_ZN12_GLOBAL__N_135rocblas_gemm_batched_general_kernelIfLi16ELi16ELi32ELi32ELi8ELi32ELi8ELi8ELi32ELc67ELc78EKPKDF16_S3_KPDF16_EEvlllT_PT11_llS8_llS6_PT12_llPT13_lli,comdat
	.globl	_ZN12_GLOBAL__N_135rocblas_gemm_batched_general_kernelIfLi16ELi16ELi32ELi32ELi8ELi32ELi8ELi8ELi32ELc67ELc78EKPKDF16_S3_KPDF16_EEvlllT_PT11_llS8_llS6_PT12_llPT13_lli ; -- Begin function _ZN12_GLOBAL__N_135rocblas_gemm_batched_general_kernelIfLi16ELi16ELi32ELi32ELi8ELi32ELi8ELi8ELi32ELc67ELc78EKPKDF16_S3_KPDF16_EEvlllT_PT11_llS8_llS6_PT12_llPT13_lli
	.p2align	8
	.type	_ZN12_GLOBAL__N_135rocblas_gemm_batched_general_kernelIfLi16ELi16ELi32ELi32ELi8ELi32ELi8ELi8ELi32ELc67ELc78EKPKDF16_S3_KPDF16_EEvlllT_PT11_llS8_llS6_PT12_llPT13_lli,@function
_ZN12_GLOBAL__N_135rocblas_gemm_batched_general_kernelIfLi16ELi16ELi32ELi32ELi8ELi32ELi8ELi8ELi32ELc67ELc78EKPKDF16_S3_KPDF16_EEvlllT_PT11_llS8_llS6_PT12_llPT13_lli: ; @_ZN12_GLOBAL__N_135rocblas_gemm_batched_general_kernelIfLi16ELi16ELi32ELi32ELi8ELi32ELi8ELi8ELi32ELc67ELc78EKPKDF16_S3_KPDF16_EEvlllT_PT11_llS8_llS6_PT12_llPT13_lli
; %bb.0:
	s_clause 0x1
	s_load_dwordx8 s[12:19], s[4:5], 0x58
	s_load_dwordx2 s[34:35], s[4:5], 0x10
	s_mov_b32 s9, 0
	s_load_dwordx4 s[28:31], s[4:5], 0x0
	s_lshl_b64 s[38:39], s[8:9], 3
	s_load_dwordx4 s[8:11], s[4:5], 0x78
	s_mov_b32 s0, s7
	v_mov_b32_e32 v10, 0
	v_mov_b32_e32 v9, 0
	v_mov_b32_e32 v8, 0
	v_mov_b32_e32 v7, 0
	s_waitcnt lgkmcnt(0)
	s_add_u32 s2, s12, s38
	s_addc_u32 s3, s13, s39
	s_add_u32 s18, s18, s38
	s_addc_u32 s19, s19, s39
	s_load_dwordx2 s[12:13], s[2:3], 0x0
	s_load_dwordx2 s[18:19], s[18:19], 0x0
	v_cmp_lt_i64_e64 s2, s[34:35], 1
	s_ashr_i32 s7, s6, 31
	s_ashr_i32 s1, s0, 31
	s_lshl_b64 s[6:7], s[6:7], 5
	s_lshl_b64 s[36:37], s[0:1], 5
	s_and_b32 vcc_lo, exec_lo, s2
	s_cbranch_vccnz .LBB108_7
; %bb.1:
	s_clause 0x1
	s_load_dwordx8 s[20:27], s[4:5], 0x20
	s_load_dwordx4 s[0:3], s[4:5], 0x40
	v_lshl_add_u32 v2, v1, 4, v0
	v_mov_b32_e32 v3, s7
	v_and_b32_e32 v6, 7, v0
	v_mov_b32_e32 v7, 0
	v_lshrrev_b32_e32 v10, 3, v2
	v_and_b32_e32 v8, 31, v2
	v_lshrrev_b32_e32 v11, 5, v2
	v_lshlrev_b32_e32 v12, 2, v6
	v_add_co_u32 v4, s33, v10, s36
	v_add_co_ci_u32_e64 v5, null, 0, s37, s33
	v_or_b32_e32 v2, s6, v8
	v_lshlrev_b32_e32 v13, 2, v8
	v_lshl_or_b32 v10, v10, 5, v12
	s_waitcnt lgkmcnt(0)
	s_add_u32 s26, s26, s38
	v_mul_lo_u32 v14, s1, v4
	v_add_co_u32 v15, s1, s6, v8
	v_add_co_ci_u32_e64 v16, null, s7, 0, s1
	v_mul_lo_u32 v18, s0, v5
	v_mad_u64_u32 v[8:9], null, s0, v4, 0
	v_mul_lo_u32 v19, s23, v15
	v_mul_lo_u32 v20, s22, v16
	v_mad_u64_u32 v[16:17], null, s22, v15, 0
	s_addc_u32 s27, s27, s39
	s_add_u32 s20, s20, s38
	v_add3_u32 v9, v9, v18, v14
	s_load_dwordx2 s[26:27], s[26:27], 0x0
	s_addc_u32 s21, s21, s39
	v_cmp_gt_i64_e64 s0, s[28:29], v[2:3]
	v_add3_u32 v17, v17, v20, v19
	s_load_dwordx2 s[20:21], s[20:21], 0x0
	v_lshlrev_b64 v[2:3], 1, v[8:9]
	v_cmp_gt_i64_e64 s1, s[30:31], v[4:5]
	s_lshl_b64 s[2:3], s[2:3], 1
	v_lshlrev_b64 v[4:5], 1, v[16:17]
	v_lshlrev_b32_e32 v8, 1, v6
	v_lshlrev_b32_e32 v9, 1, v11
	v_add_co_u32 v2, vcc_lo, v2, s2
	v_add_co_ci_u32_e64 v3, null, s3, v3, vcc_lo
	s_lshl_b64 s[2:3], s[24:25], 1
	v_lshl_or_b32 v12, v11, 7, v13
	v_add_co_u32 v4, vcc_lo, v4, s2
	v_add_co_ci_u32_e64 v5, null, s3, v5, vcc_lo
	v_add_co_u32 v2, vcc_lo, v2, v8
	v_add_co_ci_u32_e64 v3, null, 0, v3, vcc_lo
	;; [unrolled: 2-line block ×3, first 2 shown]
	s_waitcnt lgkmcnt(0)
	v_add_co_u32 v2, vcc_lo, s26, v2
	v_add_co_ci_u32_e64 v3, null, s27, v3, vcc_lo
	v_add_co_u32 v4, vcc_lo, s20, v4
	v_add_nc_u32_e32 v13, 0x400, v10
	v_lshlrev_b32_e32 v14, 2, v0
	v_lshl_add_u32 v15, v1, 5, 0x400
	v_add_co_ci_u32_e64 v5, null, s21, v5, vcc_lo
	v_mov_b32_e32 v8, 0
	v_mov_b32_e32 v9, 0
	;; [unrolled: 1-line block ×3, first 2 shown]
	s_mov_b64 s[2:3], 0
	s_branch .LBB108_3
.LBB108_2:                              ;   in Loop: Header=BB108_3 Depth=1
	s_or_b32 exec_lo, exec_lo, s20
	ds_write_b32 v13, v17
	s_waitcnt lgkmcnt(0)
	s_barrier
	buffer_gl0_inv
	ds_read_b128 v[16:19], v15
	ds_read2_b32 v[32:33], v14 offset1:16
	ds_read_b128 v[20:23], v15 offset:512
	ds_read2_b32 v[34:35], v14 offset0:32 offset1:48
	ds_read2_b32 v[36:37], v14 offset0:64 offset1:80
	;; [unrolled: 1-line block ×3, first 2 shown]
	ds_read_b128 v[24:27], v15 offset:16
	ds_read2_b32 v[40:41], v14 offset0:128 offset1:144
	ds_read_b128 v[28:31], v15 offset:528
	ds_read2_b32 v[42:43], v14 offset0:160 offset1:176
	s_add_u32 s2, s2, 8
	s_addc_u32 s3, s3, 0
	v_add_co_u32 v2, vcc_lo, v2, 16
	v_cmp_lt_i64_e64 s20, s[2:3], s[34:35]
	v_add_co_ci_u32_e64 v3, null, 0, v3, vcc_lo
	v_add_co_u32 v4, vcc_lo, v4, 16
	v_add_co_ci_u32_e64 v5, null, 0, v5, vcc_lo
	s_waitcnt lgkmcnt(8)
	v_fmac_f32_e32 v10, v32, v16
	v_fmac_f32_e32 v9, v33, v16
	s_waitcnt lgkmcnt(7)
	v_fmac_f32_e32 v8, v32, v20
	v_fmac_f32_e32 v7, v33, v20
	ds_read2_b32 v[32:33], v14 offset0:192 offset1:208
	s_waitcnt lgkmcnt(7)
	v_fmac_f32_e32 v10, v34, v17
	v_fmac_f32_e32 v9, v35, v17
	;; [unrolled: 1-line block ×4, first 2 shown]
	ds_read2_b32 v[16:17], v14 offset0:224 offset1:240
	s_waitcnt lgkmcnt(7)
	v_fmac_f32_e32 v10, v36, v18
	v_fmac_f32_e32 v9, v37, v18
	;; [unrolled: 1-line block ×4, first 2 shown]
	s_and_b32 vcc_lo, exec_lo, s20
	s_waitcnt lgkmcnt(6)
	v_fmac_f32_e32 v10, v38, v19
	v_fmac_f32_e32 v9, v39, v19
	;; [unrolled: 1-line block ×4, first 2 shown]
	s_waitcnt lgkmcnt(0)
	v_fmac_f32_e32 v10, v40, v24
	v_fmac_f32_e32 v9, v41, v24
	;; [unrolled: 1-line block ×4, first 2 shown]
	s_barrier
	v_fmac_f32_e32 v10, v42, v25
	v_fmac_f32_e32 v9, v43, v25
	;; [unrolled: 1-line block ×4, first 2 shown]
	buffer_gl0_inv
	v_fmac_f32_e32 v10, v32, v26
	v_fmac_f32_e32 v9, v33, v26
	;; [unrolled: 1-line block ×8, first 2 shown]
	s_cbranch_vccz .LBB108_7
.LBB108_3:                              ; =>This Inner Loop Header: Depth=1
	v_add_co_u32 v16, s20, v11, s2
	v_add_co_ci_u32_e64 v17, null, 0, s3, s20
	v_cmp_gt_i64_e32 vcc_lo, s[34:35], v[16:17]
	v_mov_b32_e32 v16, 0
	s_and_b32 s21, s0, vcc_lo
	s_and_saveexec_b32 s20, s21
	s_cbranch_execz .LBB108_5
; %bb.4:                                ;   in Loop: Header=BB108_3 Depth=1
	flat_load_ushort v16, v[4:5]
	s_waitcnt vmcnt(0) lgkmcnt(0)
	v_cvt_f32_f16_e32 v16, v16
.LBB108_5:                              ;   in Loop: Header=BB108_3 Depth=1
	s_or_b32 exec_lo, exec_lo, s20
	v_add_co_u32 v17, s20, v6, s2
	v_add_co_ci_u32_e64 v18, null, 0, s3, s20
	ds_write_b32 v12, v16
	v_cmp_gt_i64_e32 vcc_lo, s[34:35], v[17:18]
	v_mov_b32_e32 v17, 0
	s_and_b32 s21, vcc_lo, s1
	s_and_saveexec_b32 s20, s21
	s_cbranch_execz .LBB108_2
; %bb.6:                                ;   in Loop: Header=BB108_3 Depth=1
	flat_load_ushort v16, v[2:3]
	s_waitcnt vmcnt(0) lgkmcnt(0)
	v_cvt_f32_f16_e32 v17, v16
	s_branch .LBB108_2
.LBB108_7:
	s_clause 0x1
	s_load_dword s20, s[4:5], 0x50
	s_load_dword s3, s[4:5], 0x18
	v_add_co_u32 v1, s2, s36, v1
	v_add_co_ci_u32_e64 v2, null, s37, 0, s2
	s_lshl_b64 s[0:1], s[10:11], 1
	s_waitcnt lgkmcnt(0)
	s_add_u32 s4, s18, s0
	v_cmp_gt_i64_e64 s0, s[30:31], v[1:2]
	s_addc_u32 s5, s19, s1
	v_cmp_neq_f32_e64 s2, s20, 0
	s_and_b32 vcc_lo, exec_lo, s2
	s_cbranch_vccnz .LBB108_20
; %bb.8:
	s_and_saveexec_b32 s10, s0
	s_cbranch_execz .LBB108_18
; %bb.9:
	v_mul_lo_u32 v5, v2, s8
	v_mul_lo_u32 v6, v1, s9
	v_mad_u64_u32 v[3:4], null, v1, s8, 0
	v_add3_u32 v4, v4, v6, v5
	v_add_co_u32 v5, s1, s6, v0
	v_add_co_ci_u32_e64 v6, null, s7, 0, s1
	v_lshlrev_b64 v[11:12], 1, v[3:4]
	v_cmp_gt_i64_e32 vcc_lo, s[28:29], v[5:6]
	v_lshlrev_b64 v[3:4], 1, v[5:6]
	v_add_co_u32 v11, s1, s4, v11
	v_add_co_ci_u32_e64 v12, null, s5, v12, s1
	s_and_saveexec_b32 s2, vcc_lo
	s_cbranch_execz .LBB108_11
; %bb.10:
	v_add_co_u32 v13, s1, v11, v3
	v_add_co_ci_u32_e64 v14, null, v12, v4, s1
	v_fma_mixlo_f16 v15, s3, v10, 0
	flat_store_short v[13:14], v15
.LBB108_11:
	s_or_b32 exec_lo, exec_lo, s2
	v_add_co_u32 v5, s1, v5, 16
	v_add_co_ci_u32_e64 v6, null, 0, v6, s1
	v_cmp_gt_i64_e64 s1, s[28:29], v[5:6]
	s_and_saveexec_b32 s11, s1
	s_cbranch_execz .LBB108_13
; %bb.12:
	v_add_co_u32 v5, s2, v11, v3
	v_add_co_ci_u32_e64 v6, null, v12, v4, s2
	v_fma_mixlo_f16 v13, s3, v9, 0
	flat_store_short v[5:6], v13 offset:32
.LBB108_13:
	s_or_b32 exec_lo, exec_lo, s11
	v_add_co_u32 v5, s2, v1, 16
	v_add_co_ci_u32_e64 v6, null, 0, v2, s2
	v_cmp_gt_i64_e64 s2, s[30:31], v[5:6]
	s_and_b32 exec_lo, exec_lo, s2
	s_cbranch_execz .LBB108_18
; %bb.14:
	s_lshl_b64 s[18:19], s[8:9], 5
	v_add_co_u32 v5, s2, v11, s18
	v_add_co_ci_u32_e64 v6, null, s19, v12, s2
	v_add_co_u32 v3, s2, v5, v3
	v_add_co_ci_u32_e64 v4, null, v6, v4, s2
	s_and_saveexec_b32 s2, vcc_lo
	s_cbranch_execz .LBB108_16
; %bb.15:
	v_fma_mixlo_f16 v5, s3, v8, 0
	flat_store_short v[3:4], v5
.LBB108_16:
	s_or_b32 exec_lo, exec_lo, s2
	s_and_b32 exec_lo, exec_lo, s1
	s_cbranch_execz .LBB108_18
; %bb.17:
	v_fma_mixlo_f16 v5, s3, v7, 0
	flat_store_short v[3:4], v5 offset:32
.LBB108_18:
	s_or_b32 exec_lo, exec_lo, s10
	s_cbranch_execz .LBB108_21
.LBB108_19:
	s_endpgm
.LBB108_20:
.LBB108_21:
	s_and_saveexec_b32 s1, s0
	s_cbranch_execz .LBB108_19
; %bb.22:
	v_mul_lo_u32 v5, v2, s14
	v_mul_lo_u32 v6, v1, s15
	v_mad_u64_u32 v[3:4], null, v1, s14, 0
	v_mul_lo_u32 v13, v2, s8
	v_mul_lo_u32 v14, v1, s9
	v_mad_u64_u32 v[11:12], null, v1, s8, 0
	s_lshl_b64 s[0:1], s[16:17], 1
	v_add3_u32 v4, v4, v6, v5
	v_add_co_u32 v5, s2, s6, v0
	v_add_co_ci_u32_e64 v6, null, s7, 0, s2
	v_add3_u32 v12, v12, v14, v13
	v_lshlrev_b64 v[3:4], 1, v[3:4]
	s_add_u32 s0, s12, s0
	s_addc_u32 s1, s13, s1
	v_cmp_gt_i64_e32 vcc_lo, s[28:29], v[5:6]
	v_lshlrev_b64 v[12:13], 1, v[11:12]
	v_add_co_u32 v0, s0, s0, v3
	v_add_co_ci_u32_e64 v11, null, s1, v4, s0
	v_add_co_u32 v12, s0, s4, v12
	v_lshlrev_b64 v[3:4], 1, v[5:6]
	v_add_co_ci_u32_e64 v13, null, s5, v13, s0
	s_and_saveexec_b32 s1, vcc_lo
	s_cbranch_execz .LBB108_24
; %bb.23:
	v_add_co_u32 v14, s0, v0, v3
	v_add_co_ci_u32_e64 v15, null, v11, v4, s0
	flat_load_ushort v14, v[14:15]
	s_waitcnt vmcnt(0) lgkmcnt(0)
	v_cvt_f32_f16_e32 v14, v14
	v_mul_f32_e32 v14, s20, v14
	v_fma_mixlo_f16 v10, s3, v10, v14
	v_add_co_u32 v14, s0, v12, v3
	v_add_co_ci_u32_e64 v15, null, v13, v4, s0
	flat_store_short v[14:15], v10
.LBB108_24:
	s_or_b32 exec_lo, exec_lo, s1
	v_add_co_u32 v5, s0, v5, 16
	v_add_co_ci_u32_e64 v6, null, 0, v6, s0
	v_cmp_gt_i64_e64 s0, s[28:29], v[5:6]
	s_and_saveexec_b32 s2, s0
	s_cbranch_execz .LBB108_26
; %bb.25:
	v_add_co_u32 v5, s1, v0, v3
	v_add_co_ci_u32_e64 v6, null, v11, v4, s1
	flat_load_ushort v5, v[5:6] offset:32
	s_waitcnt vmcnt(0) lgkmcnt(0)
	v_cvt_f32_f16_e32 v5, v5
	v_mul_f32_e32 v5, s20, v5
	v_fma_mixlo_f16 v9, s3, v9, v5
	v_add_co_u32 v5, s1, v12, v3
	v_add_co_ci_u32_e64 v6, null, v13, v4, s1
	flat_store_short v[5:6], v9 offset:32
.LBB108_26:
	s_or_b32 exec_lo, exec_lo, s2
	v_add_co_u32 v1, s1, v1, 16
	v_add_co_ci_u32_e64 v2, null, 0, v2, s1
	v_cmp_gt_i64_e64 s1, s[30:31], v[1:2]
	s_and_b32 exec_lo, exec_lo, s1
	s_cbranch_execz .LBB108_19
; %bb.27:
	s_lshl_b64 s[4:5], s[14:15], 5
	v_add_co_u32 v0, s1, v0, s4
	v_add_co_ci_u32_e64 v1, null, s5, v11, s1
	s_lshl_b64 s[4:5], s[8:9], 5
	v_add_co_u32 v2, s1, v12, s4
	v_add_co_ci_u32_e64 v5, null, s5, v13, s1
	v_add_co_u32 v0, s1, v0, v3
	v_add_co_ci_u32_e64 v1, null, v1, v4, s1
	;; [unrolled: 2-line block ×3, first 2 shown]
	s_and_saveexec_b32 s1, vcc_lo
	s_cbranch_execz .LBB108_29
; %bb.28:
	flat_load_ushort v4, v[0:1]
	s_waitcnt vmcnt(0) lgkmcnt(0)
	v_cvt_f32_f16_e32 v4, v4
	v_mul_f32_e32 v4, s20, v4
	v_fma_mixlo_f16 v4, s3, v8, v4
	flat_store_short v[2:3], v4
.LBB108_29:
	s_or_b32 exec_lo, exec_lo, s1
	s_and_b32 exec_lo, exec_lo, s0
	s_cbranch_execz .LBB108_19
; %bb.30:
	flat_load_ushort v0, v[0:1] offset:32
	s_waitcnt vmcnt(0) lgkmcnt(0)
	v_cvt_f32_f16_e32 v0, v0
	v_mul_f32_e32 v0, s20, v0
	v_fma_mixlo_f16 v0, s3, v7, v0
	flat_store_short v[2:3], v0 offset:32
	s_endpgm
	.section	.rodata,"a",@progbits
	.p2align	6, 0x0
	.amdhsa_kernel _ZN12_GLOBAL__N_135rocblas_gemm_batched_general_kernelIfLi16ELi16ELi32ELi32ELi8ELi32ELi8ELi8ELi32ELc67ELc78EKPKDF16_S3_KPDF16_EEvlllT_PT11_llS8_llS6_PT12_llPT13_lli
		.amdhsa_group_segment_fixed_size 2048
		.amdhsa_private_segment_fixed_size 0
		.amdhsa_kernarg_size 140
		.amdhsa_user_sgpr_count 6
		.amdhsa_user_sgpr_private_segment_buffer 1
		.amdhsa_user_sgpr_dispatch_ptr 0
		.amdhsa_user_sgpr_queue_ptr 0
		.amdhsa_user_sgpr_kernarg_segment_ptr 1
		.amdhsa_user_sgpr_dispatch_id 0
		.amdhsa_user_sgpr_flat_scratch_init 0
		.amdhsa_user_sgpr_private_segment_size 0
		.amdhsa_wavefront_size32 1
		.amdhsa_uses_dynamic_stack 0
		.amdhsa_system_sgpr_private_segment_wavefront_offset 0
		.amdhsa_system_sgpr_workgroup_id_x 1
		.amdhsa_system_sgpr_workgroup_id_y 1
		.amdhsa_system_sgpr_workgroup_id_z 1
		.amdhsa_system_sgpr_workgroup_info 0
		.amdhsa_system_vgpr_workitem_id 1
		.amdhsa_next_free_vgpr 44
		.amdhsa_next_free_sgpr 40
		.amdhsa_reserve_vcc 1
		.amdhsa_reserve_flat_scratch 0
		.amdhsa_float_round_mode_32 0
		.amdhsa_float_round_mode_16_64 0
		.amdhsa_float_denorm_mode_32 3
		.amdhsa_float_denorm_mode_16_64 3
		.amdhsa_dx10_clamp 1
		.amdhsa_ieee_mode 1
		.amdhsa_fp16_overflow 0
		.amdhsa_workgroup_processor_mode 1
		.amdhsa_memory_ordered 1
		.amdhsa_forward_progress 1
		.amdhsa_shared_vgpr_count 0
		.amdhsa_exception_fp_ieee_invalid_op 0
		.amdhsa_exception_fp_denorm_src 0
		.amdhsa_exception_fp_ieee_div_zero 0
		.amdhsa_exception_fp_ieee_overflow 0
		.amdhsa_exception_fp_ieee_underflow 0
		.amdhsa_exception_fp_ieee_inexact 0
		.amdhsa_exception_int_div_zero 0
	.end_amdhsa_kernel
	.section	.text._ZN12_GLOBAL__N_135rocblas_gemm_batched_general_kernelIfLi16ELi16ELi32ELi32ELi8ELi32ELi8ELi8ELi32ELc67ELc78EKPKDF16_S3_KPDF16_EEvlllT_PT11_llS8_llS6_PT12_llPT13_lli,"axG",@progbits,_ZN12_GLOBAL__N_135rocblas_gemm_batched_general_kernelIfLi16ELi16ELi32ELi32ELi8ELi32ELi8ELi8ELi32ELc67ELc78EKPKDF16_S3_KPDF16_EEvlllT_PT11_llS8_llS6_PT12_llPT13_lli,comdat
.Lfunc_end108:
	.size	_ZN12_GLOBAL__N_135rocblas_gemm_batched_general_kernelIfLi16ELi16ELi32ELi32ELi8ELi32ELi8ELi8ELi32ELc67ELc78EKPKDF16_S3_KPDF16_EEvlllT_PT11_llS8_llS6_PT12_llPT13_lli, .Lfunc_end108-_ZN12_GLOBAL__N_135rocblas_gemm_batched_general_kernelIfLi16ELi16ELi32ELi32ELi8ELi32ELi8ELi8ELi32ELc67ELc78EKPKDF16_S3_KPDF16_EEvlllT_PT11_llS8_llS6_PT12_llPT13_lli
                                        ; -- End function
	.set _ZN12_GLOBAL__N_135rocblas_gemm_batched_general_kernelIfLi16ELi16ELi32ELi32ELi8ELi32ELi8ELi8ELi32ELc67ELc78EKPKDF16_S3_KPDF16_EEvlllT_PT11_llS8_llS6_PT12_llPT13_lli.num_vgpr, 44
	.set _ZN12_GLOBAL__N_135rocblas_gemm_batched_general_kernelIfLi16ELi16ELi32ELi32ELi8ELi32ELi8ELi8ELi32ELc67ELc78EKPKDF16_S3_KPDF16_EEvlllT_PT11_llS8_llS6_PT12_llPT13_lli.num_agpr, 0
	.set _ZN12_GLOBAL__N_135rocblas_gemm_batched_general_kernelIfLi16ELi16ELi32ELi32ELi8ELi32ELi8ELi8ELi32ELc67ELc78EKPKDF16_S3_KPDF16_EEvlllT_PT11_llS8_llS6_PT12_llPT13_lli.numbered_sgpr, 40
	.set _ZN12_GLOBAL__N_135rocblas_gemm_batched_general_kernelIfLi16ELi16ELi32ELi32ELi8ELi32ELi8ELi8ELi32ELc67ELc78EKPKDF16_S3_KPDF16_EEvlllT_PT11_llS8_llS6_PT12_llPT13_lli.num_named_barrier, 0
	.set _ZN12_GLOBAL__N_135rocblas_gemm_batched_general_kernelIfLi16ELi16ELi32ELi32ELi8ELi32ELi8ELi8ELi32ELc67ELc78EKPKDF16_S3_KPDF16_EEvlllT_PT11_llS8_llS6_PT12_llPT13_lli.private_seg_size, 0
	.set _ZN12_GLOBAL__N_135rocblas_gemm_batched_general_kernelIfLi16ELi16ELi32ELi32ELi8ELi32ELi8ELi8ELi32ELc67ELc78EKPKDF16_S3_KPDF16_EEvlllT_PT11_llS8_llS6_PT12_llPT13_lli.uses_vcc, 1
	.set _ZN12_GLOBAL__N_135rocblas_gemm_batched_general_kernelIfLi16ELi16ELi32ELi32ELi8ELi32ELi8ELi8ELi32ELc67ELc78EKPKDF16_S3_KPDF16_EEvlllT_PT11_llS8_llS6_PT12_llPT13_lli.uses_flat_scratch, 0
	.set _ZN12_GLOBAL__N_135rocblas_gemm_batched_general_kernelIfLi16ELi16ELi32ELi32ELi8ELi32ELi8ELi8ELi32ELc67ELc78EKPKDF16_S3_KPDF16_EEvlllT_PT11_llS8_llS6_PT12_llPT13_lli.has_dyn_sized_stack, 0
	.set _ZN12_GLOBAL__N_135rocblas_gemm_batched_general_kernelIfLi16ELi16ELi32ELi32ELi8ELi32ELi8ELi8ELi32ELc67ELc78EKPKDF16_S3_KPDF16_EEvlllT_PT11_llS8_llS6_PT12_llPT13_lli.has_recursion, 0
	.set _ZN12_GLOBAL__N_135rocblas_gemm_batched_general_kernelIfLi16ELi16ELi32ELi32ELi8ELi32ELi8ELi8ELi32ELc67ELc78EKPKDF16_S3_KPDF16_EEvlllT_PT11_llS8_llS6_PT12_llPT13_lli.has_indirect_call, 0
	.section	.AMDGPU.csdata,"",@progbits
; Kernel info:
; codeLenInByte = 1956
; TotalNumSgprs: 42
; NumVgprs: 44
; ScratchSize: 0
; MemoryBound: 0
; FloatMode: 240
; IeeeMode: 1
; LDSByteSize: 2048 bytes/workgroup (compile time only)
; SGPRBlocks: 0
; VGPRBlocks: 5
; NumSGPRsForWavesPerEU: 42
; NumVGPRsForWavesPerEU: 44
; Occupancy: 16
; WaveLimiterHint : 1
; COMPUTE_PGM_RSRC2:SCRATCH_EN: 0
; COMPUTE_PGM_RSRC2:USER_SGPR: 6
; COMPUTE_PGM_RSRC2:TRAP_HANDLER: 0
; COMPUTE_PGM_RSRC2:TGID_X_EN: 1
; COMPUTE_PGM_RSRC2:TGID_Y_EN: 1
; COMPUTE_PGM_RSRC2:TGID_Z_EN: 1
; COMPUTE_PGM_RSRC2:TIDIG_COMP_CNT: 1
	.section	.text._ZN12_GLOBAL__N_135rocblas_gemm_batched_general_kernelIfLi16ELi16ELi32ELi32ELi8ELi32ELi8ELi8ELi32ELc67ELc84EKPKDF16_S3_KPDF16_EEvlllT_PT11_llS8_llS6_PT12_llPT13_lli,"axG",@progbits,_ZN12_GLOBAL__N_135rocblas_gemm_batched_general_kernelIfLi16ELi16ELi32ELi32ELi8ELi32ELi8ELi8ELi32ELc67ELc84EKPKDF16_S3_KPDF16_EEvlllT_PT11_llS8_llS6_PT12_llPT13_lli,comdat
	.globl	_ZN12_GLOBAL__N_135rocblas_gemm_batched_general_kernelIfLi16ELi16ELi32ELi32ELi8ELi32ELi8ELi8ELi32ELc67ELc84EKPKDF16_S3_KPDF16_EEvlllT_PT11_llS8_llS6_PT12_llPT13_lli ; -- Begin function _ZN12_GLOBAL__N_135rocblas_gemm_batched_general_kernelIfLi16ELi16ELi32ELi32ELi8ELi32ELi8ELi8ELi32ELc67ELc84EKPKDF16_S3_KPDF16_EEvlllT_PT11_llS8_llS6_PT12_llPT13_lli
	.p2align	8
	.type	_ZN12_GLOBAL__N_135rocblas_gemm_batched_general_kernelIfLi16ELi16ELi32ELi32ELi8ELi32ELi8ELi8ELi32ELc67ELc84EKPKDF16_S3_KPDF16_EEvlllT_PT11_llS8_llS6_PT12_llPT13_lli,@function
_ZN12_GLOBAL__N_135rocblas_gemm_batched_general_kernelIfLi16ELi16ELi32ELi32ELi8ELi32ELi8ELi8ELi32ELc67ELc84EKPKDF16_S3_KPDF16_EEvlllT_PT11_llS8_llS6_PT12_llPT13_lli: ; @_ZN12_GLOBAL__N_135rocblas_gemm_batched_general_kernelIfLi16ELi16ELi32ELi32ELi8ELi32ELi8ELi8ELi32ELc67ELc84EKPKDF16_S3_KPDF16_EEvlllT_PT11_llS8_llS6_PT12_llPT13_lli
; %bb.0:
	s_clause 0x1
	s_load_dwordx8 s[12:19], s[4:5], 0x58
	s_load_dwordx2 s[34:35], s[4:5], 0x10
	s_mov_b32 s9, 0
	s_load_dwordx4 s[28:31], s[4:5], 0x0
	s_lshl_b64 s[42:43], s[8:9], 3
	s_load_dwordx4 s[8:11], s[4:5], 0x78
	s_mov_b32 s40, s7
	v_mov_b32_e32 v10, 0
	v_mov_b32_e32 v9, 0
	;; [unrolled: 1-line block ×4, first 2 shown]
	s_waitcnt lgkmcnt(0)
	s_add_u32 s0, s12, s42
	s_addc_u32 s1, s13, s43
	s_add_u32 s2, s18, s42
	s_addc_u32 s3, s19, s43
	s_load_dwordx2 s[12:13], s[0:1], 0x0
	s_load_dwordx2 s[2:3], s[2:3], 0x0
	v_cmp_lt_i64_e64 s0, s[34:35], 1
	s_ashr_i32 s7, s6, 31
	s_ashr_i32 s41, s40, 31
	s_lshl_b64 s[6:7], s[6:7], 5
	s_lshl_b64 s[18:19], s[40:41], 5
	s_and_b32 vcc_lo, exec_lo, s0
	s_cbranch_vccnz .LBB109_7
; %bb.1:
	s_clause 0x1
	s_load_dwordx4 s[36:39], s[4:5], 0x40
	s_load_dwordx8 s[20:27], s[4:5], 0x20
	v_lshl_add_u32 v2, v1, 4, v0
	v_and_b32_e32 v6, 7, v0
	v_mov_b32_e32 v3, s7
	v_mov_b32_e32 v7, 0
	v_lshlrev_b32_e32 v11, 2, v0
	v_and_b32_e32 v14, 31, v2
	v_lshrrev_b32_e32 v10, 3, v2
	v_lshrrev_b32_e32 v13, 5, v2
	v_lshlrev_b32_e32 v15, 2, v6
	v_lshl_add_u32 v12, v1, 5, 0x400
	v_or_b32_e32 v2, s6, v14
	v_add_co_u32 v4, s0, v10, s18
	v_add_co_ci_u32_e64 v5, null, 0, s19, s0
	v_add_co_u32 v17, s0, s6, v14
	v_add_co_ci_u32_e64 v18, null, s7, 0, s0
	s_waitcnt lgkmcnt(0)
	v_mad_u64_u32 v[8:9], null, s36, v6, 0
	v_cmp_gt_i64_e64 s0, s[28:29], v[2:3]
	v_lshlrev_b32_e32 v16, 2, v14
	v_cmp_gt_i64_e64 s1, s[30:31], v[4:5]
	v_mul_lo_u32 v5, s23, v17
	s_add_u32 s26, s26, s42
	s_addc_u32 s27, s27, s43
	v_mov_b32_e32 v2, v9
	v_lshl_or_b32 v14, v13, 7, v16
	v_mul_lo_u32 v16, s22, v18
	s_add_u32 s20, s20, s42
	s_addc_u32 s21, s21, s43
	v_mad_u64_u32 v[2:3], null, s37, v6, v[2:3]
	v_mad_u64_u32 v[3:4], null, s22, v17, 0
	s_load_dwordx2 s[22:23], s[26:27], 0x0
	s_load_dwordx2 s[20:21], s[20:21], 0x0
	s_lshl_b64 s[26:27], s[40:41], 6
	s_lshl_b64 s[38:39], s[38:39], 1
	v_mov_b32_e32 v9, v2
	s_add_u32 s26, s38, s26
	v_add3_u32 v4, v4, v16, v5
	s_addc_u32 s27, s39, s27
	s_lshl_b64 s[24:25], s[24:25], 1
	v_lshlrev_b64 v[8:9], 1, v[8:9]
	v_lshl_or_b32 v15, v10, 5, v15
	v_lshlrev_b64 v[2:3], 1, v[3:4]
	v_add_nc_u32_e32 v15, 0x400, v15
	v_add_co_u32 v4, vcc_lo, s26, v8
	v_lshlrev_b32_e32 v8, 1, v10
	v_add_co_ci_u32_e64 v5, null, s27, v9, vcc_lo
	v_add_co_u32 v2, vcc_lo, v2, s24
	v_lshlrev_b32_e32 v9, 1, v13
	v_add_co_ci_u32_e64 v3, null, s25, v3, vcc_lo
	v_add_co_u32 v4, vcc_lo, v4, v8
	v_add_co_ci_u32_e64 v5, null, 0, v5, vcc_lo
	v_add_co_u32 v8, vcc_lo, v2, v9
	v_add_co_ci_u32_e64 v9, null, 0, v3, vcc_lo
	s_waitcnt lgkmcnt(0)
	v_add_co_u32 v2, vcc_lo, s22, v4
	v_add_co_ci_u32_e64 v3, null, s23, v5, vcc_lo
	v_add_co_u32 v4, vcc_lo, s20, v8
	v_add_co_ci_u32_e64 v5, null, s21, v9, vcc_lo
	v_mov_b32_e32 v8, 0
	v_mov_b32_e32 v9, 0
	;; [unrolled: 1-line block ×3, first 2 shown]
	s_lshl_b64 s[20:21], s[36:37], 4
	s_mov_b64 s[22:23], 0
	s_branch .LBB109_3
.LBB109_2:                              ;   in Loop: Header=BB109_3 Depth=1
	s_or_b32 exec_lo, exec_lo, s24
	ds_write_b32 v15, v17
	s_waitcnt lgkmcnt(0)
	s_barrier
	buffer_gl0_inv
	ds_read_b128 v[16:19], v12
	ds_read2_b32 v[32:33], v11 offset1:16
	ds_read_b128 v[20:23], v12 offset:512
	ds_read2_b32 v[34:35], v11 offset0:32 offset1:48
	ds_read2_b32 v[36:37], v11 offset0:64 offset1:80
	;; [unrolled: 1-line block ×3, first 2 shown]
	ds_read_b128 v[24:27], v12 offset:16
	ds_read2_b32 v[40:41], v11 offset0:128 offset1:144
	ds_read_b128 v[28:31], v12 offset:528
	ds_read2_b32 v[42:43], v11 offset0:160 offset1:176
	s_add_u32 s22, s22, 8
	s_addc_u32 s23, s23, 0
	v_add_co_u32 v2, vcc_lo, v2, s20
	v_cmp_lt_i64_e64 s24, s[22:23], s[34:35]
	v_add_co_ci_u32_e64 v3, null, s21, v3, vcc_lo
	v_add_co_u32 v4, vcc_lo, v4, 16
	v_add_co_ci_u32_e64 v5, null, 0, v5, vcc_lo
	s_waitcnt lgkmcnt(8)
	v_fmac_f32_e32 v10, v32, v16
	v_fmac_f32_e32 v9, v33, v16
	s_waitcnt lgkmcnt(7)
	v_fmac_f32_e32 v8, v32, v20
	v_fmac_f32_e32 v7, v33, v20
	ds_read2_b32 v[32:33], v11 offset0:192 offset1:208
	s_waitcnt lgkmcnt(7)
	v_fmac_f32_e32 v10, v34, v17
	v_fmac_f32_e32 v9, v35, v17
	v_fmac_f32_e32 v8, v34, v21
	v_fmac_f32_e32 v7, v35, v21
	ds_read2_b32 v[16:17], v11 offset0:224 offset1:240
	s_waitcnt lgkmcnt(7)
	v_fmac_f32_e32 v10, v36, v18
	v_fmac_f32_e32 v9, v37, v18
	;; [unrolled: 1-line block ×4, first 2 shown]
	s_and_b32 vcc_lo, exec_lo, s24
	s_waitcnt lgkmcnt(6)
	v_fmac_f32_e32 v10, v38, v19
	v_fmac_f32_e32 v9, v39, v19
	v_fmac_f32_e32 v8, v38, v23
	v_fmac_f32_e32 v7, v39, v23
	s_waitcnt lgkmcnt(0)
	v_fmac_f32_e32 v10, v40, v24
	v_fmac_f32_e32 v9, v41, v24
	;; [unrolled: 1-line block ×4, first 2 shown]
	s_barrier
	v_fmac_f32_e32 v10, v42, v25
	v_fmac_f32_e32 v9, v43, v25
	;; [unrolled: 1-line block ×4, first 2 shown]
	buffer_gl0_inv
	v_fmac_f32_e32 v10, v32, v26
	v_fmac_f32_e32 v9, v33, v26
	;; [unrolled: 1-line block ×8, first 2 shown]
	s_cbranch_vccz .LBB109_7
.LBB109_3:                              ; =>This Inner Loop Header: Depth=1
	v_add_co_u32 v16, s24, v13, s22
	v_add_co_ci_u32_e64 v17, null, 0, s23, s24
	v_cmp_gt_i64_e32 vcc_lo, s[34:35], v[16:17]
	v_mov_b32_e32 v16, 0
	s_and_b32 s25, s0, vcc_lo
	s_and_saveexec_b32 s24, s25
	s_cbranch_execz .LBB109_5
; %bb.4:                                ;   in Loop: Header=BB109_3 Depth=1
	flat_load_ushort v16, v[4:5]
	s_waitcnt vmcnt(0) lgkmcnt(0)
	v_cvt_f32_f16_e32 v16, v16
.LBB109_5:                              ;   in Loop: Header=BB109_3 Depth=1
	s_or_b32 exec_lo, exec_lo, s24
	v_add_co_u32 v17, s24, v6, s22
	v_add_co_ci_u32_e64 v18, null, 0, s23, s24
	ds_write_b32 v14, v16
	v_cmp_gt_i64_e32 vcc_lo, s[34:35], v[17:18]
	v_mov_b32_e32 v17, 0
	s_and_b32 s25, vcc_lo, s1
	s_and_saveexec_b32 s24, s25
	s_cbranch_execz .LBB109_2
; %bb.6:                                ;   in Loop: Header=BB109_3 Depth=1
	flat_load_ushort v16, v[2:3]
	s_waitcnt vmcnt(0) lgkmcnt(0)
	v_cvt_f32_f16_e32 v17, v16
	s_branch .LBB109_2
.LBB109_7:
	s_clause 0x1
	s_load_dword s20, s[4:5], 0x50
	s_load_dword s4, s[4:5], 0x18
	v_add_co_u32 v1, s5, s18, v1
	v_add_co_ci_u32_e64 v2, null, s19, 0, s5
	s_lshl_b64 s[0:1], s[10:11], 1
	s_waitcnt lgkmcnt(0)
	s_add_u32 s5, s2, s0
	v_cmp_gt_i64_e64 s0, s[30:31], v[1:2]
	s_addc_u32 s3, s3, s1
	v_cmp_neq_f32_e64 s10, s20, 0
	s_and_b32 vcc_lo, exec_lo, s10
	s_cbranch_vccnz .LBB109_20
; %bb.8:
	s_and_saveexec_b32 s10, s0
	s_cbranch_execz .LBB109_18
; %bb.9:
	v_mul_lo_u32 v5, v2, s8
	v_mul_lo_u32 v6, v1, s9
	v_mad_u64_u32 v[3:4], null, v1, s8, 0
	v_add3_u32 v4, v4, v6, v5
	v_add_co_u32 v5, s1, s6, v0
	v_add_co_ci_u32_e64 v6, null, s7, 0, s1
	v_lshlrev_b64 v[11:12], 1, v[3:4]
	v_cmp_gt_i64_e32 vcc_lo, s[28:29], v[5:6]
	v_lshlrev_b64 v[3:4], 1, v[5:6]
	v_add_co_u32 v11, s1, s5, v11
	v_add_co_ci_u32_e64 v12, null, s3, v12, s1
	s_and_saveexec_b32 s2, vcc_lo
	s_cbranch_execz .LBB109_11
; %bb.10:
	v_add_co_u32 v13, s1, v11, v3
	v_add_co_ci_u32_e64 v14, null, v12, v4, s1
	v_fma_mixlo_f16 v15, s4, v10, 0
	flat_store_short v[13:14], v15
.LBB109_11:
	s_or_b32 exec_lo, exec_lo, s2
	v_add_co_u32 v5, s1, v5, 16
	v_add_co_ci_u32_e64 v6, null, 0, v6, s1
	v_cmp_gt_i64_e64 s1, s[28:29], v[5:6]
	s_and_saveexec_b32 s11, s1
	s_cbranch_execz .LBB109_13
; %bb.12:
	v_add_co_u32 v5, s2, v11, v3
	v_add_co_ci_u32_e64 v6, null, v12, v4, s2
	v_fma_mixlo_f16 v13, s4, v9, 0
	flat_store_short v[5:6], v13 offset:32
.LBB109_13:
	s_or_b32 exec_lo, exec_lo, s11
	v_add_co_u32 v5, s2, v1, 16
	v_add_co_ci_u32_e64 v6, null, 0, v2, s2
	v_cmp_gt_i64_e64 s2, s[30:31], v[5:6]
	s_and_b32 exec_lo, exec_lo, s2
	s_cbranch_execz .LBB109_18
; %bb.14:
	s_lshl_b64 s[18:19], s[8:9], 5
	v_add_co_u32 v5, s2, v11, s18
	v_add_co_ci_u32_e64 v6, null, s19, v12, s2
	v_add_co_u32 v3, s2, v5, v3
	v_add_co_ci_u32_e64 v4, null, v6, v4, s2
	s_and_saveexec_b32 s2, vcc_lo
	s_cbranch_execz .LBB109_16
; %bb.15:
	v_fma_mixlo_f16 v5, s4, v8, 0
	flat_store_short v[3:4], v5
.LBB109_16:
	s_or_b32 exec_lo, exec_lo, s2
	s_and_b32 exec_lo, exec_lo, s1
	s_cbranch_execz .LBB109_18
; %bb.17:
	v_fma_mixlo_f16 v5, s4, v7, 0
	flat_store_short v[3:4], v5 offset:32
.LBB109_18:
	s_or_b32 exec_lo, exec_lo, s10
	s_cbranch_execz .LBB109_21
.LBB109_19:
	s_endpgm
.LBB109_20:
.LBB109_21:
	s_and_saveexec_b32 s1, s0
	s_cbranch_execz .LBB109_19
; %bb.22:
	v_mul_lo_u32 v5, v2, s14
	v_mul_lo_u32 v6, v1, s15
	v_mad_u64_u32 v[3:4], null, v1, s14, 0
	v_mul_lo_u32 v13, v2, s8
	v_mul_lo_u32 v14, v1, s9
	v_mad_u64_u32 v[11:12], null, v1, s8, 0
	s_lshl_b64 s[0:1], s[16:17], 1
	v_add3_u32 v4, v4, v6, v5
	v_add_co_u32 v5, s2, s6, v0
	v_add_co_ci_u32_e64 v6, null, s7, 0, s2
	v_add3_u32 v12, v12, v14, v13
	v_lshlrev_b64 v[3:4], 1, v[3:4]
	s_add_u32 s0, s12, s0
	s_addc_u32 s1, s13, s1
	v_cmp_gt_i64_e32 vcc_lo, s[28:29], v[5:6]
	v_lshlrev_b64 v[12:13], 1, v[11:12]
	v_add_co_u32 v0, s0, s0, v3
	v_add_co_ci_u32_e64 v11, null, s1, v4, s0
	v_add_co_u32 v12, s0, s5, v12
	v_lshlrev_b64 v[3:4], 1, v[5:6]
	v_add_co_ci_u32_e64 v13, null, s3, v13, s0
	s_and_saveexec_b32 s1, vcc_lo
	s_cbranch_execz .LBB109_24
; %bb.23:
	v_add_co_u32 v14, s0, v0, v3
	v_add_co_ci_u32_e64 v15, null, v11, v4, s0
	flat_load_ushort v14, v[14:15]
	s_waitcnt vmcnt(0) lgkmcnt(0)
	v_cvt_f32_f16_e32 v14, v14
	v_mul_f32_e32 v14, s20, v14
	v_fma_mixlo_f16 v10, s4, v10, v14
	v_add_co_u32 v14, s0, v12, v3
	v_add_co_ci_u32_e64 v15, null, v13, v4, s0
	flat_store_short v[14:15], v10
.LBB109_24:
	s_or_b32 exec_lo, exec_lo, s1
	v_add_co_u32 v5, s0, v5, 16
	v_add_co_ci_u32_e64 v6, null, 0, v6, s0
	v_cmp_gt_i64_e64 s0, s[28:29], v[5:6]
	s_and_saveexec_b32 s2, s0
	s_cbranch_execz .LBB109_26
; %bb.25:
	v_add_co_u32 v5, s1, v0, v3
	v_add_co_ci_u32_e64 v6, null, v11, v4, s1
	flat_load_ushort v5, v[5:6] offset:32
	s_waitcnt vmcnt(0) lgkmcnt(0)
	v_cvt_f32_f16_e32 v5, v5
	v_mul_f32_e32 v5, s20, v5
	v_fma_mixlo_f16 v9, s4, v9, v5
	v_add_co_u32 v5, s1, v12, v3
	v_add_co_ci_u32_e64 v6, null, v13, v4, s1
	flat_store_short v[5:6], v9 offset:32
.LBB109_26:
	s_or_b32 exec_lo, exec_lo, s2
	v_add_co_u32 v1, s1, v1, 16
	v_add_co_ci_u32_e64 v2, null, 0, v2, s1
	v_cmp_gt_i64_e64 s1, s[30:31], v[1:2]
	s_and_b32 exec_lo, exec_lo, s1
	s_cbranch_execz .LBB109_19
; %bb.27:
	s_lshl_b64 s[2:3], s[14:15], 5
	v_add_co_u32 v0, s1, v0, s2
	v_add_co_ci_u32_e64 v1, null, s3, v11, s1
	s_lshl_b64 s[2:3], s[8:9], 5
	v_add_co_u32 v2, s1, v12, s2
	v_add_co_ci_u32_e64 v5, null, s3, v13, s1
	v_add_co_u32 v0, s1, v0, v3
	v_add_co_ci_u32_e64 v1, null, v1, v4, s1
	v_add_co_u32 v2, s1, v2, v3
	v_add_co_ci_u32_e64 v3, null, v5, v4, s1
	s_and_saveexec_b32 s1, vcc_lo
	s_cbranch_execz .LBB109_29
; %bb.28:
	flat_load_ushort v4, v[0:1]
	s_waitcnt vmcnt(0) lgkmcnt(0)
	v_cvt_f32_f16_e32 v4, v4
	v_mul_f32_e32 v4, s20, v4
	v_fma_mixlo_f16 v4, s4, v8, v4
	flat_store_short v[2:3], v4
.LBB109_29:
	s_or_b32 exec_lo, exec_lo, s1
	s_and_b32 exec_lo, exec_lo, s0
	s_cbranch_execz .LBB109_19
; %bb.30:
	flat_load_ushort v0, v[0:1] offset:32
	s_waitcnt vmcnt(0) lgkmcnt(0)
	v_cvt_f32_f16_e32 v0, v0
	v_mul_f32_e32 v0, s20, v0
	v_fma_mixlo_f16 v0, s4, v7, v0
	flat_store_short v[2:3], v0 offset:32
	s_endpgm
	.section	.rodata,"a",@progbits
	.p2align	6, 0x0
	.amdhsa_kernel _ZN12_GLOBAL__N_135rocblas_gemm_batched_general_kernelIfLi16ELi16ELi32ELi32ELi8ELi32ELi8ELi8ELi32ELc67ELc84EKPKDF16_S3_KPDF16_EEvlllT_PT11_llS8_llS6_PT12_llPT13_lli
		.amdhsa_group_segment_fixed_size 2048
		.amdhsa_private_segment_fixed_size 0
		.amdhsa_kernarg_size 140
		.amdhsa_user_sgpr_count 6
		.amdhsa_user_sgpr_private_segment_buffer 1
		.amdhsa_user_sgpr_dispatch_ptr 0
		.amdhsa_user_sgpr_queue_ptr 0
		.amdhsa_user_sgpr_kernarg_segment_ptr 1
		.amdhsa_user_sgpr_dispatch_id 0
		.amdhsa_user_sgpr_flat_scratch_init 0
		.amdhsa_user_sgpr_private_segment_size 0
		.amdhsa_wavefront_size32 1
		.amdhsa_uses_dynamic_stack 0
		.amdhsa_system_sgpr_private_segment_wavefront_offset 0
		.amdhsa_system_sgpr_workgroup_id_x 1
		.amdhsa_system_sgpr_workgroup_id_y 1
		.amdhsa_system_sgpr_workgroup_id_z 1
		.amdhsa_system_sgpr_workgroup_info 0
		.amdhsa_system_vgpr_workitem_id 1
		.amdhsa_next_free_vgpr 44
		.amdhsa_next_free_sgpr 44
		.amdhsa_reserve_vcc 1
		.amdhsa_reserve_flat_scratch 0
		.amdhsa_float_round_mode_32 0
		.amdhsa_float_round_mode_16_64 0
		.amdhsa_float_denorm_mode_32 3
		.amdhsa_float_denorm_mode_16_64 3
		.amdhsa_dx10_clamp 1
		.amdhsa_ieee_mode 1
		.amdhsa_fp16_overflow 0
		.amdhsa_workgroup_processor_mode 1
		.amdhsa_memory_ordered 1
		.amdhsa_forward_progress 1
		.amdhsa_shared_vgpr_count 0
		.amdhsa_exception_fp_ieee_invalid_op 0
		.amdhsa_exception_fp_denorm_src 0
		.amdhsa_exception_fp_ieee_div_zero 0
		.amdhsa_exception_fp_ieee_overflow 0
		.amdhsa_exception_fp_ieee_underflow 0
		.amdhsa_exception_fp_ieee_inexact 0
		.amdhsa_exception_int_div_zero 0
	.end_amdhsa_kernel
	.section	.text._ZN12_GLOBAL__N_135rocblas_gemm_batched_general_kernelIfLi16ELi16ELi32ELi32ELi8ELi32ELi8ELi8ELi32ELc67ELc84EKPKDF16_S3_KPDF16_EEvlllT_PT11_llS8_llS6_PT12_llPT13_lli,"axG",@progbits,_ZN12_GLOBAL__N_135rocblas_gemm_batched_general_kernelIfLi16ELi16ELi32ELi32ELi8ELi32ELi8ELi8ELi32ELc67ELc84EKPKDF16_S3_KPDF16_EEvlllT_PT11_llS8_llS6_PT12_llPT13_lli,comdat
.Lfunc_end109:
	.size	_ZN12_GLOBAL__N_135rocblas_gemm_batched_general_kernelIfLi16ELi16ELi32ELi32ELi8ELi32ELi8ELi8ELi32ELc67ELc84EKPKDF16_S3_KPDF16_EEvlllT_PT11_llS8_llS6_PT12_llPT13_lli, .Lfunc_end109-_ZN12_GLOBAL__N_135rocblas_gemm_batched_general_kernelIfLi16ELi16ELi32ELi32ELi8ELi32ELi8ELi8ELi32ELc67ELc84EKPKDF16_S3_KPDF16_EEvlllT_PT11_llS8_llS6_PT12_llPT13_lli
                                        ; -- End function
	.set _ZN12_GLOBAL__N_135rocblas_gemm_batched_general_kernelIfLi16ELi16ELi32ELi32ELi8ELi32ELi8ELi8ELi32ELc67ELc84EKPKDF16_S3_KPDF16_EEvlllT_PT11_llS8_llS6_PT12_llPT13_lli.num_vgpr, 44
	.set _ZN12_GLOBAL__N_135rocblas_gemm_batched_general_kernelIfLi16ELi16ELi32ELi32ELi8ELi32ELi8ELi8ELi32ELc67ELc84EKPKDF16_S3_KPDF16_EEvlllT_PT11_llS8_llS6_PT12_llPT13_lli.num_agpr, 0
	.set _ZN12_GLOBAL__N_135rocblas_gemm_batched_general_kernelIfLi16ELi16ELi32ELi32ELi8ELi32ELi8ELi8ELi32ELc67ELc84EKPKDF16_S3_KPDF16_EEvlllT_PT11_llS8_llS6_PT12_llPT13_lli.numbered_sgpr, 44
	.set _ZN12_GLOBAL__N_135rocblas_gemm_batched_general_kernelIfLi16ELi16ELi32ELi32ELi8ELi32ELi8ELi8ELi32ELc67ELc84EKPKDF16_S3_KPDF16_EEvlllT_PT11_llS8_llS6_PT12_llPT13_lli.num_named_barrier, 0
	.set _ZN12_GLOBAL__N_135rocblas_gemm_batched_general_kernelIfLi16ELi16ELi32ELi32ELi8ELi32ELi8ELi8ELi32ELc67ELc84EKPKDF16_S3_KPDF16_EEvlllT_PT11_llS8_llS6_PT12_llPT13_lli.private_seg_size, 0
	.set _ZN12_GLOBAL__N_135rocblas_gemm_batched_general_kernelIfLi16ELi16ELi32ELi32ELi8ELi32ELi8ELi8ELi32ELc67ELc84EKPKDF16_S3_KPDF16_EEvlllT_PT11_llS8_llS6_PT12_llPT13_lli.uses_vcc, 1
	.set _ZN12_GLOBAL__N_135rocblas_gemm_batched_general_kernelIfLi16ELi16ELi32ELi32ELi8ELi32ELi8ELi8ELi32ELc67ELc84EKPKDF16_S3_KPDF16_EEvlllT_PT11_llS8_llS6_PT12_llPT13_lli.uses_flat_scratch, 0
	.set _ZN12_GLOBAL__N_135rocblas_gemm_batched_general_kernelIfLi16ELi16ELi32ELi32ELi8ELi32ELi8ELi8ELi32ELc67ELc84EKPKDF16_S3_KPDF16_EEvlllT_PT11_llS8_llS6_PT12_llPT13_lli.has_dyn_sized_stack, 0
	.set _ZN12_GLOBAL__N_135rocblas_gemm_batched_general_kernelIfLi16ELi16ELi32ELi32ELi8ELi32ELi8ELi8ELi32ELc67ELc84EKPKDF16_S3_KPDF16_EEvlllT_PT11_llS8_llS6_PT12_llPT13_lli.has_recursion, 0
	.set _ZN12_GLOBAL__N_135rocblas_gemm_batched_general_kernelIfLi16ELi16ELi32ELi32ELi8ELi32ELi8ELi8ELi32ELc67ELc84EKPKDF16_S3_KPDF16_EEvlllT_PT11_llS8_llS6_PT12_llPT13_lli.has_indirect_call, 0
	.section	.AMDGPU.csdata,"",@progbits
; Kernel info:
; codeLenInByte = 1964
; TotalNumSgprs: 46
; NumVgprs: 44
; ScratchSize: 0
; MemoryBound: 0
; FloatMode: 240
; IeeeMode: 1
; LDSByteSize: 2048 bytes/workgroup (compile time only)
; SGPRBlocks: 0
; VGPRBlocks: 5
; NumSGPRsForWavesPerEU: 46
; NumVGPRsForWavesPerEU: 44
; Occupancy: 16
; WaveLimiterHint : 1
; COMPUTE_PGM_RSRC2:SCRATCH_EN: 0
; COMPUTE_PGM_RSRC2:USER_SGPR: 6
; COMPUTE_PGM_RSRC2:TRAP_HANDLER: 0
; COMPUTE_PGM_RSRC2:TGID_X_EN: 1
; COMPUTE_PGM_RSRC2:TGID_Y_EN: 1
; COMPUTE_PGM_RSRC2:TGID_Z_EN: 1
; COMPUTE_PGM_RSRC2:TIDIG_COMP_CNT: 1
	.section	.text._ZN12_GLOBAL__N_135rocblas_gemm_batched_general_kernelIfLi16ELi16ELi32ELi32ELi8ELi32ELi8ELi8ELi32ELc78ELc67EKPKDF16_S3_KPDF16_EEvlllT_PT11_llS8_llS6_PT12_llPT13_lli,"axG",@progbits,_ZN12_GLOBAL__N_135rocblas_gemm_batched_general_kernelIfLi16ELi16ELi32ELi32ELi8ELi32ELi8ELi8ELi32ELc78ELc67EKPKDF16_S3_KPDF16_EEvlllT_PT11_llS8_llS6_PT12_llPT13_lli,comdat
	.globl	_ZN12_GLOBAL__N_135rocblas_gemm_batched_general_kernelIfLi16ELi16ELi32ELi32ELi8ELi32ELi8ELi8ELi32ELc78ELc67EKPKDF16_S3_KPDF16_EEvlllT_PT11_llS8_llS6_PT12_llPT13_lli ; -- Begin function _ZN12_GLOBAL__N_135rocblas_gemm_batched_general_kernelIfLi16ELi16ELi32ELi32ELi8ELi32ELi8ELi8ELi32ELc78ELc67EKPKDF16_S3_KPDF16_EEvlllT_PT11_llS8_llS6_PT12_llPT13_lli
	.p2align	8
	.type	_ZN12_GLOBAL__N_135rocblas_gemm_batched_general_kernelIfLi16ELi16ELi32ELi32ELi8ELi32ELi8ELi8ELi32ELc78ELc67EKPKDF16_S3_KPDF16_EEvlllT_PT11_llS8_llS6_PT12_llPT13_lli,@function
_ZN12_GLOBAL__N_135rocblas_gemm_batched_general_kernelIfLi16ELi16ELi32ELi32ELi8ELi32ELi8ELi8ELi32ELc78ELc67EKPKDF16_S3_KPDF16_EEvlllT_PT11_llS8_llS6_PT12_llPT13_lli: ; @_ZN12_GLOBAL__N_135rocblas_gemm_batched_general_kernelIfLi16ELi16ELi32ELi32ELi8ELi32ELi8ELi8ELi32ELc78ELc67EKPKDF16_S3_KPDF16_EEvlllT_PT11_llS8_llS6_PT12_llPT13_lli
; %bb.0:
	s_clause 0x1
	s_load_dwordx8 s[12:19], s[4:5], 0x58
	s_load_dwordx2 s[34:35], s[4:5], 0x10
	s_mov_b32 s9, 0
	s_load_dwordx4 s[28:31], s[4:5], 0x0
	s_lshl_b64 s[44:45], s[8:9], 3
	s_load_dwordx4 s[8:11], s[4:5], 0x78
	s_mov_b32 s42, s7
	v_mov_b32_e32 v10, 0
	v_mov_b32_e32 v9, 0
	;; [unrolled: 1-line block ×4, first 2 shown]
	s_waitcnt lgkmcnt(0)
	s_add_u32 s0, s12, s44
	s_addc_u32 s1, s13, s45
	s_add_u32 s2, s18, s44
	s_addc_u32 s3, s19, s45
	s_load_dwordx2 s[12:13], s[0:1], 0x0
	s_load_dwordx2 s[2:3], s[2:3], 0x0
	v_cmp_lt_i64_e64 s0, s[34:35], 1
	s_ashr_i32 s7, s6, 31
	s_ashr_i32 s43, s42, 31
	s_lshl_b64 s[18:19], s[6:7], 5
	s_lshl_b64 s[40:41], s[42:43], 5
	s_and_b32 vcc_lo, exec_lo, s0
	s_cbranch_vccnz .LBB110_7
; %bb.1:
	s_clause 0x1
	s_load_dwordx4 s[36:39], s[4:5], 0x40
	s_load_dwordx8 s[20:27], s[4:5], 0x20
	v_lshl_add_u32 v2, v1, 4, v0
	v_and_b32_e32 v6, 7, v0
	v_mov_b32_e32 v3, s19
	v_mov_b32_e32 v7, 0
	v_lshlrev_b32_e32 v11, 2, v0
	v_lshrrev_b32_e32 v13, 5, v2
	v_and_b32_e32 v18, 31, v2
	v_lshrrev_b32_e32 v10, 3, v2
	v_lshlrev_b32_e32 v14, 2, v6
	v_lshl_add_u32 v12, v1, 5, 0x400
	v_or_b32_e32 v2, s18, v18
	v_add_co_u32 v4, s0, v10, s40
	v_add_co_ci_u32_e64 v5, null, 0, s41, s0
	v_cmp_gt_i64_e64 s0, s[28:29], v[2:3]
	v_lshl_or_b32 v19, v10, 5, v14
	s_waitcnt lgkmcnt(0)
	v_mad_u64_u32 v[8:9], null, s36, v6, 0
	v_mad_u64_u32 v[16:17], null, s22, v13, 0
	v_cmp_gt_i64_e64 s1, s[30:31], v[4:5]
	s_add_u32 s26, s26, s44
	s_addc_u32 s27, s27, s45
	s_add_u32 s20, s20, s44
	v_mov_b32_e32 v2, v9
	s_load_dwordx2 s[26:27], s[26:27], 0x0
	v_mov_b32_e32 v3, v17
	s_addc_u32 s21, s21, s45
	s_lshl_b64 s[42:43], s[42:43], 6
	s_load_dwordx2 s[20:21], s[20:21], 0x0
	s_lshl_b64 s[38:39], s[38:39], 1
	v_mad_u64_u32 v[4:5], null, s37, v6, v[2:3]
	s_add_u32 s33, s38, s42
	s_addc_u32 s42, s39, s43
	s_lshl_b64 s[38:39], s[6:7], 6
	s_lshl_b64 s[24:25], s[24:25], 1
	;; [unrolled: 1-line block ×3, first 2 shown]
	v_lshlrev_b32_e32 v10, 1, v10
	v_mad_u64_u32 v[2:3], null, s23, v13, v[3:4]
	v_mov_b32_e32 v9, v4
	s_add_u32 s24, s24, s38
	s_addc_u32 s25, s25, s39
	v_lshlrev_b32_e32 v15, 2, v18
	v_mov_b32_e32 v17, v2
	v_lshlrev_b64 v[2:3], 1, v[8:9]
	v_lshlrev_b32_e32 v8, 1, v18
	v_lshl_or_b32 v14, v13, 7, v15
	v_add_nc_u32_e32 v15, 0x400, v19
	v_lshlrev_b64 v[4:5], 1, v[16:17]
	v_mov_b32_e32 v9, 0
	v_add_co_u32 v2, vcc_lo, s33, v2
	v_add_co_ci_u32_e64 v3, null, s42, v3, vcc_lo
	v_add_co_u32 v4, vcc_lo, s24, v4
	v_add_co_ci_u32_e64 v5, null, s25, v5, vcc_lo
	;; [unrolled: 2-line block ×4, first 2 shown]
	s_waitcnt lgkmcnt(0)
	v_add_co_u32 v2, vcc_lo, s26, v2
	v_add_co_ci_u32_e64 v3, null, s27, v3, vcc_lo
	v_add_co_u32 v4, vcc_lo, s20, v4
	v_add_co_ci_u32_e64 v5, null, s21, v5, vcc_lo
	v_mov_b32_e32 v8, 0
	v_mov_b32_e32 v10, 0
	s_lshl_b64 s[20:21], s[22:23], 4
	s_mov_b64 s[22:23], 0
	s_branch .LBB110_3
.LBB110_2:                              ;   in Loop: Header=BB110_3 Depth=1
	s_or_b32 exec_lo, exec_lo, s24
	ds_write_b32 v15, v17
	s_waitcnt lgkmcnt(0)
	s_barrier
	buffer_gl0_inv
	ds_read_b128 v[16:19], v12
	ds_read2_b32 v[32:33], v11 offset1:16
	ds_read_b128 v[20:23], v12 offset:512
	ds_read2_b32 v[34:35], v11 offset0:32 offset1:48
	ds_read2_b32 v[36:37], v11 offset0:64 offset1:80
	;; [unrolled: 1-line block ×3, first 2 shown]
	ds_read_b128 v[24:27], v12 offset:16
	ds_read2_b32 v[40:41], v11 offset0:128 offset1:144
	ds_read_b128 v[28:31], v12 offset:528
	ds_read2_b32 v[42:43], v11 offset0:160 offset1:176
	s_add_u32 s22, s22, 8
	s_addc_u32 s23, s23, 0
	v_add_co_u32 v2, vcc_lo, v2, s6
	v_cmp_lt_i64_e64 s24, s[22:23], s[34:35]
	v_add_co_ci_u32_e64 v3, null, s7, v3, vcc_lo
	v_add_co_u32 v4, vcc_lo, v4, s20
	v_add_co_ci_u32_e64 v5, null, s21, v5, vcc_lo
	s_waitcnt lgkmcnt(8)
	v_fmac_f32_e32 v10, v32, v16
	v_fmac_f32_e32 v9, v33, v16
	s_waitcnt lgkmcnt(7)
	v_fmac_f32_e32 v8, v32, v20
	v_fmac_f32_e32 v7, v33, v20
	ds_read2_b32 v[32:33], v11 offset0:192 offset1:208
	s_waitcnt lgkmcnt(7)
	v_fmac_f32_e32 v10, v34, v17
	v_fmac_f32_e32 v9, v35, v17
	;; [unrolled: 1-line block ×4, first 2 shown]
	ds_read2_b32 v[16:17], v11 offset0:224 offset1:240
	s_waitcnt lgkmcnt(7)
	v_fmac_f32_e32 v10, v36, v18
	v_fmac_f32_e32 v9, v37, v18
	;; [unrolled: 1-line block ×4, first 2 shown]
	s_and_b32 vcc_lo, exec_lo, s24
	s_waitcnt lgkmcnt(6)
	v_fmac_f32_e32 v10, v38, v19
	v_fmac_f32_e32 v9, v39, v19
	;; [unrolled: 1-line block ×4, first 2 shown]
	s_waitcnt lgkmcnt(0)
	v_fmac_f32_e32 v10, v40, v24
	v_fmac_f32_e32 v9, v41, v24
	v_fmac_f32_e32 v8, v40, v28
	v_fmac_f32_e32 v7, v41, v28
	s_barrier
	v_fmac_f32_e32 v10, v42, v25
	v_fmac_f32_e32 v9, v43, v25
	;; [unrolled: 1-line block ×4, first 2 shown]
	buffer_gl0_inv
	v_fmac_f32_e32 v10, v32, v26
	v_fmac_f32_e32 v9, v33, v26
	;; [unrolled: 1-line block ×8, first 2 shown]
	s_cbranch_vccz .LBB110_7
.LBB110_3:                              ; =>This Inner Loop Header: Depth=1
	v_add_co_u32 v16, s24, v13, s22
	v_add_co_ci_u32_e64 v17, null, 0, s23, s24
	v_cmp_gt_i64_e32 vcc_lo, s[34:35], v[16:17]
	v_mov_b32_e32 v16, 0
	s_and_b32 s25, s0, vcc_lo
	s_and_saveexec_b32 s24, s25
	s_cbranch_execz .LBB110_5
; %bb.4:                                ;   in Loop: Header=BB110_3 Depth=1
	flat_load_ushort v16, v[4:5]
	s_waitcnt vmcnt(0) lgkmcnt(0)
	v_cvt_f32_f16_e32 v16, v16
.LBB110_5:                              ;   in Loop: Header=BB110_3 Depth=1
	s_or_b32 exec_lo, exec_lo, s24
	v_add_co_u32 v17, s24, v6, s22
	v_add_co_ci_u32_e64 v18, null, 0, s23, s24
	ds_write_b32 v14, v16
	v_cmp_gt_i64_e32 vcc_lo, s[34:35], v[17:18]
	v_mov_b32_e32 v17, 0
	s_and_b32 s25, vcc_lo, s1
	s_and_saveexec_b32 s24, s25
	s_cbranch_execz .LBB110_2
; %bb.6:                                ;   in Loop: Header=BB110_3 Depth=1
	flat_load_ushort v16, v[2:3]
	s_waitcnt vmcnt(0) lgkmcnt(0)
	v_cvt_f32_f16_e32 v17, v16
	s_branch .LBB110_2
.LBB110_7:
	s_clause 0x1
	s_load_dword s6, s[4:5], 0x50
	s_load_dword s4, s[4:5], 0x18
	v_add_co_u32 v1, s5, s40, v1
	v_add_co_ci_u32_e64 v2, null, s41, 0, s5
	s_lshl_b64 s[0:1], s[10:11], 1
	s_waitcnt lgkmcnt(0)
	s_add_u32 s5, s2, s0
	v_cmp_gt_i64_e64 s0, s[30:31], v[1:2]
	s_addc_u32 s3, s3, s1
	v_cmp_neq_f32_e64 s7, s6, 0
	s_and_b32 vcc_lo, exec_lo, s7
	s_cbranch_vccnz .LBB110_20
; %bb.8:
	s_and_saveexec_b32 s7, s0
	s_cbranch_execz .LBB110_18
; %bb.9:
	v_mul_lo_u32 v5, v2, s8
	v_mul_lo_u32 v6, v1, s9
	v_mad_u64_u32 v[3:4], null, v1, s8, 0
	v_add3_u32 v4, v4, v6, v5
	v_add_co_u32 v5, s1, s18, v0
	v_add_co_ci_u32_e64 v6, null, s19, 0, s1
	v_lshlrev_b64 v[11:12], 1, v[3:4]
	v_cmp_gt_i64_e32 vcc_lo, s[28:29], v[5:6]
	v_lshlrev_b64 v[3:4], 1, v[5:6]
	v_add_co_u32 v11, s1, s5, v11
	v_add_co_ci_u32_e64 v12, null, s3, v12, s1
	s_and_saveexec_b32 s2, vcc_lo
	s_cbranch_execz .LBB110_11
; %bb.10:
	v_add_co_u32 v13, s1, v11, v3
	v_add_co_ci_u32_e64 v14, null, v12, v4, s1
	v_fma_mixlo_f16 v15, s4, v10, 0
	flat_store_short v[13:14], v15
.LBB110_11:
	s_or_b32 exec_lo, exec_lo, s2
	v_add_co_u32 v5, s1, v5, 16
	v_add_co_ci_u32_e64 v6, null, 0, v6, s1
	v_cmp_gt_i64_e64 s1, s[28:29], v[5:6]
	s_and_saveexec_b32 s10, s1
	s_cbranch_execz .LBB110_13
; %bb.12:
	v_add_co_u32 v5, s2, v11, v3
	v_add_co_ci_u32_e64 v6, null, v12, v4, s2
	v_fma_mixlo_f16 v13, s4, v9, 0
	flat_store_short v[5:6], v13 offset:32
.LBB110_13:
	s_or_b32 exec_lo, exec_lo, s10
	v_add_co_u32 v5, s2, v1, 16
	v_add_co_ci_u32_e64 v6, null, 0, v2, s2
	v_cmp_gt_i64_e64 s2, s[30:31], v[5:6]
	s_and_b32 exec_lo, exec_lo, s2
	s_cbranch_execz .LBB110_18
; %bb.14:
	s_lshl_b64 s[10:11], s[8:9], 5
	v_add_co_u32 v5, s2, v11, s10
	v_add_co_ci_u32_e64 v6, null, s11, v12, s2
	v_add_co_u32 v3, s2, v5, v3
	v_add_co_ci_u32_e64 v4, null, v6, v4, s2
	s_and_saveexec_b32 s2, vcc_lo
	s_cbranch_execz .LBB110_16
; %bb.15:
	v_fma_mixlo_f16 v5, s4, v8, 0
	flat_store_short v[3:4], v5
.LBB110_16:
	s_or_b32 exec_lo, exec_lo, s2
	s_and_b32 exec_lo, exec_lo, s1
	s_cbranch_execz .LBB110_18
; %bb.17:
	v_fma_mixlo_f16 v5, s4, v7, 0
	flat_store_short v[3:4], v5 offset:32
.LBB110_18:
	s_or_b32 exec_lo, exec_lo, s7
	s_cbranch_execz .LBB110_21
.LBB110_19:
	s_endpgm
.LBB110_20:
.LBB110_21:
	s_and_saveexec_b32 s1, s0
	s_cbranch_execz .LBB110_19
; %bb.22:
	v_mul_lo_u32 v5, v2, s14
	v_mul_lo_u32 v6, v1, s15
	v_mad_u64_u32 v[3:4], null, v1, s14, 0
	v_mul_lo_u32 v13, v2, s8
	v_mul_lo_u32 v14, v1, s9
	v_mad_u64_u32 v[11:12], null, v1, s8, 0
	s_lshl_b64 s[0:1], s[16:17], 1
	v_add3_u32 v4, v4, v6, v5
	v_add_co_u32 v5, s2, s18, v0
	v_add_co_ci_u32_e64 v6, null, s19, 0, s2
	v_add3_u32 v12, v12, v14, v13
	v_lshlrev_b64 v[3:4], 1, v[3:4]
	s_add_u32 s0, s12, s0
	s_addc_u32 s1, s13, s1
	v_cmp_gt_i64_e32 vcc_lo, s[28:29], v[5:6]
	v_lshlrev_b64 v[12:13], 1, v[11:12]
	v_add_co_u32 v0, s0, s0, v3
	v_add_co_ci_u32_e64 v11, null, s1, v4, s0
	v_add_co_u32 v12, s0, s5, v12
	v_lshlrev_b64 v[3:4], 1, v[5:6]
	v_add_co_ci_u32_e64 v13, null, s3, v13, s0
	s_and_saveexec_b32 s1, vcc_lo
	s_cbranch_execz .LBB110_24
; %bb.23:
	v_add_co_u32 v14, s0, v0, v3
	v_add_co_ci_u32_e64 v15, null, v11, v4, s0
	flat_load_ushort v14, v[14:15]
	s_waitcnt vmcnt(0) lgkmcnt(0)
	v_cvt_f32_f16_e32 v14, v14
	v_mul_f32_e32 v14, s6, v14
	v_fma_mixlo_f16 v10, s4, v10, v14
	v_add_co_u32 v14, s0, v12, v3
	v_add_co_ci_u32_e64 v15, null, v13, v4, s0
	flat_store_short v[14:15], v10
.LBB110_24:
	s_or_b32 exec_lo, exec_lo, s1
	v_add_co_u32 v5, s0, v5, 16
	v_add_co_ci_u32_e64 v6, null, 0, v6, s0
	v_cmp_gt_i64_e64 s0, s[28:29], v[5:6]
	s_and_saveexec_b32 s2, s0
	s_cbranch_execz .LBB110_26
; %bb.25:
	v_add_co_u32 v5, s1, v0, v3
	v_add_co_ci_u32_e64 v6, null, v11, v4, s1
	flat_load_ushort v5, v[5:6] offset:32
	s_waitcnt vmcnt(0) lgkmcnt(0)
	v_cvt_f32_f16_e32 v5, v5
	v_mul_f32_e32 v5, s6, v5
	v_fma_mixlo_f16 v9, s4, v9, v5
	v_add_co_u32 v5, s1, v12, v3
	v_add_co_ci_u32_e64 v6, null, v13, v4, s1
	flat_store_short v[5:6], v9 offset:32
.LBB110_26:
	s_or_b32 exec_lo, exec_lo, s2
	v_add_co_u32 v1, s1, v1, 16
	v_add_co_ci_u32_e64 v2, null, 0, v2, s1
	v_cmp_gt_i64_e64 s1, s[30:31], v[1:2]
	s_and_b32 exec_lo, exec_lo, s1
	s_cbranch_execz .LBB110_19
; %bb.27:
	s_lshl_b64 s[2:3], s[14:15], 5
	v_add_co_u32 v0, s1, v0, s2
	v_add_co_ci_u32_e64 v1, null, s3, v11, s1
	s_lshl_b64 s[2:3], s[8:9], 5
	v_add_co_u32 v2, s1, v12, s2
	v_add_co_ci_u32_e64 v5, null, s3, v13, s1
	v_add_co_u32 v0, s1, v0, v3
	v_add_co_ci_u32_e64 v1, null, v1, v4, s1
	;; [unrolled: 2-line block ×3, first 2 shown]
	s_and_saveexec_b32 s1, vcc_lo
	s_cbranch_execz .LBB110_29
; %bb.28:
	flat_load_ushort v4, v[0:1]
	s_waitcnt vmcnt(0) lgkmcnt(0)
	v_cvt_f32_f16_e32 v4, v4
	v_mul_f32_e32 v4, s6, v4
	v_fma_mixlo_f16 v4, s4, v8, v4
	flat_store_short v[2:3], v4
.LBB110_29:
	s_or_b32 exec_lo, exec_lo, s1
	s_and_b32 exec_lo, exec_lo, s0
	s_cbranch_execz .LBB110_19
; %bb.30:
	flat_load_ushort v0, v[0:1] offset:32
	s_waitcnt vmcnt(0) lgkmcnt(0)
	v_cvt_f32_f16_e32 v0, v0
	v_mul_f32_e32 v0, s6, v0
	v_fma_mixlo_f16 v0, s4, v7, v0
	flat_store_short v[2:3], v0 offset:32
	s_endpgm
	.section	.rodata,"a",@progbits
	.p2align	6, 0x0
	.amdhsa_kernel _ZN12_GLOBAL__N_135rocblas_gemm_batched_general_kernelIfLi16ELi16ELi32ELi32ELi8ELi32ELi8ELi8ELi32ELc78ELc67EKPKDF16_S3_KPDF16_EEvlllT_PT11_llS8_llS6_PT12_llPT13_lli
		.amdhsa_group_segment_fixed_size 2048
		.amdhsa_private_segment_fixed_size 0
		.amdhsa_kernarg_size 140
		.amdhsa_user_sgpr_count 6
		.amdhsa_user_sgpr_private_segment_buffer 1
		.amdhsa_user_sgpr_dispatch_ptr 0
		.amdhsa_user_sgpr_queue_ptr 0
		.amdhsa_user_sgpr_kernarg_segment_ptr 1
		.amdhsa_user_sgpr_dispatch_id 0
		.amdhsa_user_sgpr_flat_scratch_init 0
		.amdhsa_user_sgpr_private_segment_size 0
		.amdhsa_wavefront_size32 1
		.amdhsa_uses_dynamic_stack 0
		.amdhsa_system_sgpr_private_segment_wavefront_offset 0
		.amdhsa_system_sgpr_workgroup_id_x 1
		.amdhsa_system_sgpr_workgroup_id_y 1
		.amdhsa_system_sgpr_workgroup_id_z 1
		.amdhsa_system_sgpr_workgroup_info 0
		.amdhsa_system_vgpr_workitem_id 1
		.amdhsa_next_free_vgpr 44
		.amdhsa_next_free_sgpr 46
		.amdhsa_reserve_vcc 1
		.amdhsa_reserve_flat_scratch 0
		.amdhsa_float_round_mode_32 0
		.amdhsa_float_round_mode_16_64 0
		.amdhsa_float_denorm_mode_32 3
		.amdhsa_float_denorm_mode_16_64 3
		.amdhsa_dx10_clamp 1
		.amdhsa_ieee_mode 1
		.amdhsa_fp16_overflow 0
		.amdhsa_workgroup_processor_mode 1
		.amdhsa_memory_ordered 1
		.amdhsa_forward_progress 1
		.amdhsa_shared_vgpr_count 0
		.amdhsa_exception_fp_ieee_invalid_op 0
		.amdhsa_exception_fp_denorm_src 0
		.amdhsa_exception_fp_ieee_div_zero 0
		.amdhsa_exception_fp_ieee_overflow 0
		.amdhsa_exception_fp_ieee_underflow 0
		.amdhsa_exception_fp_ieee_inexact 0
		.amdhsa_exception_int_div_zero 0
	.end_amdhsa_kernel
	.section	.text._ZN12_GLOBAL__N_135rocblas_gemm_batched_general_kernelIfLi16ELi16ELi32ELi32ELi8ELi32ELi8ELi8ELi32ELc78ELc67EKPKDF16_S3_KPDF16_EEvlllT_PT11_llS8_llS6_PT12_llPT13_lli,"axG",@progbits,_ZN12_GLOBAL__N_135rocblas_gemm_batched_general_kernelIfLi16ELi16ELi32ELi32ELi8ELi32ELi8ELi8ELi32ELc78ELc67EKPKDF16_S3_KPDF16_EEvlllT_PT11_llS8_llS6_PT12_llPT13_lli,comdat
.Lfunc_end110:
	.size	_ZN12_GLOBAL__N_135rocblas_gemm_batched_general_kernelIfLi16ELi16ELi32ELi32ELi8ELi32ELi8ELi8ELi32ELc78ELc67EKPKDF16_S3_KPDF16_EEvlllT_PT11_llS8_llS6_PT12_llPT13_lli, .Lfunc_end110-_ZN12_GLOBAL__N_135rocblas_gemm_batched_general_kernelIfLi16ELi16ELi32ELi32ELi8ELi32ELi8ELi8ELi32ELc78ELc67EKPKDF16_S3_KPDF16_EEvlllT_PT11_llS8_llS6_PT12_llPT13_lli
                                        ; -- End function
	.set _ZN12_GLOBAL__N_135rocblas_gemm_batched_general_kernelIfLi16ELi16ELi32ELi32ELi8ELi32ELi8ELi8ELi32ELc78ELc67EKPKDF16_S3_KPDF16_EEvlllT_PT11_llS8_llS6_PT12_llPT13_lli.num_vgpr, 44
	.set _ZN12_GLOBAL__N_135rocblas_gemm_batched_general_kernelIfLi16ELi16ELi32ELi32ELi8ELi32ELi8ELi8ELi32ELc78ELc67EKPKDF16_S3_KPDF16_EEvlllT_PT11_llS8_llS6_PT12_llPT13_lli.num_agpr, 0
	.set _ZN12_GLOBAL__N_135rocblas_gemm_batched_general_kernelIfLi16ELi16ELi32ELi32ELi8ELi32ELi8ELi8ELi32ELc78ELc67EKPKDF16_S3_KPDF16_EEvlllT_PT11_llS8_llS6_PT12_llPT13_lli.numbered_sgpr, 46
	.set _ZN12_GLOBAL__N_135rocblas_gemm_batched_general_kernelIfLi16ELi16ELi32ELi32ELi8ELi32ELi8ELi8ELi32ELc78ELc67EKPKDF16_S3_KPDF16_EEvlllT_PT11_llS8_llS6_PT12_llPT13_lli.num_named_barrier, 0
	.set _ZN12_GLOBAL__N_135rocblas_gemm_batched_general_kernelIfLi16ELi16ELi32ELi32ELi8ELi32ELi8ELi8ELi32ELc78ELc67EKPKDF16_S3_KPDF16_EEvlllT_PT11_llS8_llS6_PT12_llPT13_lli.private_seg_size, 0
	.set _ZN12_GLOBAL__N_135rocblas_gemm_batched_general_kernelIfLi16ELi16ELi32ELi32ELi8ELi32ELi8ELi8ELi32ELc78ELc67EKPKDF16_S3_KPDF16_EEvlllT_PT11_llS8_llS6_PT12_llPT13_lli.uses_vcc, 1
	.set _ZN12_GLOBAL__N_135rocblas_gemm_batched_general_kernelIfLi16ELi16ELi32ELi32ELi8ELi32ELi8ELi8ELi32ELc78ELc67EKPKDF16_S3_KPDF16_EEvlllT_PT11_llS8_llS6_PT12_llPT13_lli.uses_flat_scratch, 0
	.set _ZN12_GLOBAL__N_135rocblas_gemm_batched_general_kernelIfLi16ELi16ELi32ELi32ELi8ELi32ELi8ELi8ELi32ELc78ELc67EKPKDF16_S3_KPDF16_EEvlllT_PT11_llS8_llS6_PT12_llPT13_lli.has_dyn_sized_stack, 0
	.set _ZN12_GLOBAL__N_135rocblas_gemm_batched_general_kernelIfLi16ELi16ELi32ELi32ELi8ELi32ELi8ELi8ELi32ELc78ELc67EKPKDF16_S3_KPDF16_EEvlllT_PT11_llS8_llS6_PT12_llPT13_lli.has_recursion, 0
	.set _ZN12_GLOBAL__N_135rocblas_gemm_batched_general_kernelIfLi16ELi16ELi32ELi32ELi8ELi32ELi8ELi8ELi32ELc78ELc67EKPKDF16_S3_KPDF16_EEvlllT_PT11_llS8_llS6_PT12_llPT13_lli.has_indirect_call, 0
	.section	.AMDGPU.csdata,"",@progbits
; Kernel info:
; codeLenInByte = 1956
; TotalNumSgprs: 48
; NumVgprs: 44
; ScratchSize: 0
; MemoryBound: 0
; FloatMode: 240
; IeeeMode: 1
; LDSByteSize: 2048 bytes/workgroup (compile time only)
; SGPRBlocks: 0
; VGPRBlocks: 5
; NumSGPRsForWavesPerEU: 48
; NumVGPRsForWavesPerEU: 44
; Occupancy: 16
; WaveLimiterHint : 1
; COMPUTE_PGM_RSRC2:SCRATCH_EN: 0
; COMPUTE_PGM_RSRC2:USER_SGPR: 6
; COMPUTE_PGM_RSRC2:TRAP_HANDLER: 0
; COMPUTE_PGM_RSRC2:TGID_X_EN: 1
; COMPUTE_PGM_RSRC2:TGID_Y_EN: 1
; COMPUTE_PGM_RSRC2:TGID_Z_EN: 1
; COMPUTE_PGM_RSRC2:TIDIG_COMP_CNT: 1
	.section	.text._ZN12_GLOBAL__N_135rocblas_gemm_batched_general_kernelIfLi16ELi16ELi32ELi32ELi8ELi32ELi8ELi8ELi32ELc84ELc67EKPKDF16_S3_KPDF16_EEvlllT_PT11_llS8_llS6_PT12_llPT13_lli,"axG",@progbits,_ZN12_GLOBAL__N_135rocblas_gemm_batched_general_kernelIfLi16ELi16ELi32ELi32ELi8ELi32ELi8ELi8ELi32ELc84ELc67EKPKDF16_S3_KPDF16_EEvlllT_PT11_llS8_llS6_PT12_llPT13_lli,comdat
	.globl	_ZN12_GLOBAL__N_135rocblas_gemm_batched_general_kernelIfLi16ELi16ELi32ELi32ELi8ELi32ELi8ELi8ELi32ELc84ELc67EKPKDF16_S3_KPDF16_EEvlllT_PT11_llS8_llS6_PT12_llPT13_lli ; -- Begin function _ZN12_GLOBAL__N_135rocblas_gemm_batched_general_kernelIfLi16ELi16ELi32ELi32ELi8ELi32ELi8ELi8ELi32ELc84ELc67EKPKDF16_S3_KPDF16_EEvlllT_PT11_llS8_llS6_PT12_llPT13_lli
	.p2align	8
	.type	_ZN12_GLOBAL__N_135rocblas_gemm_batched_general_kernelIfLi16ELi16ELi32ELi32ELi8ELi32ELi8ELi8ELi32ELc84ELc67EKPKDF16_S3_KPDF16_EEvlllT_PT11_llS8_llS6_PT12_llPT13_lli,@function
_ZN12_GLOBAL__N_135rocblas_gemm_batched_general_kernelIfLi16ELi16ELi32ELi32ELi8ELi32ELi8ELi8ELi32ELc84ELc67EKPKDF16_S3_KPDF16_EEvlllT_PT11_llS8_llS6_PT12_llPT13_lli: ; @_ZN12_GLOBAL__N_135rocblas_gemm_batched_general_kernelIfLi16ELi16ELi32ELi32ELi8ELi32ELi8ELi8ELi32ELc84ELc67EKPKDF16_S3_KPDF16_EEvlllT_PT11_llS8_llS6_PT12_llPT13_lli
; %bb.0:
	s_clause 0x1
	s_load_dwordx8 s[12:19], s[4:5], 0x58
	s_load_dwordx2 s[34:35], s[4:5], 0x10
	s_mov_b32 s9, 0
	s_load_dwordx4 s[28:31], s[4:5], 0x0
	s_lshl_b64 s[42:43], s[8:9], 3
	s_load_dwordx4 s[8:11], s[4:5], 0x78
	s_mov_b32 s40, s7
	v_mov_b32_e32 v10, 0
	v_mov_b32_e32 v9, 0
	;; [unrolled: 1-line block ×4, first 2 shown]
	s_waitcnt lgkmcnt(0)
	s_add_u32 s0, s12, s42
	s_addc_u32 s1, s13, s43
	s_add_u32 s2, s18, s42
	s_addc_u32 s3, s19, s43
	s_load_dwordx2 s[12:13], s[0:1], 0x0
	s_load_dwordx2 s[2:3], s[2:3], 0x0
	v_cmp_lt_i64_e64 s0, s[34:35], 1
	s_ashr_i32 s7, s6, 31
	s_ashr_i32 s41, s40, 31
	s_lshl_b64 s[6:7], s[6:7], 5
	s_lshl_b64 s[18:19], s[40:41], 5
	s_and_b32 vcc_lo, exec_lo, s0
	s_cbranch_vccnz .LBB111_7
; %bb.1:
	s_clause 0x1
	s_load_dwordx4 s[36:39], s[4:5], 0x40
	s_load_dwordx8 s[20:27], s[4:5], 0x20
	v_lshl_add_u32 v2, v1, 4, v0
	v_and_b32_e32 v6, 7, v0
	v_mov_b32_e32 v3, s7
	v_mov_b32_e32 v7, 0
	v_lshlrev_b32_e32 v11, 2, v0
	v_and_b32_e32 v14, 31, v2
	v_lshrrev_b32_e32 v10, 3, v2
	v_lshrrev_b32_e32 v13, 5, v2
	v_lshlrev_b32_e32 v15, 2, v6
	v_lshl_add_u32 v12, v1, 5, 0x400
	v_or_b32_e32 v2, s6, v14
	v_add_co_u32 v4, s0, v10, s18
	v_add_co_ci_u32_e64 v5, null, 0, s19, s0
	v_add_co_u32 v17, s0, s6, v14
	v_add_co_ci_u32_e64 v18, null, s7, 0, s0
	s_waitcnt lgkmcnt(0)
	v_mad_u64_u32 v[8:9], null, s36, v6, 0
	v_cmp_gt_i64_e64 s0, s[28:29], v[2:3]
	v_lshlrev_b32_e32 v16, 2, v14
	v_cmp_gt_i64_e64 s1, s[30:31], v[4:5]
	v_mul_lo_u32 v5, s23, v17
	s_add_u32 s26, s26, s42
	s_addc_u32 s27, s27, s43
	v_mov_b32_e32 v2, v9
	v_lshl_or_b32 v14, v13, 7, v16
	v_mul_lo_u32 v16, s22, v18
	s_add_u32 s20, s20, s42
	s_addc_u32 s21, s21, s43
	v_mad_u64_u32 v[2:3], null, s37, v6, v[2:3]
	v_mad_u64_u32 v[3:4], null, s22, v17, 0
	s_load_dwordx2 s[22:23], s[26:27], 0x0
	s_load_dwordx2 s[20:21], s[20:21], 0x0
	s_lshl_b64 s[26:27], s[40:41], 6
	s_lshl_b64 s[38:39], s[38:39], 1
	v_mov_b32_e32 v9, v2
	s_add_u32 s26, s38, s26
	v_add3_u32 v4, v4, v16, v5
	s_addc_u32 s27, s39, s27
	s_lshl_b64 s[24:25], s[24:25], 1
	v_lshlrev_b64 v[8:9], 1, v[8:9]
	v_lshl_or_b32 v15, v10, 5, v15
	v_lshlrev_b64 v[2:3], 1, v[3:4]
	v_add_nc_u32_e32 v15, 0x400, v15
	v_add_co_u32 v4, vcc_lo, s26, v8
	v_lshlrev_b32_e32 v8, 1, v10
	v_add_co_ci_u32_e64 v5, null, s27, v9, vcc_lo
	v_add_co_u32 v2, vcc_lo, v2, s24
	v_lshlrev_b32_e32 v9, 1, v13
	v_add_co_ci_u32_e64 v3, null, s25, v3, vcc_lo
	v_add_co_u32 v4, vcc_lo, v4, v8
	v_add_co_ci_u32_e64 v5, null, 0, v5, vcc_lo
	v_add_co_u32 v8, vcc_lo, v2, v9
	v_add_co_ci_u32_e64 v9, null, 0, v3, vcc_lo
	s_waitcnt lgkmcnt(0)
	v_add_co_u32 v2, vcc_lo, s22, v4
	v_add_co_ci_u32_e64 v3, null, s23, v5, vcc_lo
	v_add_co_u32 v4, vcc_lo, s20, v8
	v_add_co_ci_u32_e64 v5, null, s21, v9, vcc_lo
	v_mov_b32_e32 v8, 0
	v_mov_b32_e32 v9, 0
	v_mov_b32_e32 v10, 0
	s_lshl_b64 s[20:21], s[36:37], 4
	s_mov_b64 s[22:23], 0
	s_branch .LBB111_3
.LBB111_2:                              ;   in Loop: Header=BB111_3 Depth=1
	s_or_b32 exec_lo, exec_lo, s24
	ds_write_b32 v15, v17
	s_waitcnt lgkmcnt(0)
	s_barrier
	buffer_gl0_inv
	ds_read_b128 v[16:19], v12
	ds_read2_b32 v[32:33], v11 offset1:16
	ds_read_b128 v[20:23], v12 offset:512
	ds_read2_b32 v[34:35], v11 offset0:32 offset1:48
	ds_read2_b32 v[36:37], v11 offset0:64 offset1:80
	;; [unrolled: 1-line block ×3, first 2 shown]
	ds_read_b128 v[24:27], v12 offset:16
	ds_read2_b32 v[40:41], v11 offset0:128 offset1:144
	ds_read_b128 v[28:31], v12 offset:528
	ds_read2_b32 v[42:43], v11 offset0:160 offset1:176
	s_add_u32 s22, s22, 8
	s_addc_u32 s23, s23, 0
	v_add_co_u32 v2, vcc_lo, v2, s20
	v_cmp_lt_i64_e64 s24, s[22:23], s[34:35]
	v_add_co_ci_u32_e64 v3, null, s21, v3, vcc_lo
	v_add_co_u32 v4, vcc_lo, v4, 16
	v_add_co_ci_u32_e64 v5, null, 0, v5, vcc_lo
	s_waitcnt lgkmcnt(8)
	v_fmac_f32_e32 v10, v32, v16
	v_fmac_f32_e32 v9, v33, v16
	s_waitcnt lgkmcnt(7)
	v_fmac_f32_e32 v8, v32, v20
	v_fmac_f32_e32 v7, v33, v20
	ds_read2_b32 v[32:33], v11 offset0:192 offset1:208
	s_waitcnt lgkmcnt(7)
	v_fmac_f32_e32 v10, v34, v17
	v_fmac_f32_e32 v9, v35, v17
	;; [unrolled: 1-line block ×4, first 2 shown]
	ds_read2_b32 v[16:17], v11 offset0:224 offset1:240
	s_waitcnt lgkmcnt(7)
	v_fmac_f32_e32 v10, v36, v18
	v_fmac_f32_e32 v9, v37, v18
	;; [unrolled: 1-line block ×4, first 2 shown]
	s_and_b32 vcc_lo, exec_lo, s24
	s_waitcnt lgkmcnt(6)
	v_fmac_f32_e32 v10, v38, v19
	v_fmac_f32_e32 v9, v39, v19
	;; [unrolled: 1-line block ×4, first 2 shown]
	s_waitcnt lgkmcnt(0)
	v_fmac_f32_e32 v10, v40, v24
	v_fmac_f32_e32 v9, v41, v24
	;; [unrolled: 1-line block ×4, first 2 shown]
	s_barrier
	v_fmac_f32_e32 v10, v42, v25
	v_fmac_f32_e32 v9, v43, v25
	;; [unrolled: 1-line block ×4, first 2 shown]
	buffer_gl0_inv
	v_fmac_f32_e32 v10, v32, v26
	v_fmac_f32_e32 v9, v33, v26
	;; [unrolled: 1-line block ×8, first 2 shown]
	s_cbranch_vccz .LBB111_7
.LBB111_3:                              ; =>This Inner Loop Header: Depth=1
	v_add_co_u32 v16, s24, v13, s22
	v_add_co_ci_u32_e64 v17, null, 0, s23, s24
	v_cmp_gt_i64_e32 vcc_lo, s[34:35], v[16:17]
	v_mov_b32_e32 v16, 0
	s_and_b32 s25, s0, vcc_lo
	s_and_saveexec_b32 s24, s25
	s_cbranch_execz .LBB111_5
; %bb.4:                                ;   in Loop: Header=BB111_3 Depth=1
	flat_load_ushort v16, v[4:5]
	s_waitcnt vmcnt(0) lgkmcnt(0)
	v_cvt_f32_f16_e32 v16, v16
.LBB111_5:                              ;   in Loop: Header=BB111_3 Depth=1
	s_or_b32 exec_lo, exec_lo, s24
	v_add_co_u32 v17, s24, v6, s22
	v_add_co_ci_u32_e64 v18, null, 0, s23, s24
	ds_write_b32 v14, v16
	v_cmp_gt_i64_e32 vcc_lo, s[34:35], v[17:18]
	v_mov_b32_e32 v17, 0
	s_and_b32 s25, vcc_lo, s1
	s_and_saveexec_b32 s24, s25
	s_cbranch_execz .LBB111_2
; %bb.6:                                ;   in Loop: Header=BB111_3 Depth=1
	flat_load_ushort v16, v[2:3]
	s_waitcnt vmcnt(0) lgkmcnt(0)
	v_cvt_f32_f16_e32 v17, v16
	s_branch .LBB111_2
.LBB111_7:
	s_clause 0x1
	s_load_dword s20, s[4:5], 0x50
	s_load_dword s4, s[4:5], 0x18
	v_add_co_u32 v1, s5, s18, v1
	v_add_co_ci_u32_e64 v2, null, s19, 0, s5
	s_lshl_b64 s[0:1], s[10:11], 1
	s_waitcnt lgkmcnt(0)
	s_add_u32 s5, s2, s0
	v_cmp_gt_i64_e64 s0, s[30:31], v[1:2]
	s_addc_u32 s3, s3, s1
	v_cmp_neq_f32_e64 s10, s20, 0
	s_and_b32 vcc_lo, exec_lo, s10
	s_cbranch_vccnz .LBB111_20
; %bb.8:
	s_and_saveexec_b32 s10, s0
	s_cbranch_execz .LBB111_18
; %bb.9:
	v_mul_lo_u32 v5, v2, s8
	v_mul_lo_u32 v6, v1, s9
	v_mad_u64_u32 v[3:4], null, v1, s8, 0
	v_add3_u32 v4, v4, v6, v5
	v_add_co_u32 v5, s1, s6, v0
	v_add_co_ci_u32_e64 v6, null, s7, 0, s1
	v_lshlrev_b64 v[11:12], 1, v[3:4]
	v_cmp_gt_i64_e32 vcc_lo, s[28:29], v[5:6]
	v_lshlrev_b64 v[3:4], 1, v[5:6]
	v_add_co_u32 v11, s1, s5, v11
	v_add_co_ci_u32_e64 v12, null, s3, v12, s1
	s_and_saveexec_b32 s2, vcc_lo
	s_cbranch_execz .LBB111_11
; %bb.10:
	v_add_co_u32 v13, s1, v11, v3
	v_add_co_ci_u32_e64 v14, null, v12, v4, s1
	v_fma_mixlo_f16 v15, s4, v10, 0
	flat_store_short v[13:14], v15
.LBB111_11:
	s_or_b32 exec_lo, exec_lo, s2
	v_add_co_u32 v5, s1, v5, 16
	v_add_co_ci_u32_e64 v6, null, 0, v6, s1
	v_cmp_gt_i64_e64 s1, s[28:29], v[5:6]
	s_and_saveexec_b32 s11, s1
	s_cbranch_execz .LBB111_13
; %bb.12:
	v_add_co_u32 v5, s2, v11, v3
	v_add_co_ci_u32_e64 v6, null, v12, v4, s2
	v_fma_mixlo_f16 v13, s4, v9, 0
	flat_store_short v[5:6], v13 offset:32
.LBB111_13:
	s_or_b32 exec_lo, exec_lo, s11
	v_add_co_u32 v5, s2, v1, 16
	v_add_co_ci_u32_e64 v6, null, 0, v2, s2
	v_cmp_gt_i64_e64 s2, s[30:31], v[5:6]
	s_and_b32 exec_lo, exec_lo, s2
	s_cbranch_execz .LBB111_18
; %bb.14:
	s_lshl_b64 s[18:19], s[8:9], 5
	v_add_co_u32 v5, s2, v11, s18
	v_add_co_ci_u32_e64 v6, null, s19, v12, s2
	v_add_co_u32 v3, s2, v5, v3
	v_add_co_ci_u32_e64 v4, null, v6, v4, s2
	s_and_saveexec_b32 s2, vcc_lo
	s_cbranch_execz .LBB111_16
; %bb.15:
	v_fma_mixlo_f16 v5, s4, v8, 0
	flat_store_short v[3:4], v5
.LBB111_16:
	s_or_b32 exec_lo, exec_lo, s2
	s_and_b32 exec_lo, exec_lo, s1
	s_cbranch_execz .LBB111_18
; %bb.17:
	v_fma_mixlo_f16 v5, s4, v7, 0
	flat_store_short v[3:4], v5 offset:32
.LBB111_18:
	s_or_b32 exec_lo, exec_lo, s10
	s_cbranch_execz .LBB111_21
.LBB111_19:
	s_endpgm
.LBB111_20:
.LBB111_21:
	s_and_saveexec_b32 s1, s0
	s_cbranch_execz .LBB111_19
; %bb.22:
	v_mul_lo_u32 v5, v2, s14
	v_mul_lo_u32 v6, v1, s15
	v_mad_u64_u32 v[3:4], null, v1, s14, 0
	v_mul_lo_u32 v13, v2, s8
	v_mul_lo_u32 v14, v1, s9
	v_mad_u64_u32 v[11:12], null, v1, s8, 0
	s_lshl_b64 s[0:1], s[16:17], 1
	v_add3_u32 v4, v4, v6, v5
	v_add_co_u32 v5, s2, s6, v0
	v_add_co_ci_u32_e64 v6, null, s7, 0, s2
	v_add3_u32 v12, v12, v14, v13
	v_lshlrev_b64 v[3:4], 1, v[3:4]
	s_add_u32 s0, s12, s0
	s_addc_u32 s1, s13, s1
	v_cmp_gt_i64_e32 vcc_lo, s[28:29], v[5:6]
	v_lshlrev_b64 v[12:13], 1, v[11:12]
	v_add_co_u32 v0, s0, s0, v3
	v_add_co_ci_u32_e64 v11, null, s1, v4, s0
	v_add_co_u32 v12, s0, s5, v12
	v_lshlrev_b64 v[3:4], 1, v[5:6]
	v_add_co_ci_u32_e64 v13, null, s3, v13, s0
	s_and_saveexec_b32 s1, vcc_lo
	s_cbranch_execz .LBB111_24
; %bb.23:
	v_add_co_u32 v14, s0, v0, v3
	v_add_co_ci_u32_e64 v15, null, v11, v4, s0
	flat_load_ushort v14, v[14:15]
	s_waitcnt vmcnt(0) lgkmcnt(0)
	v_cvt_f32_f16_e32 v14, v14
	v_mul_f32_e32 v14, s20, v14
	v_fma_mixlo_f16 v10, s4, v10, v14
	v_add_co_u32 v14, s0, v12, v3
	v_add_co_ci_u32_e64 v15, null, v13, v4, s0
	flat_store_short v[14:15], v10
.LBB111_24:
	s_or_b32 exec_lo, exec_lo, s1
	v_add_co_u32 v5, s0, v5, 16
	v_add_co_ci_u32_e64 v6, null, 0, v6, s0
	v_cmp_gt_i64_e64 s0, s[28:29], v[5:6]
	s_and_saveexec_b32 s2, s0
	s_cbranch_execz .LBB111_26
; %bb.25:
	v_add_co_u32 v5, s1, v0, v3
	v_add_co_ci_u32_e64 v6, null, v11, v4, s1
	flat_load_ushort v5, v[5:6] offset:32
	s_waitcnt vmcnt(0) lgkmcnt(0)
	v_cvt_f32_f16_e32 v5, v5
	v_mul_f32_e32 v5, s20, v5
	v_fma_mixlo_f16 v9, s4, v9, v5
	v_add_co_u32 v5, s1, v12, v3
	v_add_co_ci_u32_e64 v6, null, v13, v4, s1
	flat_store_short v[5:6], v9 offset:32
.LBB111_26:
	s_or_b32 exec_lo, exec_lo, s2
	v_add_co_u32 v1, s1, v1, 16
	v_add_co_ci_u32_e64 v2, null, 0, v2, s1
	v_cmp_gt_i64_e64 s1, s[30:31], v[1:2]
	s_and_b32 exec_lo, exec_lo, s1
	s_cbranch_execz .LBB111_19
; %bb.27:
	s_lshl_b64 s[2:3], s[14:15], 5
	v_add_co_u32 v0, s1, v0, s2
	v_add_co_ci_u32_e64 v1, null, s3, v11, s1
	s_lshl_b64 s[2:3], s[8:9], 5
	v_add_co_u32 v2, s1, v12, s2
	v_add_co_ci_u32_e64 v5, null, s3, v13, s1
	v_add_co_u32 v0, s1, v0, v3
	v_add_co_ci_u32_e64 v1, null, v1, v4, s1
	;; [unrolled: 2-line block ×3, first 2 shown]
	s_and_saveexec_b32 s1, vcc_lo
	s_cbranch_execz .LBB111_29
; %bb.28:
	flat_load_ushort v4, v[0:1]
	s_waitcnt vmcnt(0) lgkmcnt(0)
	v_cvt_f32_f16_e32 v4, v4
	v_mul_f32_e32 v4, s20, v4
	v_fma_mixlo_f16 v4, s4, v8, v4
	flat_store_short v[2:3], v4
.LBB111_29:
	s_or_b32 exec_lo, exec_lo, s1
	s_and_b32 exec_lo, exec_lo, s0
	s_cbranch_execz .LBB111_19
; %bb.30:
	flat_load_ushort v0, v[0:1] offset:32
	s_waitcnt vmcnt(0) lgkmcnt(0)
	v_cvt_f32_f16_e32 v0, v0
	v_mul_f32_e32 v0, s20, v0
	v_fma_mixlo_f16 v0, s4, v7, v0
	flat_store_short v[2:3], v0 offset:32
	s_endpgm
	.section	.rodata,"a",@progbits
	.p2align	6, 0x0
	.amdhsa_kernel _ZN12_GLOBAL__N_135rocblas_gemm_batched_general_kernelIfLi16ELi16ELi32ELi32ELi8ELi32ELi8ELi8ELi32ELc84ELc67EKPKDF16_S3_KPDF16_EEvlllT_PT11_llS8_llS6_PT12_llPT13_lli
		.amdhsa_group_segment_fixed_size 2048
		.amdhsa_private_segment_fixed_size 0
		.amdhsa_kernarg_size 140
		.amdhsa_user_sgpr_count 6
		.amdhsa_user_sgpr_private_segment_buffer 1
		.amdhsa_user_sgpr_dispatch_ptr 0
		.amdhsa_user_sgpr_queue_ptr 0
		.amdhsa_user_sgpr_kernarg_segment_ptr 1
		.amdhsa_user_sgpr_dispatch_id 0
		.amdhsa_user_sgpr_flat_scratch_init 0
		.amdhsa_user_sgpr_private_segment_size 0
		.amdhsa_wavefront_size32 1
		.amdhsa_uses_dynamic_stack 0
		.amdhsa_system_sgpr_private_segment_wavefront_offset 0
		.amdhsa_system_sgpr_workgroup_id_x 1
		.amdhsa_system_sgpr_workgroup_id_y 1
		.amdhsa_system_sgpr_workgroup_id_z 1
		.amdhsa_system_sgpr_workgroup_info 0
		.amdhsa_system_vgpr_workitem_id 1
		.amdhsa_next_free_vgpr 44
		.amdhsa_next_free_sgpr 44
		.amdhsa_reserve_vcc 1
		.amdhsa_reserve_flat_scratch 0
		.amdhsa_float_round_mode_32 0
		.amdhsa_float_round_mode_16_64 0
		.amdhsa_float_denorm_mode_32 3
		.amdhsa_float_denorm_mode_16_64 3
		.amdhsa_dx10_clamp 1
		.amdhsa_ieee_mode 1
		.amdhsa_fp16_overflow 0
		.amdhsa_workgroup_processor_mode 1
		.amdhsa_memory_ordered 1
		.amdhsa_forward_progress 1
		.amdhsa_shared_vgpr_count 0
		.amdhsa_exception_fp_ieee_invalid_op 0
		.amdhsa_exception_fp_denorm_src 0
		.amdhsa_exception_fp_ieee_div_zero 0
		.amdhsa_exception_fp_ieee_overflow 0
		.amdhsa_exception_fp_ieee_underflow 0
		.amdhsa_exception_fp_ieee_inexact 0
		.amdhsa_exception_int_div_zero 0
	.end_amdhsa_kernel
	.section	.text._ZN12_GLOBAL__N_135rocblas_gemm_batched_general_kernelIfLi16ELi16ELi32ELi32ELi8ELi32ELi8ELi8ELi32ELc84ELc67EKPKDF16_S3_KPDF16_EEvlllT_PT11_llS8_llS6_PT12_llPT13_lli,"axG",@progbits,_ZN12_GLOBAL__N_135rocblas_gemm_batched_general_kernelIfLi16ELi16ELi32ELi32ELi8ELi32ELi8ELi8ELi32ELc84ELc67EKPKDF16_S3_KPDF16_EEvlllT_PT11_llS8_llS6_PT12_llPT13_lli,comdat
.Lfunc_end111:
	.size	_ZN12_GLOBAL__N_135rocblas_gemm_batched_general_kernelIfLi16ELi16ELi32ELi32ELi8ELi32ELi8ELi8ELi32ELc84ELc67EKPKDF16_S3_KPDF16_EEvlllT_PT11_llS8_llS6_PT12_llPT13_lli, .Lfunc_end111-_ZN12_GLOBAL__N_135rocblas_gemm_batched_general_kernelIfLi16ELi16ELi32ELi32ELi8ELi32ELi8ELi8ELi32ELc84ELc67EKPKDF16_S3_KPDF16_EEvlllT_PT11_llS8_llS6_PT12_llPT13_lli
                                        ; -- End function
	.set _ZN12_GLOBAL__N_135rocblas_gemm_batched_general_kernelIfLi16ELi16ELi32ELi32ELi8ELi32ELi8ELi8ELi32ELc84ELc67EKPKDF16_S3_KPDF16_EEvlllT_PT11_llS8_llS6_PT12_llPT13_lli.num_vgpr, 44
	.set _ZN12_GLOBAL__N_135rocblas_gemm_batched_general_kernelIfLi16ELi16ELi32ELi32ELi8ELi32ELi8ELi8ELi32ELc84ELc67EKPKDF16_S3_KPDF16_EEvlllT_PT11_llS8_llS6_PT12_llPT13_lli.num_agpr, 0
	.set _ZN12_GLOBAL__N_135rocblas_gemm_batched_general_kernelIfLi16ELi16ELi32ELi32ELi8ELi32ELi8ELi8ELi32ELc84ELc67EKPKDF16_S3_KPDF16_EEvlllT_PT11_llS8_llS6_PT12_llPT13_lli.numbered_sgpr, 44
	.set _ZN12_GLOBAL__N_135rocblas_gemm_batched_general_kernelIfLi16ELi16ELi32ELi32ELi8ELi32ELi8ELi8ELi32ELc84ELc67EKPKDF16_S3_KPDF16_EEvlllT_PT11_llS8_llS6_PT12_llPT13_lli.num_named_barrier, 0
	.set _ZN12_GLOBAL__N_135rocblas_gemm_batched_general_kernelIfLi16ELi16ELi32ELi32ELi8ELi32ELi8ELi8ELi32ELc84ELc67EKPKDF16_S3_KPDF16_EEvlllT_PT11_llS8_llS6_PT12_llPT13_lli.private_seg_size, 0
	.set _ZN12_GLOBAL__N_135rocblas_gemm_batched_general_kernelIfLi16ELi16ELi32ELi32ELi8ELi32ELi8ELi8ELi32ELc84ELc67EKPKDF16_S3_KPDF16_EEvlllT_PT11_llS8_llS6_PT12_llPT13_lli.uses_vcc, 1
	.set _ZN12_GLOBAL__N_135rocblas_gemm_batched_general_kernelIfLi16ELi16ELi32ELi32ELi8ELi32ELi8ELi8ELi32ELc84ELc67EKPKDF16_S3_KPDF16_EEvlllT_PT11_llS8_llS6_PT12_llPT13_lli.uses_flat_scratch, 0
	.set _ZN12_GLOBAL__N_135rocblas_gemm_batched_general_kernelIfLi16ELi16ELi32ELi32ELi8ELi32ELi8ELi8ELi32ELc84ELc67EKPKDF16_S3_KPDF16_EEvlllT_PT11_llS8_llS6_PT12_llPT13_lli.has_dyn_sized_stack, 0
	.set _ZN12_GLOBAL__N_135rocblas_gemm_batched_general_kernelIfLi16ELi16ELi32ELi32ELi8ELi32ELi8ELi8ELi32ELc84ELc67EKPKDF16_S3_KPDF16_EEvlllT_PT11_llS8_llS6_PT12_llPT13_lli.has_recursion, 0
	.set _ZN12_GLOBAL__N_135rocblas_gemm_batched_general_kernelIfLi16ELi16ELi32ELi32ELi8ELi32ELi8ELi8ELi32ELc84ELc67EKPKDF16_S3_KPDF16_EEvlllT_PT11_llS8_llS6_PT12_llPT13_lli.has_indirect_call, 0
	.section	.AMDGPU.csdata,"",@progbits
; Kernel info:
; codeLenInByte = 1964
; TotalNumSgprs: 46
; NumVgprs: 44
; ScratchSize: 0
; MemoryBound: 0
; FloatMode: 240
; IeeeMode: 1
; LDSByteSize: 2048 bytes/workgroup (compile time only)
; SGPRBlocks: 0
; VGPRBlocks: 5
; NumSGPRsForWavesPerEU: 46
; NumVGPRsForWavesPerEU: 44
; Occupancy: 16
; WaveLimiterHint : 1
; COMPUTE_PGM_RSRC2:SCRATCH_EN: 0
; COMPUTE_PGM_RSRC2:USER_SGPR: 6
; COMPUTE_PGM_RSRC2:TRAP_HANDLER: 0
; COMPUTE_PGM_RSRC2:TGID_X_EN: 1
; COMPUTE_PGM_RSRC2:TGID_Y_EN: 1
; COMPUTE_PGM_RSRC2:TGID_Z_EN: 1
; COMPUTE_PGM_RSRC2:TIDIG_COMP_CNT: 1
	.section	.text._ZN12_GLOBAL__N_127rocblas_gemm_batched_kernelIfLi16ELi16ELi64ELi64ELi4ELi64ELi4ELi4ELi64ELc78ELc78EKPKDF16_KPKfKPfEEvlllT_PT11_llSB_llS9_PT12_llPT13_lli,"axG",@progbits,_ZN12_GLOBAL__N_127rocblas_gemm_batched_kernelIfLi16ELi16ELi64ELi64ELi4ELi64ELi4ELi4ELi64ELc78ELc78EKPKDF16_KPKfKPfEEvlllT_PT11_llSB_llS9_PT12_llPT13_lli,comdat
	.globl	_ZN12_GLOBAL__N_127rocblas_gemm_batched_kernelIfLi16ELi16ELi64ELi64ELi4ELi64ELi4ELi4ELi64ELc78ELc78EKPKDF16_KPKfKPfEEvlllT_PT11_llSB_llS9_PT12_llPT13_lli ; -- Begin function _ZN12_GLOBAL__N_127rocblas_gemm_batched_kernelIfLi16ELi16ELi64ELi64ELi4ELi64ELi4ELi4ELi64ELc78ELc78EKPKDF16_KPKfKPfEEvlllT_PT11_llSB_llS9_PT12_llPT13_lli
	.p2align	8
	.type	_ZN12_GLOBAL__N_127rocblas_gemm_batched_kernelIfLi16ELi16ELi64ELi64ELi4ELi64ELi4ELi4ELi64ELc78ELc78EKPKDF16_KPKfKPfEEvlllT_PT11_llSB_llS9_PT12_llPT13_lli,@function
_ZN12_GLOBAL__N_127rocblas_gemm_batched_kernelIfLi16ELi16ELi64ELi64ELi4ELi64ELi4ELi4ELi64ELc78ELc78EKPKDF16_KPKfKPfEEvlllT_PT11_llSB_llS9_PT12_llPT13_lli: ; @_ZN12_GLOBAL__N_127rocblas_gemm_batched_kernelIfLi16ELi16ELi64ELi64ELi4ELi64ELi4ELi4ELi64ELc78ELc78EKPKDF16_KPKfKPfEEvlllT_PT11_llSB_llS9_PT12_llPT13_lli
; %bb.0:
	s_clause 0x1
	s_load_dwordx8 s[12:19], s[4:5], 0x58
	s_load_dwordx2 s[28:29], s[4:5], 0x10
	s_mov_b32 s9, 0
	s_load_dwordx4 s[0:3], s[4:5], 0x78
	s_lshl_b64 s[34:35], s[8:9], 3
	s_mov_b32 s10, s7
	v_mov_b32_e32 v18, 0
	v_mov_b32_e32 v21, 0
	;; [unrolled: 1-line block ×14, first 2 shown]
	s_waitcnt lgkmcnt(0)
	s_add_u32 s8, s12, s34
	s_addc_u32 s9, s13, s35
	s_add_u32 s18, s18, s34
	s_addc_u32 s19, s19, s35
	s_load_dwordx2 s[12:13], s[8:9], 0x0
	s_load_dwordx2 s[18:19], s[18:19], 0x0
	v_cmp_lt_i64_e64 s20, s[28:29], 1
	v_mov_b32_e32 v7, 0
	v_mov_b32_e32 v6, 0
	s_ashr_i32 s7, s6, 31
	s_ashr_i32 s11, s10, 31
	s_lshl_b64 s[6:7], s[6:7], 6
	s_and_b32 vcc_lo, exec_lo, s20
	s_lshl_b64 s[30:31], s[10:11], 6
	s_cbranch_vccnz .LBB112_3
; %bb.1:
	v_lshlrev_b32_e32 v2, 4, v1
	s_clause 0x1
	s_load_dwordx4 s[8:11], s[4:5], 0x40
	s_load_dwordx8 s[20:27], s[4:5], 0x20
	v_and_b32_e32 v9, 3, v0
	v_mov_b32_e32 v6, 0
	v_add_nc_u32_e32 v3, v2, v0
	v_add_nc_u32_e32 v23, 0x400, v2
	v_lshlrev_b32_e32 v22, 2, v0
	v_lshlrev_b32_e32 v5, 2, v9
	;; [unrolled: 1-line block ×3, first 2 shown]
	v_lshrrev_b32_e32 v4, 2, v3
	v_and_b32_e32 v10, 63, v3
	v_lshrrev_b32_e32 v11, 6, v3
	v_mov_b32_e32 v14, 0
	v_mov_b32_e32 v15, 0
	v_add_co_u32 v7, s33, v4, s30
	v_add_co_ci_u32_e64 v8, null, 0, s31, s33
	v_lshlrev_b32_e32 v12, 2, v10
	v_mov_b32_e32 v16, 0
	s_waitcnt lgkmcnt(0)
	v_mul_lo_u32 v13, s9, v7
	v_mul_lo_u32 v8, s8, v8
	v_mad_u64_u32 v[2:3], null, s8, v7, 0
	v_lshl_or_b32 v7, v4, 4, v5
	s_add_u32 s8, s20, s34
	v_mad_u64_u32 v[4:5], null, s22, v11, s[6:7]
	s_addc_u32 s9, s21, s35
	s_add_u32 s20, s26, s34
	v_add3_u32 v3, v3, v8, v13
	s_addc_u32 s21, s27, s35
	s_load_dwordx2 s[8:9], s[8:9], 0x0
	s_load_dwordx2 s[20:21], s[20:21], 0x0
	v_add_nc_u32_e32 v25, 0x400, v7
	v_lshlrev_b64 v[2:3], 1, v[2:3]
	v_mad_u64_u32 v[7:8], null, s23, v11, v[5:6]
	s_lshl_b64 s[10:11], s[10:11], 1
	v_lshl_or_b32 v24, v11, 8, v12
	v_mov_b32_e32 v11, 0
	v_add_co_u32 v5, vcc_lo, v2, s10
	v_add_co_ci_u32_e64 v8, null, s11, v3, vcc_lo
	v_add_co_u32 v2, vcc_lo, v4, v10
	v_add_co_ci_u32_e64 v3, null, 0, v7, vcc_lo
	;; [unrolled: 2-line block ×3, first 2 shown]
	v_lshlrev_b64 v[4:5], 1, v[2:3]
	s_lshl_b64 s[10:11], s[24:25], 1
	s_waitcnt lgkmcnt(0)
	v_add_co_u32 v2, vcc_lo, s20, v7
	s_add_u32 s8, s8, s10
	v_add_co_ci_u32_e64 v3, null, s21, v8, vcc_lo
	s_addc_u32 s9, s9, s11
	v_add_co_u32 v4, vcc_lo, s8, v4
	v_add_co_ci_u32_e64 v5, null, s9, v5, vcc_lo
	v_mov_b32_e32 v7, 0
	v_mov_b32_e32 v8, 0
	;; [unrolled: 1-line block ×11, first 2 shown]
	s_lshl_b64 s[8:9], s[22:23], 3
	s_mov_b64 s[10:11], 0
.LBB112_2:                              ; =>This Inner Loop Header: Depth=1
	flat_load_ushort v26, v[4:5]
	flat_load_ushort v27, v[2:3]
	s_add_u32 s10, s10, 4
	s_addc_u32 s11, s11, 0
	v_add_co_u32 v2, vcc_lo, v2, 8
	v_cmp_lt_i64_e64 s20, s[10:11], s[28:29]
	v_add_co_ci_u32_e64 v3, null, 0, v3, vcc_lo
	v_add_co_u32 v4, vcc_lo, v4, s8
	v_add_co_ci_u32_e64 v5, null, s9, v5, vcc_lo
	s_and_b32 vcc_lo, exec_lo, s20
	s_waitcnt vmcnt(1) lgkmcnt(1)
	v_cvt_f32_f16_e32 v26, v26
	s_waitcnt vmcnt(0) lgkmcnt(0)
	v_cvt_f32_f16_e32 v27, v27
	ds_write_b32 v24, v26
	ds_write_b32 v25, v27
	s_waitcnt lgkmcnt(0)
	s_barrier
	buffer_gl0_inv
	ds_read_b128 v[26:29], v23
	ds_read2_b32 v[42:43], v22 offset1:16
	ds_read2_b32 v[44:45], v22 offset0:32 offset1:48
	ds_read_b128 v[30:33], v23 offset:256
	ds_read_b128 v[34:37], v23 offset:512
	ds_read_b128 v[38:41], v23 offset:768
	ds_read2_b32 v[46:47], v22 offset0:64 offset1:80
	ds_read2_b32 v[48:49], v22 offset0:96 offset1:112
	;; [unrolled: 1-line block ×6, first 2 shown]
	s_waitcnt lgkmcnt(0)
	s_barrier
	buffer_gl0_inv
	v_fmac_f32_e32 v18, v42, v26
	v_fmac_f32_e32 v21, v43, v26
	;; [unrolled: 1-line block ×64, first 2 shown]
	s_cbranch_vccnz .LBB112_2
.LBB112_3:
	s_load_dword s8, s[4:5], 0x50
	s_lshl_b64 s[10:11], s[2:3], 2
	s_load_dword s2, s[4:5], 0x18
	v_add_co_u32 v2, s4, s30, v1
	v_add_co_ci_u32_e64 v5, null, s31, 0, s4
	v_add_co_u32 v0, s4, s6, v0
	v_add_co_ci_u32_e64 v1, null, s7, 0, s4
	v_mul_lo_u32 v3, v5, s0
	v_mul_lo_u32 v4, v2, s1
	s_waitcnt lgkmcnt(0)
	s_add_u32 s3, s18, s10
	v_lshlrev_b64 v[0:1], 2, v[0:1]
	s_addc_u32 s4, s19, s11
	v_cmp_neq_f32_e64 s5, s8, 0
	s_and_b32 vcc_lo, exec_lo, s5
	s_mov_b32 s5, 0
	s_cbranch_vccnz .LBB112_7
; %bb.4:
	v_mad_u64_u32 v[22:23], null, v2, s0, 0
	s_lshl_b64 s[6:7], s[0:1], 6
	v_mul_f32_e32 v26, s2, v18
	v_mul_f32_e32 v27, s2, v21
	;; [unrolled: 1-line block ×5, first 2 shown]
	v_add3_u32 v23, v23, v4, v3
	v_mul_f32_e32 v31, s2, v16
	v_mul_f32_e32 v32, s2, v15
	v_mul_f32_e32 v33, s2, v14
	v_lshlrev_b64 v[22:23], 2, v[22:23]
	v_add_co_u32 v22, vcc_lo, s3, v22
	v_add_co_ci_u32_e64 v23, null, s4, v23, vcc_lo
	v_add_co_u32 v34, vcc_lo, v22, s6
	v_add_co_ci_u32_e64 v35, null, s7, v23, vcc_lo
	;; [unrolled: 2-line block ×4, first 2 shown]
	flat_store_dword v[22:23], v26
	flat_store_dword v[22:23], v27 offset:64
	flat_store_dword v[22:23], v28 offset:128
	;; [unrolled: 1-line block ×3, first 2 shown]
	flat_store_dword v[24:25], v30
	flat_store_dword v[24:25], v31 offset:64
	v_add_co_u32 v26, vcc_lo, v34, s6
	v_add_co_ci_u32_e64 v27, null, s7, v35, vcc_lo
	v_mul_f32_e32 v28, s2, v13
	v_add_co_u32 v22, vcc_lo, v26, v0
	v_add_co_ci_u32_e64 v23, null, v27, v1, vcc_lo
	v_mul_f32_e32 v29, s2, v12
	v_mul_f32_e32 v30, s2, v11
	flat_store_dword v[24:25], v32 offset:128
	flat_store_dword v[24:25], v33 offset:192
	flat_store_dword v[22:23], v28
	flat_store_dword v[22:23], v29 offset:64
	flat_store_dword v[22:23], v30 offset:128
	v_add_co_u32 v24, vcc_lo, v26, s6
	v_add_co_ci_u32_e64 v25, null, s7, v27, vcc_lo
	v_mul_f32_e32 v28, s2, v10
	v_add_co_u32 v24, vcc_lo, v24, v0
	v_mul_f32_e32 v26, s2, v9
	v_add_co_ci_u32_e64 v25, null, v25, v1, vcc_lo
	v_mul_f32_e32 v27, s2, v8
	v_mul_f32_e32 v29, s2, v7
	v_mul_f32_e32 v30, s2, v6
	flat_store_dword v[22:23], v28 offset:192
	flat_store_dword v[24:25], v26
	flat_store_dword v[24:25], v27 offset:64
	flat_store_dword v[24:25], v29 offset:128
	;; [unrolled: 1-line block ×3, first 2 shown]
	s_andn2_b32 vcc_lo, exec_lo, s5
	s_cbranch_vccnz .LBB112_6
.LBB112_5:
	v_mul_lo_u32 v5, v5, s14
	v_mul_lo_u32 v24, v2, s15
	v_mad_u64_u32 v[22:23], null, v2, s14, 0
	s_lshl_b64 s[6:7], s[16:17], 2
	s_add_u32 s5, s12, s6
	s_addc_u32 s6, s13, s7
	v_add3_u32 v23, v23, v24, v5
	v_mad_u64_u32 v[24:25], null, v2, s0, 0
	s_lshl_b64 s[0:1], s[0:1], 6
	v_lshlrev_b64 v[22:23], 2, v[22:23]
	v_add3_u32 v25, v25, v4, v3
	v_add_co_u32 v5, vcc_lo, s5, v22
	v_add_co_ci_u32_e64 v26, null, s6, v23, vcc_lo
	v_lshlrev_b64 v[2:3], 2, v[24:25]
	v_add_co_u32 v22, vcc_lo, v5, v0
	v_add_co_ci_u32_e64 v23, null, v26, v1, vcc_lo
	v_add_co_u32 v24, vcc_lo, s3, v2
	flat_load_dword v27, v[22:23]
	v_add_co_ci_u32_e64 v25, null, s4, v3, vcc_lo
	v_add_co_u32 v2, vcc_lo, v24, v0
	s_lshl_b64 s[4:5], s[14:15], 6
	v_add_co_ci_u32_e64 v3, null, v25, v1, vcc_lo
	s_waitcnt vmcnt(0) lgkmcnt(0)
	v_mul_f32_e32 v4, s8, v27
	v_fmac_f32_e32 v4, s2, v18
	flat_store_dword v[2:3], v4
	flat_load_dword v4, v[22:23] offset:64
	s_waitcnt vmcnt(0) lgkmcnt(0)
	v_mul_f32_e32 v4, s8, v4
	v_fmac_f32_e32 v4, s2, v21
	flat_store_dword v[2:3], v4 offset:64
	flat_load_dword v4, v[22:23] offset:128
	s_waitcnt vmcnt(0) lgkmcnt(0)
	v_mul_f32_e32 v4, s8, v4
	v_fmac_f32_e32 v4, s2, v20
	v_add_co_u32 v20, vcc_lo, v5, s4
	v_add_co_ci_u32_e64 v21, null, s5, v26, vcc_lo
	flat_store_dword v[2:3], v4 offset:128
	flat_load_dword v4, v[22:23] offset:192
	s_waitcnt vmcnt(0) lgkmcnt(0)
	v_mul_f32_e32 v18, s8, v4
	v_add_co_u32 v4, vcc_lo, v20, v0
	v_add_co_ci_u32_e64 v5, null, v21, v1, vcc_lo
	v_fmac_f32_e32 v18, s2, v19
	flat_store_dword v[2:3], v18 offset:192
	flat_load_dword v2, v[4:5]
	v_add_co_u32 v18, vcc_lo, v24, s0
	v_add_co_ci_u32_e64 v19, null, s1, v25, vcc_lo
	s_waitcnt vmcnt(0) lgkmcnt(0)
	v_mul_f32_e32 v22, s8, v2
	v_add_co_u32 v2, vcc_lo, v18, v0
	v_add_co_ci_u32_e64 v3, null, v19, v1, vcc_lo
	v_fmac_f32_e32 v22, s2, v17
	flat_store_dword v[2:3], v22
	flat_load_dword v17, v[4:5] offset:64
	s_waitcnt vmcnt(0) lgkmcnt(0)
	v_mul_f32_e32 v17, s8, v17
	v_fmac_f32_e32 v17, s2, v16
	flat_store_dword v[2:3], v17 offset:64
	flat_load_dword v16, v[4:5] offset:128
	s_waitcnt vmcnt(0) lgkmcnt(0)
	v_mul_f32_e32 v16, s8, v16
	v_fmac_f32_e32 v16, s2, v15
	flat_store_dword v[2:3], v16 offset:128
	flat_load_dword v4, v[4:5] offset:192
	v_add_co_u32 v16, vcc_lo, v20, s4
	v_add_co_ci_u32_e64 v17, null, s5, v21, vcc_lo
	s_waitcnt vmcnt(0) lgkmcnt(0)
	v_mul_f32_e32 v15, s8, v4
	v_add_co_u32 v4, vcc_lo, v16, v0
	v_add_co_ci_u32_e64 v5, null, v17, v1, vcc_lo
	v_fmac_f32_e32 v15, s2, v14
	v_add_co_u32 v14, vcc_lo, v18, s0
	flat_store_dword v[2:3], v15 offset:192
	flat_load_dword v2, v[4:5]
	v_add_co_ci_u32_e64 v15, null, s1, v19, vcc_lo
	s_waitcnt vmcnt(0) lgkmcnt(0)
	v_mul_f32_e32 v18, s8, v2
	v_add_co_u32 v2, vcc_lo, v14, v0
	v_add_co_ci_u32_e64 v3, null, v15, v1, vcc_lo
	v_fmac_f32_e32 v18, s2, v13
	flat_store_dword v[2:3], v18
	flat_load_dword v13, v[4:5] offset:64
	s_waitcnt vmcnt(0) lgkmcnt(0)
	v_mul_f32_e32 v13, s8, v13
	v_fmac_f32_e32 v13, s2, v12
	flat_store_dword v[2:3], v13 offset:64
	flat_load_dword v12, v[4:5] offset:128
	s_waitcnt vmcnt(0) lgkmcnt(0)
	v_mul_f32_e32 v12, s8, v12
	v_fmac_f32_e32 v12, s2, v11
	flat_store_dword v[2:3], v12 offset:128
	flat_load_dword v4, v[4:5] offset:192
	s_waitcnt vmcnt(0) lgkmcnt(0)
	v_mul_f32_e32 v11, s8, v4
	v_add_co_u32 v4, vcc_lo, v16, s4
	v_add_co_ci_u32_e64 v5, null, s5, v17, vcc_lo
	v_fmac_f32_e32 v11, s2, v10
	v_add_co_u32 v4, vcc_lo, v4, v0
	v_add_co_ci_u32_e64 v5, null, v5, v1, vcc_lo
	flat_store_dword v[2:3], v11 offset:192
	v_add_co_u32 v3, vcc_lo, v14, s0
	flat_load_dword v2, v[4:5]
	v_add_co_ci_u32_e64 v10, null, s1, v15, vcc_lo
	v_add_co_u32 v0, vcc_lo, v3, v0
	v_add_co_ci_u32_e64 v1, null, v10, v1, vcc_lo
	s_waitcnt vmcnt(0) lgkmcnt(0)
	v_mul_f32_e32 v2, s8, v2
	v_fmac_f32_e32 v2, s2, v9
	flat_store_dword v[0:1], v2
	flat_load_dword v2, v[4:5] offset:64
	s_waitcnt vmcnt(0) lgkmcnt(0)
	v_mul_f32_e32 v2, s8, v2
	v_fmac_f32_e32 v2, s2, v8
	flat_store_dword v[0:1], v2 offset:64
	flat_load_dword v2, v[4:5] offset:128
	s_waitcnt vmcnt(0) lgkmcnt(0)
	v_mul_f32_e32 v2, s8, v2
	v_fmac_f32_e32 v2, s2, v7
	flat_store_dword v[0:1], v2 offset:128
	;; [unrolled: 5-line block ×3, first 2 shown]
.LBB112_6:
	s_endpgm
.LBB112_7:
	s_branch .LBB112_5
	.section	.rodata,"a",@progbits
	.p2align	6, 0x0
	.amdhsa_kernel _ZN12_GLOBAL__N_127rocblas_gemm_batched_kernelIfLi16ELi16ELi64ELi64ELi4ELi64ELi4ELi4ELi64ELc78ELc78EKPKDF16_KPKfKPfEEvlllT_PT11_llSB_llS9_PT12_llPT13_lli
		.amdhsa_group_segment_fixed_size 2048
		.amdhsa_private_segment_fixed_size 0
		.amdhsa_kernarg_size 140
		.amdhsa_user_sgpr_count 6
		.amdhsa_user_sgpr_private_segment_buffer 1
		.amdhsa_user_sgpr_dispatch_ptr 0
		.amdhsa_user_sgpr_queue_ptr 0
		.amdhsa_user_sgpr_kernarg_segment_ptr 1
		.amdhsa_user_sgpr_dispatch_id 0
		.amdhsa_user_sgpr_flat_scratch_init 0
		.amdhsa_user_sgpr_private_segment_size 0
		.amdhsa_wavefront_size32 1
		.amdhsa_uses_dynamic_stack 0
		.amdhsa_system_sgpr_private_segment_wavefront_offset 0
		.amdhsa_system_sgpr_workgroup_id_x 1
		.amdhsa_system_sgpr_workgroup_id_y 1
		.amdhsa_system_sgpr_workgroup_id_z 1
		.amdhsa_system_sgpr_workgroup_info 0
		.amdhsa_system_vgpr_workitem_id 1
		.amdhsa_next_free_vgpr 58
		.amdhsa_next_free_sgpr 36
		.amdhsa_reserve_vcc 1
		.amdhsa_reserve_flat_scratch 0
		.amdhsa_float_round_mode_32 0
		.amdhsa_float_round_mode_16_64 0
		.amdhsa_float_denorm_mode_32 3
		.amdhsa_float_denorm_mode_16_64 3
		.amdhsa_dx10_clamp 1
		.amdhsa_ieee_mode 1
		.amdhsa_fp16_overflow 0
		.amdhsa_workgroup_processor_mode 1
		.amdhsa_memory_ordered 1
		.amdhsa_forward_progress 1
		.amdhsa_shared_vgpr_count 0
		.amdhsa_exception_fp_ieee_invalid_op 0
		.amdhsa_exception_fp_denorm_src 0
		.amdhsa_exception_fp_ieee_div_zero 0
		.amdhsa_exception_fp_ieee_overflow 0
		.amdhsa_exception_fp_ieee_underflow 0
		.amdhsa_exception_fp_ieee_inexact 0
		.amdhsa_exception_int_div_zero 0
	.end_amdhsa_kernel
	.section	.text._ZN12_GLOBAL__N_127rocblas_gemm_batched_kernelIfLi16ELi16ELi64ELi64ELi4ELi64ELi4ELi4ELi64ELc78ELc78EKPKDF16_KPKfKPfEEvlllT_PT11_llSB_llS9_PT12_llPT13_lli,"axG",@progbits,_ZN12_GLOBAL__N_127rocblas_gemm_batched_kernelIfLi16ELi16ELi64ELi64ELi4ELi64ELi4ELi4ELi64ELc78ELc78EKPKDF16_KPKfKPfEEvlllT_PT11_llSB_llS9_PT12_llPT13_lli,comdat
.Lfunc_end112:
	.size	_ZN12_GLOBAL__N_127rocblas_gemm_batched_kernelIfLi16ELi16ELi64ELi64ELi4ELi64ELi4ELi4ELi64ELc78ELc78EKPKDF16_KPKfKPfEEvlllT_PT11_llSB_llS9_PT12_llPT13_lli, .Lfunc_end112-_ZN12_GLOBAL__N_127rocblas_gemm_batched_kernelIfLi16ELi16ELi64ELi64ELi4ELi64ELi4ELi4ELi64ELc78ELc78EKPKDF16_KPKfKPfEEvlllT_PT11_llSB_llS9_PT12_llPT13_lli
                                        ; -- End function
	.set _ZN12_GLOBAL__N_127rocblas_gemm_batched_kernelIfLi16ELi16ELi64ELi64ELi4ELi64ELi4ELi4ELi64ELc78ELc78EKPKDF16_KPKfKPfEEvlllT_PT11_llSB_llS9_PT12_llPT13_lli.num_vgpr, 58
	.set _ZN12_GLOBAL__N_127rocblas_gemm_batched_kernelIfLi16ELi16ELi64ELi64ELi4ELi64ELi4ELi4ELi64ELc78ELc78EKPKDF16_KPKfKPfEEvlllT_PT11_llSB_llS9_PT12_llPT13_lli.num_agpr, 0
	.set _ZN12_GLOBAL__N_127rocblas_gemm_batched_kernelIfLi16ELi16ELi64ELi64ELi4ELi64ELi4ELi4ELi64ELc78ELc78EKPKDF16_KPKfKPfEEvlllT_PT11_llSB_llS9_PT12_llPT13_lli.numbered_sgpr, 36
	.set _ZN12_GLOBAL__N_127rocblas_gemm_batched_kernelIfLi16ELi16ELi64ELi64ELi4ELi64ELi4ELi4ELi64ELc78ELc78EKPKDF16_KPKfKPfEEvlllT_PT11_llSB_llS9_PT12_llPT13_lli.num_named_barrier, 0
	.set _ZN12_GLOBAL__N_127rocblas_gemm_batched_kernelIfLi16ELi16ELi64ELi64ELi4ELi64ELi4ELi4ELi64ELc78ELc78EKPKDF16_KPKfKPfEEvlllT_PT11_llSB_llS9_PT12_llPT13_lli.private_seg_size, 0
	.set _ZN12_GLOBAL__N_127rocblas_gemm_batched_kernelIfLi16ELi16ELi64ELi64ELi4ELi64ELi4ELi4ELi64ELc78ELc78EKPKDF16_KPKfKPfEEvlllT_PT11_llSB_llS9_PT12_llPT13_lli.uses_vcc, 1
	.set _ZN12_GLOBAL__N_127rocblas_gemm_batched_kernelIfLi16ELi16ELi64ELi64ELi4ELi64ELi4ELi4ELi64ELc78ELc78EKPKDF16_KPKfKPfEEvlllT_PT11_llSB_llS9_PT12_llPT13_lli.uses_flat_scratch, 0
	.set _ZN12_GLOBAL__N_127rocblas_gemm_batched_kernelIfLi16ELi16ELi64ELi64ELi4ELi64ELi4ELi4ELi64ELc78ELc78EKPKDF16_KPKfKPfEEvlllT_PT11_llSB_llS9_PT12_llPT13_lli.has_dyn_sized_stack, 0
	.set _ZN12_GLOBAL__N_127rocblas_gemm_batched_kernelIfLi16ELi16ELi64ELi64ELi4ELi64ELi4ELi4ELi64ELc78ELc78EKPKDF16_KPKfKPfEEvlllT_PT11_llSB_llS9_PT12_llPT13_lli.has_recursion, 0
	.set _ZN12_GLOBAL__N_127rocblas_gemm_batched_kernelIfLi16ELi16ELi64ELi64ELi4ELi64ELi4ELi4ELi64ELc78ELc78EKPKDF16_KPKfKPfEEvlllT_PT11_llSB_llS9_PT12_llPT13_lli.has_indirect_call, 0
	.section	.AMDGPU.csdata,"",@progbits
; Kernel info:
; codeLenInByte = 2300
; TotalNumSgprs: 38
; NumVgprs: 58
; ScratchSize: 0
; MemoryBound: 0
; FloatMode: 240
; IeeeMode: 1
; LDSByteSize: 2048 bytes/workgroup (compile time only)
; SGPRBlocks: 0
; VGPRBlocks: 7
; NumSGPRsForWavesPerEU: 38
; NumVGPRsForWavesPerEU: 58
; Occupancy: 16
; WaveLimiterHint : 1
; COMPUTE_PGM_RSRC2:SCRATCH_EN: 0
; COMPUTE_PGM_RSRC2:USER_SGPR: 6
; COMPUTE_PGM_RSRC2:TRAP_HANDLER: 0
; COMPUTE_PGM_RSRC2:TGID_X_EN: 1
; COMPUTE_PGM_RSRC2:TGID_Y_EN: 1
; COMPUTE_PGM_RSRC2:TGID_Z_EN: 1
; COMPUTE_PGM_RSRC2:TIDIG_COMP_CNT: 1
	.section	.text._ZN12_GLOBAL__N_127rocblas_gemm_batched_kernelIfLi16ELi16ELi64ELi64ELi4ELi64ELi4ELi4ELi64ELc84ELc78EKPKDF16_KPKfKPfEEvlllT_PT11_llSB_llS9_PT12_llPT13_lli,"axG",@progbits,_ZN12_GLOBAL__N_127rocblas_gemm_batched_kernelIfLi16ELi16ELi64ELi64ELi4ELi64ELi4ELi4ELi64ELc84ELc78EKPKDF16_KPKfKPfEEvlllT_PT11_llSB_llS9_PT12_llPT13_lli,comdat
	.globl	_ZN12_GLOBAL__N_127rocblas_gemm_batched_kernelIfLi16ELi16ELi64ELi64ELi4ELi64ELi4ELi4ELi64ELc84ELc78EKPKDF16_KPKfKPfEEvlllT_PT11_llSB_llS9_PT12_llPT13_lli ; -- Begin function _ZN12_GLOBAL__N_127rocblas_gemm_batched_kernelIfLi16ELi16ELi64ELi64ELi4ELi64ELi4ELi4ELi64ELc84ELc78EKPKDF16_KPKfKPfEEvlllT_PT11_llSB_llS9_PT12_llPT13_lli
	.p2align	8
	.type	_ZN12_GLOBAL__N_127rocblas_gemm_batched_kernelIfLi16ELi16ELi64ELi64ELi4ELi64ELi4ELi4ELi64ELc84ELc78EKPKDF16_KPKfKPfEEvlllT_PT11_llSB_llS9_PT12_llPT13_lli,@function
_ZN12_GLOBAL__N_127rocblas_gemm_batched_kernelIfLi16ELi16ELi64ELi64ELi4ELi64ELi4ELi4ELi64ELc84ELc78EKPKDF16_KPKfKPfEEvlllT_PT11_llSB_llS9_PT12_llPT13_lli: ; @_ZN12_GLOBAL__N_127rocblas_gemm_batched_kernelIfLi16ELi16ELi64ELi64ELi4ELi64ELi4ELi4ELi64ELc84ELc78EKPKDF16_KPKfKPfEEvlllT_PT11_llSB_llS9_PT12_llPT13_lli
; %bb.0:
	s_clause 0x1
	s_load_dwordx8 s[12:19], s[4:5], 0x58
	s_load_dwordx2 s[28:29], s[4:5], 0x10
	s_mov_b32 s9, 0
	s_load_dwordx4 s[0:3], s[4:5], 0x78
	s_lshl_b64 s[34:35], s[8:9], 3
	s_mov_b32 s10, s7
	v_mov_b32_e32 v18, 0
	v_mov_b32_e32 v21, 0
	;; [unrolled: 1-line block ×14, first 2 shown]
	s_waitcnt lgkmcnt(0)
	s_add_u32 s8, s12, s34
	s_addc_u32 s9, s13, s35
	s_add_u32 s18, s18, s34
	s_addc_u32 s19, s19, s35
	s_load_dwordx2 s[12:13], s[8:9], 0x0
	s_load_dwordx2 s[18:19], s[18:19], 0x0
	v_cmp_lt_i64_e64 s20, s[28:29], 1
	v_mov_b32_e32 v7, 0
	v_mov_b32_e32 v6, 0
	s_ashr_i32 s7, s6, 31
	s_ashr_i32 s11, s10, 31
	s_lshl_b64 s[6:7], s[6:7], 6
	s_and_b32 vcc_lo, exec_lo, s20
	s_lshl_b64 s[30:31], s[10:11], 6
	s_cbranch_vccnz .LBB113_3
; %bb.1:
	v_lshlrev_b32_e32 v7, 4, v1
	s_clause 0x1
	s_load_dwordx8 s[20:27], s[4:5], 0x20
	s_load_dwordx4 s[8:11], s[4:5], 0x40
	v_and_b32_e32 v8, 3, v0
	v_lshlrev_b32_e32 v24, 2, v0
	v_mov_b32_e32 v16, 0
	v_add_nc_u32_e32 v2, v7, v0
	v_add_nc_u32_e32 v25, 0x400, v7
	v_lshlrev_b32_e32 v7, 1, v8
	v_lshlrev_b32_e32 v9, 2, v8
	v_mov_b32_e32 v17, 0
	v_lshrrev_b32_e32 v6, 2, v2
	v_and_b32_e32 v10, 63, v2
	v_lshrrev_b32_e32 v11, 6, v2
	v_mov_b32_e32 v19, 0
	v_mov_b32_e32 v20, 0
	v_add_co_u32 v2, s33, v6, s30
	v_add_co_ci_u32_e64 v3, null, 0, s31, s33
	v_add_co_u32 v4, s33, s6, v10
	v_add_co_ci_u32_e64 v5, null, s7, 0, s33
	s_waitcnt lgkmcnt(0)
	v_mul_lo_u32 v12, s9, v2
	v_mul_lo_u32 v13, s8, v3
	v_mad_u64_u32 v[2:3], null, s8, v2, 0
	v_mul_lo_u32 v14, s23, v4
	v_mul_lo_u32 v15, s22, v5
	v_mad_u64_u32 v[4:5], null, s22, v4, 0
	s_add_u32 s20, s20, s34
	s_addc_u32 s21, s21, s35
	s_add_u32 s26, s26, s34
	v_add3_u32 v3, v3, v13, v12
	s_addc_u32 s27, s27, s35
	s_load_dwordx2 s[20:21], s[20:21], 0x0
	s_load_dwordx2 s[8:9], s[26:27], 0x0
	v_add3_u32 v5, v5, v15, v14
	v_lshlrev_b64 v[2:3], 1, v[2:3]
	s_lshl_b64 s[10:11], s[10:11], 1
	v_lshlrev_b32_e32 v8, 1, v11
	v_lshlrev_b32_e32 v10, 2, v10
	v_lshlrev_b64 v[4:5], 1, v[4:5]
	v_lshl_or_b32 v9, v6, 4, v9
	v_add_co_u32 v2, vcc_lo, v2, s10
	v_add_co_ci_u32_e64 v3, null, s11, v3, vcc_lo
	s_lshl_b64 s[10:11], s[24:25], 1
	v_mov_b32_e32 v6, 0
	v_add_co_u32 v4, vcc_lo, v4, s10
	v_add_co_ci_u32_e64 v5, null, s11, v5, vcc_lo
	v_add_co_u32 v2, vcc_lo, v2, v7
	v_add_co_ci_u32_e64 v3, null, 0, v3, vcc_lo
	;; [unrolled: 2-line block ×3, first 2 shown]
	s_waitcnt lgkmcnt(0)
	v_add_co_u32 v2, vcc_lo, s8, v2
	v_add_co_ci_u32_e64 v3, null, s9, v3, vcc_lo
	v_add_co_u32 v4, vcc_lo, s20, v4
	v_lshl_or_b32 v22, v11, 8, v10
	v_add_nc_u32_e32 v23, 0x400, v9
	v_add_co_ci_u32_e64 v5, null, s21, v5, vcc_lo
	v_mov_b32_e32 v7, 0
	v_mov_b32_e32 v8, 0
	;; [unrolled: 1-line block ×11, first 2 shown]
	s_mov_b64 s[8:9], 0
.LBB113_2:                              ; =>This Inner Loop Header: Depth=1
	flat_load_ushort v26, v[4:5]
	flat_load_ushort v27, v[2:3]
	s_add_u32 s8, s8, 4
	s_addc_u32 s9, s9, 0
	v_add_co_u32 v2, vcc_lo, v2, 8
	v_cmp_lt_i64_e64 s10, s[8:9], s[28:29]
	v_add_co_ci_u32_e64 v3, null, 0, v3, vcc_lo
	v_add_co_u32 v4, vcc_lo, v4, 8
	v_add_co_ci_u32_e64 v5, null, 0, v5, vcc_lo
	s_and_b32 vcc_lo, exec_lo, s10
	s_waitcnt vmcnt(1) lgkmcnt(1)
	v_cvt_f32_f16_e32 v26, v26
	s_waitcnt vmcnt(0) lgkmcnt(0)
	v_cvt_f32_f16_e32 v27, v27
	ds_write_b32 v22, v26
	ds_write_b32 v23, v27
	s_waitcnt lgkmcnt(0)
	s_barrier
	buffer_gl0_inv
	ds_read_b128 v[26:29], v25
	ds_read2_b32 v[42:43], v24 offset1:16
	ds_read2_b32 v[44:45], v24 offset0:32 offset1:48
	ds_read_b128 v[30:33], v25 offset:256
	ds_read_b128 v[34:37], v25 offset:512
	;; [unrolled: 1-line block ×3, first 2 shown]
	ds_read2_b32 v[46:47], v24 offset0:64 offset1:80
	ds_read2_b32 v[48:49], v24 offset0:96 offset1:112
	;; [unrolled: 1-line block ×6, first 2 shown]
	s_waitcnt lgkmcnt(0)
	s_barrier
	buffer_gl0_inv
	v_fmac_f32_e32 v18, v42, v26
	v_fmac_f32_e32 v21, v43, v26
	v_fmac_f32_e32 v20, v44, v26
	v_fmac_f32_e32 v19, v45, v26
	v_fmac_f32_e32 v17, v42, v30
	v_fmac_f32_e32 v16, v43, v30
	v_fmac_f32_e32 v15, v44, v30
	v_fmac_f32_e32 v14, v45, v30
	v_fmac_f32_e32 v13, v42, v34
	v_fmac_f32_e32 v12, v43, v34
	v_fmac_f32_e32 v11, v44, v34
	v_fmac_f32_e32 v10, v45, v34
	v_fmac_f32_e32 v9, v42, v38
	v_fmac_f32_e32 v8, v43, v38
	v_fmac_f32_e32 v7, v44, v38
	v_fmac_f32_e32 v6, v45, v38
	v_fmac_f32_e32 v18, v46, v27
	v_fmac_f32_e32 v21, v47, v27
	v_fmac_f32_e32 v20, v48, v27
	v_fmac_f32_e32 v19, v49, v27
	v_fmac_f32_e32 v17, v46, v31
	v_fmac_f32_e32 v16, v47, v31
	v_fmac_f32_e32 v15, v48, v31
	v_fmac_f32_e32 v14, v49, v31
	v_fmac_f32_e32 v13, v46, v35
	v_fmac_f32_e32 v12, v47, v35
	v_fmac_f32_e32 v11, v48, v35
	v_fmac_f32_e32 v10, v49, v35
	v_fmac_f32_e32 v9, v46, v39
	v_fmac_f32_e32 v8, v47, v39
	v_fmac_f32_e32 v7, v48, v39
	v_fmac_f32_e32 v6, v49, v39
	v_fmac_f32_e32 v18, v50, v28
	v_fmac_f32_e32 v21, v51, v28
	v_fmac_f32_e32 v20, v52, v28
	v_fmac_f32_e32 v19, v53, v28
	v_fmac_f32_e32 v17, v50, v32
	v_fmac_f32_e32 v16, v51, v32
	v_fmac_f32_e32 v15, v52, v32
	v_fmac_f32_e32 v14, v53, v32
	v_fmac_f32_e32 v13, v50, v36
	v_fmac_f32_e32 v12, v51, v36
	v_fmac_f32_e32 v11, v52, v36
	v_fmac_f32_e32 v10, v53, v36
	v_fmac_f32_e32 v9, v50, v40
	v_fmac_f32_e32 v8, v51, v40
	v_fmac_f32_e32 v7, v52, v40
	v_fmac_f32_e32 v6, v53, v40
	v_fmac_f32_e32 v18, v54, v29
	v_fmac_f32_e32 v21, v55, v29
	v_fmac_f32_e32 v20, v56, v29
	v_fmac_f32_e32 v19, v57, v29
	v_fmac_f32_e32 v17, v54, v33
	v_fmac_f32_e32 v16, v55, v33
	v_fmac_f32_e32 v15, v56, v33
	v_fmac_f32_e32 v14, v57, v33
	v_fmac_f32_e32 v13, v54, v37
	v_fmac_f32_e32 v12, v55, v37
	v_fmac_f32_e32 v11, v56, v37
	v_fmac_f32_e32 v10, v57, v37
	v_fmac_f32_e32 v9, v54, v41
	v_fmac_f32_e32 v8, v55, v41
	v_fmac_f32_e32 v7, v56, v41
	v_fmac_f32_e32 v6, v57, v41
	s_cbranch_vccnz .LBB113_2
.LBB113_3:
	s_load_dword s8, s[4:5], 0x50
	s_lshl_b64 s[10:11], s[2:3], 2
	s_load_dword s2, s[4:5], 0x18
	v_add_co_u32 v2, s4, s30, v1
	v_add_co_ci_u32_e64 v5, null, s31, 0, s4
	v_add_co_u32 v0, s4, s6, v0
	v_add_co_ci_u32_e64 v1, null, s7, 0, s4
	v_mul_lo_u32 v3, v5, s0
	v_mul_lo_u32 v4, v2, s1
	s_waitcnt lgkmcnt(0)
	s_add_u32 s3, s18, s10
	v_lshlrev_b64 v[0:1], 2, v[0:1]
	s_addc_u32 s4, s19, s11
	v_cmp_neq_f32_e64 s5, s8, 0
	s_and_b32 vcc_lo, exec_lo, s5
	s_mov_b32 s5, 0
	s_cbranch_vccnz .LBB113_7
; %bb.4:
	v_mad_u64_u32 v[22:23], null, v2, s0, 0
	s_lshl_b64 s[6:7], s[0:1], 6
	v_mul_f32_e32 v26, s2, v18
	v_mul_f32_e32 v27, s2, v21
	;; [unrolled: 1-line block ×5, first 2 shown]
	v_add3_u32 v23, v23, v4, v3
	v_mul_f32_e32 v31, s2, v16
	v_mul_f32_e32 v32, s2, v15
	;; [unrolled: 1-line block ×3, first 2 shown]
	v_lshlrev_b64 v[22:23], 2, v[22:23]
	v_add_co_u32 v22, vcc_lo, s3, v22
	v_add_co_ci_u32_e64 v23, null, s4, v23, vcc_lo
	v_add_co_u32 v34, vcc_lo, v22, s6
	v_add_co_ci_u32_e64 v35, null, s7, v23, vcc_lo
	;; [unrolled: 2-line block ×4, first 2 shown]
	flat_store_dword v[22:23], v26
	flat_store_dword v[22:23], v27 offset:64
	flat_store_dword v[22:23], v28 offset:128
	;; [unrolled: 1-line block ×3, first 2 shown]
	flat_store_dword v[24:25], v30
	flat_store_dword v[24:25], v31 offset:64
	v_add_co_u32 v26, vcc_lo, v34, s6
	v_add_co_ci_u32_e64 v27, null, s7, v35, vcc_lo
	v_mul_f32_e32 v28, s2, v13
	v_add_co_u32 v22, vcc_lo, v26, v0
	v_add_co_ci_u32_e64 v23, null, v27, v1, vcc_lo
	v_mul_f32_e32 v29, s2, v12
	v_mul_f32_e32 v30, s2, v11
	flat_store_dword v[24:25], v32 offset:128
	flat_store_dword v[24:25], v33 offset:192
	flat_store_dword v[22:23], v28
	flat_store_dword v[22:23], v29 offset:64
	flat_store_dword v[22:23], v30 offset:128
	v_add_co_u32 v24, vcc_lo, v26, s6
	v_add_co_ci_u32_e64 v25, null, s7, v27, vcc_lo
	v_mul_f32_e32 v28, s2, v10
	v_add_co_u32 v24, vcc_lo, v24, v0
	v_mul_f32_e32 v26, s2, v9
	v_add_co_ci_u32_e64 v25, null, v25, v1, vcc_lo
	v_mul_f32_e32 v27, s2, v8
	v_mul_f32_e32 v29, s2, v7
	;; [unrolled: 1-line block ×3, first 2 shown]
	flat_store_dword v[22:23], v28 offset:192
	flat_store_dword v[24:25], v26
	flat_store_dword v[24:25], v27 offset:64
	flat_store_dword v[24:25], v29 offset:128
	;; [unrolled: 1-line block ×3, first 2 shown]
	s_andn2_b32 vcc_lo, exec_lo, s5
	s_cbranch_vccnz .LBB113_6
.LBB113_5:
	v_mul_lo_u32 v5, v5, s14
	v_mul_lo_u32 v24, v2, s15
	v_mad_u64_u32 v[22:23], null, v2, s14, 0
	s_lshl_b64 s[6:7], s[16:17], 2
	s_add_u32 s5, s12, s6
	s_addc_u32 s6, s13, s7
	v_add3_u32 v23, v23, v24, v5
	v_mad_u64_u32 v[24:25], null, v2, s0, 0
	s_lshl_b64 s[0:1], s[0:1], 6
	v_lshlrev_b64 v[22:23], 2, v[22:23]
	v_add3_u32 v25, v25, v4, v3
	v_add_co_u32 v5, vcc_lo, s5, v22
	v_add_co_ci_u32_e64 v26, null, s6, v23, vcc_lo
	v_lshlrev_b64 v[2:3], 2, v[24:25]
	v_add_co_u32 v22, vcc_lo, v5, v0
	v_add_co_ci_u32_e64 v23, null, v26, v1, vcc_lo
	v_add_co_u32 v24, vcc_lo, s3, v2
	flat_load_dword v27, v[22:23]
	v_add_co_ci_u32_e64 v25, null, s4, v3, vcc_lo
	v_add_co_u32 v2, vcc_lo, v24, v0
	s_lshl_b64 s[4:5], s[14:15], 6
	v_add_co_ci_u32_e64 v3, null, v25, v1, vcc_lo
	s_waitcnt vmcnt(0) lgkmcnt(0)
	v_mul_f32_e32 v4, s8, v27
	v_fmac_f32_e32 v4, s2, v18
	flat_store_dword v[2:3], v4
	flat_load_dword v4, v[22:23] offset:64
	s_waitcnt vmcnt(0) lgkmcnt(0)
	v_mul_f32_e32 v4, s8, v4
	v_fmac_f32_e32 v4, s2, v21
	flat_store_dword v[2:3], v4 offset:64
	flat_load_dword v4, v[22:23] offset:128
	s_waitcnt vmcnt(0) lgkmcnt(0)
	v_mul_f32_e32 v4, s8, v4
	v_fmac_f32_e32 v4, s2, v20
	v_add_co_u32 v20, vcc_lo, v5, s4
	v_add_co_ci_u32_e64 v21, null, s5, v26, vcc_lo
	flat_store_dword v[2:3], v4 offset:128
	flat_load_dword v4, v[22:23] offset:192
	s_waitcnt vmcnt(0) lgkmcnt(0)
	v_mul_f32_e32 v18, s8, v4
	v_add_co_u32 v4, vcc_lo, v20, v0
	v_add_co_ci_u32_e64 v5, null, v21, v1, vcc_lo
	v_fmac_f32_e32 v18, s2, v19
	flat_store_dword v[2:3], v18 offset:192
	flat_load_dword v2, v[4:5]
	v_add_co_u32 v18, vcc_lo, v24, s0
	v_add_co_ci_u32_e64 v19, null, s1, v25, vcc_lo
	s_waitcnt vmcnt(0) lgkmcnt(0)
	v_mul_f32_e32 v22, s8, v2
	v_add_co_u32 v2, vcc_lo, v18, v0
	v_add_co_ci_u32_e64 v3, null, v19, v1, vcc_lo
	v_fmac_f32_e32 v22, s2, v17
	flat_store_dword v[2:3], v22
	flat_load_dword v17, v[4:5] offset:64
	s_waitcnt vmcnt(0) lgkmcnt(0)
	v_mul_f32_e32 v17, s8, v17
	v_fmac_f32_e32 v17, s2, v16
	flat_store_dword v[2:3], v17 offset:64
	flat_load_dword v16, v[4:5] offset:128
	s_waitcnt vmcnt(0) lgkmcnt(0)
	v_mul_f32_e32 v16, s8, v16
	v_fmac_f32_e32 v16, s2, v15
	flat_store_dword v[2:3], v16 offset:128
	flat_load_dword v4, v[4:5] offset:192
	v_add_co_u32 v16, vcc_lo, v20, s4
	v_add_co_ci_u32_e64 v17, null, s5, v21, vcc_lo
	s_waitcnt vmcnt(0) lgkmcnt(0)
	v_mul_f32_e32 v15, s8, v4
	v_add_co_u32 v4, vcc_lo, v16, v0
	v_add_co_ci_u32_e64 v5, null, v17, v1, vcc_lo
	v_fmac_f32_e32 v15, s2, v14
	v_add_co_u32 v14, vcc_lo, v18, s0
	flat_store_dword v[2:3], v15 offset:192
	flat_load_dword v2, v[4:5]
	v_add_co_ci_u32_e64 v15, null, s1, v19, vcc_lo
	s_waitcnt vmcnt(0) lgkmcnt(0)
	v_mul_f32_e32 v18, s8, v2
	v_add_co_u32 v2, vcc_lo, v14, v0
	v_add_co_ci_u32_e64 v3, null, v15, v1, vcc_lo
	v_fmac_f32_e32 v18, s2, v13
	flat_store_dword v[2:3], v18
	flat_load_dword v13, v[4:5] offset:64
	s_waitcnt vmcnt(0) lgkmcnt(0)
	v_mul_f32_e32 v13, s8, v13
	v_fmac_f32_e32 v13, s2, v12
	flat_store_dword v[2:3], v13 offset:64
	flat_load_dword v12, v[4:5] offset:128
	s_waitcnt vmcnt(0) lgkmcnt(0)
	v_mul_f32_e32 v12, s8, v12
	v_fmac_f32_e32 v12, s2, v11
	flat_store_dword v[2:3], v12 offset:128
	flat_load_dword v4, v[4:5] offset:192
	s_waitcnt vmcnt(0) lgkmcnt(0)
	v_mul_f32_e32 v11, s8, v4
	v_add_co_u32 v4, vcc_lo, v16, s4
	v_add_co_ci_u32_e64 v5, null, s5, v17, vcc_lo
	v_fmac_f32_e32 v11, s2, v10
	v_add_co_u32 v4, vcc_lo, v4, v0
	v_add_co_ci_u32_e64 v5, null, v5, v1, vcc_lo
	flat_store_dword v[2:3], v11 offset:192
	v_add_co_u32 v3, vcc_lo, v14, s0
	flat_load_dword v2, v[4:5]
	v_add_co_ci_u32_e64 v10, null, s1, v15, vcc_lo
	v_add_co_u32 v0, vcc_lo, v3, v0
	v_add_co_ci_u32_e64 v1, null, v10, v1, vcc_lo
	s_waitcnt vmcnt(0) lgkmcnt(0)
	v_mul_f32_e32 v2, s8, v2
	v_fmac_f32_e32 v2, s2, v9
	flat_store_dword v[0:1], v2
	flat_load_dword v2, v[4:5] offset:64
	s_waitcnt vmcnt(0) lgkmcnt(0)
	v_mul_f32_e32 v2, s8, v2
	v_fmac_f32_e32 v2, s2, v8
	flat_store_dword v[0:1], v2 offset:64
	flat_load_dword v2, v[4:5] offset:128
	s_waitcnt vmcnt(0) lgkmcnt(0)
	v_mul_f32_e32 v2, s8, v2
	v_fmac_f32_e32 v2, s2, v7
	flat_store_dword v[0:1], v2 offset:128
	;; [unrolled: 5-line block ×3, first 2 shown]
.LBB113_6:
	s_endpgm
.LBB113_7:
	s_branch .LBB113_5
	.section	.rodata,"a",@progbits
	.p2align	6, 0x0
	.amdhsa_kernel _ZN12_GLOBAL__N_127rocblas_gemm_batched_kernelIfLi16ELi16ELi64ELi64ELi4ELi64ELi4ELi4ELi64ELc84ELc78EKPKDF16_KPKfKPfEEvlllT_PT11_llSB_llS9_PT12_llPT13_lli
		.amdhsa_group_segment_fixed_size 2048
		.amdhsa_private_segment_fixed_size 0
		.amdhsa_kernarg_size 140
		.amdhsa_user_sgpr_count 6
		.amdhsa_user_sgpr_private_segment_buffer 1
		.amdhsa_user_sgpr_dispatch_ptr 0
		.amdhsa_user_sgpr_queue_ptr 0
		.amdhsa_user_sgpr_kernarg_segment_ptr 1
		.amdhsa_user_sgpr_dispatch_id 0
		.amdhsa_user_sgpr_flat_scratch_init 0
		.amdhsa_user_sgpr_private_segment_size 0
		.amdhsa_wavefront_size32 1
		.amdhsa_uses_dynamic_stack 0
		.amdhsa_system_sgpr_private_segment_wavefront_offset 0
		.amdhsa_system_sgpr_workgroup_id_x 1
		.amdhsa_system_sgpr_workgroup_id_y 1
		.amdhsa_system_sgpr_workgroup_id_z 1
		.amdhsa_system_sgpr_workgroup_info 0
		.amdhsa_system_vgpr_workitem_id 1
		.amdhsa_next_free_vgpr 58
		.amdhsa_next_free_sgpr 36
		.amdhsa_reserve_vcc 1
		.amdhsa_reserve_flat_scratch 0
		.amdhsa_float_round_mode_32 0
		.amdhsa_float_round_mode_16_64 0
		.amdhsa_float_denorm_mode_32 3
		.amdhsa_float_denorm_mode_16_64 3
		.amdhsa_dx10_clamp 1
		.amdhsa_ieee_mode 1
		.amdhsa_fp16_overflow 0
		.amdhsa_workgroup_processor_mode 1
		.amdhsa_memory_ordered 1
		.amdhsa_forward_progress 1
		.amdhsa_shared_vgpr_count 0
		.amdhsa_exception_fp_ieee_invalid_op 0
		.amdhsa_exception_fp_denorm_src 0
		.amdhsa_exception_fp_ieee_div_zero 0
		.amdhsa_exception_fp_ieee_overflow 0
		.amdhsa_exception_fp_ieee_underflow 0
		.amdhsa_exception_fp_ieee_inexact 0
		.amdhsa_exception_int_div_zero 0
	.end_amdhsa_kernel
	.section	.text._ZN12_GLOBAL__N_127rocblas_gemm_batched_kernelIfLi16ELi16ELi64ELi64ELi4ELi64ELi4ELi4ELi64ELc84ELc78EKPKDF16_KPKfKPfEEvlllT_PT11_llSB_llS9_PT12_llPT13_lli,"axG",@progbits,_ZN12_GLOBAL__N_127rocblas_gemm_batched_kernelIfLi16ELi16ELi64ELi64ELi4ELi64ELi4ELi4ELi64ELc84ELc78EKPKDF16_KPKfKPfEEvlllT_PT11_llSB_llS9_PT12_llPT13_lli,comdat
.Lfunc_end113:
	.size	_ZN12_GLOBAL__N_127rocblas_gemm_batched_kernelIfLi16ELi16ELi64ELi64ELi4ELi64ELi4ELi4ELi64ELc84ELc78EKPKDF16_KPKfKPfEEvlllT_PT11_llSB_llS9_PT12_llPT13_lli, .Lfunc_end113-_ZN12_GLOBAL__N_127rocblas_gemm_batched_kernelIfLi16ELi16ELi64ELi64ELi4ELi64ELi4ELi4ELi64ELc84ELc78EKPKDF16_KPKfKPfEEvlllT_PT11_llSB_llS9_PT12_llPT13_lli
                                        ; -- End function
	.set _ZN12_GLOBAL__N_127rocblas_gemm_batched_kernelIfLi16ELi16ELi64ELi64ELi4ELi64ELi4ELi4ELi64ELc84ELc78EKPKDF16_KPKfKPfEEvlllT_PT11_llSB_llS9_PT12_llPT13_lli.num_vgpr, 58
	.set _ZN12_GLOBAL__N_127rocblas_gemm_batched_kernelIfLi16ELi16ELi64ELi64ELi4ELi64ELi4ELi4ELi64ELc84ELc78EKPKDF16_KPKfKPfEEvlllT_PT11_llSB_llS9_PT12_llPT13_lli.num_agpr, 0
	.set _ZN12_GLOBAL__N_127rocblas_gemm_batched_kernelIfLi16ELi16ELi64ELi64ELi4ELi64ELi4ELi4ELi64ELc84ELc78EKPKDF16_KPKfKPfEEvlllT_PT11_llSB_llS9_PT12_llPT13_lli.numbered_sgpr, 36
	.set _ZN12_GLOBAL__N_127rocblas_gemm_batched_kernelIfLi16ELi16ELi64ELi64ELi4ELi64ELi4ELi4ELi64ELc84ELc78EKPKDF16_KPKfKPfEEvlllT_PT11_llSB_llS9_PT12_llPT13_lli.num_named_barrier, 0
	.set _ZN12_GLOBAL__N_127rocblas_gemm_batched_kernelIfLi16ELi16ELi64ELi64ELi4ELi64ELi4ELi4ELi64ELc84ELc78EKPKDF16_KPKfKPfEEvlllT_PT11_llSB_llS9_PT12_llPT13_lli.private_seg_size, 0
	.set _ZN12_GLOBAL__N_127rocblas_gemm_batched_kernelIfLi16ELi16ELi64ELi64ELi4ELi64ELi4ELi4ELi64ELc84ELc78EKPKDF16_KPKfKPfEEvlllT_PT11_llSB_llS9_PT12_llPT13_lli.uses_vcc, 1
	.set _ZN12_GLOBAL__N_127rocblas_gemm_batched_kernelIfLi16ELi16ELi64ELi64ELi4ELi64ELi4ELi4ELi64ELc84ELc78EKPKDF16_KPKfKPfEEvlllT_PT11_llSB_llS9_PT12_llPT13_lli.uses_flat_scratch, 0
	.set _ZN12_GLOBAL__N_127rocblas_gemm_batched_kernelIfLi16ELi16ELi64ELi64ELi4ELi64ELi4ELi4ELi64ELc84ELc78EKPKDF16_KPKfKPfEEvlllT_PT11_llSB_llS9_PT12_llPT13_lli.has_dyn_sized_stack, 0
	.set _ZN12_GLOBAL__N_127rocblas_gemm_batched_kernelIfLi16ELi16ELi64ELi64ELi4ELi64ELi4ELi4ELi64ELc84ELc78EKPKDF16_KPKfKPfEEvlllT_PT11_llSB_llS9_PT12_llPT13_lli.has_recursion, 0
	.set _ZN12_GLOBAL__N_127rocblas_gemm_batched_kernelIfLi16ELi16ELi64ELi64ELi4ELi64ELi4ELi4ELi64ELc84ELc78EKPKDF16_KPKfKPfEEvlllT_PT11_llSB_llS9_PT12_llPT13_lli.has_indirect_call, 0
	.section	.AMDGPU.csdata,"",@progbits
; Kernel info:
; codeLenInByte = 2340
; TotalNumSgprs: 38
; NumVgprs: 58
; ScratchSize: 0
; MemoryBound: 0
; FloatMode: 240
; IeeeMode: 1
; LDSByteSize: 2048 bytes/workgroup (compile time only)
; SGPRBlocks: 0
; VGPRBlocks: 7
; NumSGPRsForWavesPerEU: 38
; NumVGPRsForWavesPerEU: 58
; Occupancy: 16
; WaveLimiterHint : 1
; COMPUTE_PGM_RSRC2:SCRATCH_EN: 0
; COMPUTE_PGM_RSRC2:USER_SGPR: 6
; COMPUTE_PGM_RSRC2:TRAP_HANDLER: 0
; COMPUTE_PGM_RSRC2:TGID_X_EN: 1
; COMPUTE_PGM_RSRC2:TGID_Y_EN: 1
; COMPUTE_PGM_RSRC2:TGID_Z_EN: 1
; COMPUTE_PGM_RSRC2:TIDIG_COMP_CNT: 1
	.section	.text._ZN12_GLOBAL__N_127rocblas_gemm_batched_kernelIfLi16ELi16ELi64ELi64ELi4ELi64ELi4ELi4ELi64ELc78ELc84EKPKDF16_KPKfKPfEEvlllT_PT11_llSB_llS9_PT12_llPT13_lli,"axG",@progbits,_ZN12_GLOBAL__N_127rocblas_gemm_batched_kernelIfLi16ELi16ELi64ELi64ELi4ELi64ELi4ELi4ELi64ELc78ELc84EKPKDF16_KPKfKPfEEvlllT_PT11_llSB_llS9_PT12_llPT13_lli,comdat
	.globl	_ZN12_GLOBAL__N_127rocblas_gemm_batched_kernelIfLi16ELi16ELi64ELi64ELi4ELi64ELi4ELi4ELi64ELc78ELc84EKPKDF16_KPKfKPfEEvlllT_PT11_llSB_llS9_PT12_llPT13_lli ; -- Begin function _ZN12_GLOBAL__N_127rocblas_gemm_batched_kernelIfLi16ELi16ELi64ELi64ELi4ELi64ELi4ELi4ELi64ELc78ELc84EKPKDF16_KPKfKPfEEvlllT_PT11_llSB_llS9_PT12_llPT13_lli
	.p2align	8
	.type	_ZN12_GLOBAL__N_127rocblas_gemm_batched_kernelIfLi16ELi16ELi64ELi64ELi4ELi64ELi4ELi4ELi64ELc78ELc84EKPKDF16_KPKfKPfEEvlllT_PT11_llSB_llS9_PT12_llPT13_lli,@function
_ZN12_GLOBAL__N_127rocblas_gemm_batched_kernelIfLi16ELi16ELi64ELi64ELi4ELi64ELi4ELi4ELi64ELc78ELc84EKPKDF16_KPKfKPfEEvlllT_PT11_llSB_llS9_PT12_llPT13_lli: ; @_ZN12_GLOBAL__N_127rocblas_gemm_batched_kernelIfLi16ELi16ELi64ELi64ELi4ELi64ELi4ELi4ELi64ELc78ELc84EKPKDF16_KPKfKPfEEvlllT_PT11_llSB_llS9_PT12_llPT13_lli
; %bb.0:
	s_clause 0x1
	s_load_dwordx8 s[12:19], s[4:5], 0x58
	s_load_dwordx2 s[28:29], s[4:5], 0x10
	s_mov_b32 s9, 0
	s_load_dwordx4 s[0:3], s[4:5], 0x78
	s_lshl_b64 s[34:35], s[8:9], 3
	s_mov_b32 s10, s7
	v_mov_b32_e32 v18, 0
	v_mov_b32_e32 v21, 0
	;; [unrolled: 1-line block ×14, first 2 shown]
	s_waitcnt lgkmcnt(0)
	s_add_u32 s8, s12, s34
	s_addc_u32 s9, s13, s35
	s_add_u32 s18, s18, s34
	s_addc_u32 s19, s19, s35
	s_load_dwordx2 s[12:13], s[8:9], 0x0
	s_load_dwordx2 s[18:19], s[18:19], 0x0
	v_cmp_lt_i64_e64 s20, s[28:29], 1
	v_mov_b32_e32 v2, 0
	v_mov_b32_e32 v3, 0
	s_ashr_i32 s7, s6, 31
	s_ashr_i32 s11, s10, 31
	s_lshl_b64 s[6:7], s[6:7], 6
	s_and_b32 vcc_lo, exec_lo, s20
	s_lshl_b64 s[30:31], s[10:11], 6
	s_cbranch_vccnz .LBB114_3
; %bb.1:
	s_clause 0x1
	s_load_dwordx8 s[20:27], s[4:5], 0x20
	s_load_dwordx4 s[8:11], s[4:5], 0x40
	v_lshlrev_b32_e32 v8, 4, v1
	v_and_b32_e32 v9, 3, v0
	v_mov_b32_e32 v3, 0
	v_lshlrev_b32_e32 v22, 2, v0
	v_add_nc_u32_e32 v4, v8, v0
	v_lshlrev_b32_e32 v11, 2, v9
	v_add_nc_u32_e32 v23, 0x400, v8
	v_mov_b32_e32 v14, v3
	v_mov_b32_e32 v15, v3
	v_lshrrev_b32_e32 v2, 2, v4
	v_lshrrev_b32_e32 v12, 6, v4
	v_and_b32_e32 v10, 63, v4
	v_mov_b32_e32 v16, v3
	v_mov_b32_e32 v17, v3
	v_lshl_or_b32 v11, v2, 4, v11
	v_mov_b32_e32 v19, v3
	v_lshlrev_b32_e32 v13, 2, v10
	s_waitcnt lgkmcnt(0)
	v_mad_u64_u32 v[6:7], null, s22, v12, s[6:7]
	v_mad_u64_u32 v[4:5], null, s8, v9, v[2:3]
	s_add_u32 s20, s20, s34
	s_addc_u32 s21, s21, s35
	s_add_u32 s26, s26, s34
	s_addc_u32 s27, s27, s35
	s_load_dwordx2 s[20:21], s[20:21], 0x0
	s_load_dwordx2 s[26:27], s[26:27], 0x0
	v_mov_b32_e32 v2, v5
	v_mov_b32_e32 v5, v7
	v_add_co_u32 v4, vcc_lo, v4, s30
	s_lshl_b64 s[10:11], s[10:11], 1
	v_mad_u64_u32 v[7:8], null, s9, v9, v[2:3]
	v_mad_u64_u32 v[8:9], null, s23, v12, v[5:6]
	v_lshl_or_b32 v24, v12, 8, v13
	v_add_nc_u32_e32 v25, 0x400, v11
	v_mov_b32_e32 v2, v3
	v_mov_b32_e32 v9, v3
	v_add_co_ci_u32_e64 v5, null, s31, v7, vcc_lo
	v_add_co_u32 v6, vcc_lo, v6, v10
	v_add_co_ci_u32_e64 v7, null, 0, v8, vcc_lo
	v_lshlrev_b64 v[4:5], 1, v[4:5]
	s_waitcnt lgkmcnt(0)
	s_add_u32 s26, s26, s10
	s_addc_u32 s27, s27, s11
	v_lshlrev_b64 v[6:7], 1, v[6:7]
	s_lshl_b64 s[10:11], s[24:25], 1
	s_lshl_b64 s[8:9], s[8:9], 3
	s_add_u32 s10, s20, s10
	v_add_co_u32 v4, vcc_lo, s26, v4
	s_addc_u32 s11, s21, s11
	v_add_co_ci_u32_e64 v5, null, s27, v5, vcc_lo
	v_add_co_u32 v6, vcc_lo, s10, v6
	v_add_co_ci_u32_e64 v7, null, s11, v7, vcc_lo
	v_mov_b32_e32 v8, v3
	v_mov_b32_e32 v10, v3
	;; [unrolled: 1-line block ×8, first 2 shown]
	s_lshl_b64 s[10:11], s[22:23], 3
	s_mov_b64 s[20:21], 0
.LBB114_2:                              ; =>This Inner Loop Header: Depth=1
	flat_load_ushort v26, v[6:7]
	flat_load_ushort v27, v[4:5]
	s_add_u32 s20, s20, 4
	s_addc_u32 s21, s21, 0
	v_add_co_u32 v4, vcc_lo, v4, s8
	v_cmp_lt_i64_e64 s22, s[20:21], s[28:29]
	v_add_co_ci_u32_e64 v5, null, s9, v5, vcc_lo
	v_add_co_u32 v6, vcc_lo, v6, s10
	v_add_co_ci_u32_e64 v7, null, s11, v7, vcc_lo
	s_and_b32 vcc_lo, exec_lo, s22
	s_waitcnt vmcnt(1) lgkmcnt(1)
	v_cvt_f32_f16_e32 v26, v26
	s_waitcnt vmcnt(0) lgkmcnt(0)
	v_cvt_f32_f16_e32 v27, v27
	ds_write_b32 v24, v26
	ds_write_b32 v25, v27
	s_waitcnt lgkmcnt(0)
	s_barrier
	buffer_gl0_inv
	ds_read_b128 v[26:29], v23
	ds_read2_b32 v[42:43], v22 offset1:16
	ds_read2_b32 v[44:45], v22 offset0:32 offset1:48
	ds_read_b128 v[30:33], v23 offset:256
	ds_read_b128 v[34:37], v23 offset:512
	;; [unrolled: 1-line block ×3, first 2 shown]
	ds_read2_b32 v[46:47], v22 offset0:64 offset1:80
	ds_read2_b32 v[48:49], v22 offset0:96 offset1:112
	;; [unrolled: 1-line block ×6, first 2 shown]
	s_waitcnt lgkmcnt(0)
	s_barrier
	buffer_gl0_inv
	v_fmac_f32_e32 v18, v42, v26
	v_fmac_f32_e32 v21, v43, v26
	;; [unrolled: 1-line block ×64, first 2 shown]
	s_cbranch_vccnz .LBB114_2
.LBB114_3:
	s_load_dword s8, s[4:5], 0x50
	s_lshl_b64 s[10:11], s[2:3], 2
	s_load_dword s2, s[4:5], 0x18
	v_add_co_u32 v4, s4, s30, v1
	v_add_co_ci_u32_e64 v7, null, s31, 0, s4
	v_add_co_u32 v0, s4, s6, v0
	v_add_co_ci_u32_e64 v1, null, s7, 0, s4
	v_mul_lo_u32 v5, v7, s0
	v_mul_lo_u32 v6, v4, s1
	s_waitcnt lgkmcnt(0)
	s_add_u32 s3, s18, s10
	v_lshlrev_b64 v[0:1], 2, v[0:1]
	s_addc_u32 s4, s19, s11
	v_cmp_neq_f32_e64 s5, s8, 0
	s_and_b32 vcc_lo, exec_lo, s5
	s_mov_b32 s5, 0
	s_cbranch_vccnz .LBB114_7
; %bb.4:
	v_mad_u64_u32 v[22:23], null, v4, s0, 0
	s_lshl_b64 s[6:7], s[0:1], 6
	v_mul_f32_e32 v26, s2, v18
	v_mul_f32_e32 v27, s2, v21
	;; [unrolled: 1-line block ×5, first 2 shown]
	v_add3_u32 v23, v23, v6, v5
	v_mul_f32_e32 v31, s2, v16
	v_mul_f32_e32 v32, s2, v15
	;; [unrolled: 1-line block ×3, first 2 shown]
	v_lshlrev_b64 v[22:23], 2, v[22:23]
	v_add_co_u32 v22, vcc_lo, s3, v22
	v_add_co_ci_u32_e64 v23, null, s4, v23, vcc_lo
	v_add_co_u32 v34, vcc_lo, v22, s6
	v_add_co_ci_u32_e64 v35, null, s7, v23, vcc_lo
	;; [unrolled: 2-line block ×4, first 2 shown]
	flat_store_dword v[22:23], v26
	flat_store_dword v[22:23], v27 offset:64
	flat_store_dword v[22:23], v28 offset:128
	;; [unrolled: 1-line block ×3, first 2 shown]
	flat_store_dword v[24:25], v30
	flat_store_dword v[24:25], v31 offset:64
	v_add_co_u32 v26, vcc_lo, v34, s6
	v_add_co_ci_u32_e64 v27, null, s7, v35, vcc_lo
	v_mul_f32_e32 v28, s2, v13
	v_add_co_u32 v22, vcc_lo, v26, v0
	v_add_co_ci_u32_e64 v23, null, v27, v1, vcc_lo
	v_mul_f32_e32 v29, s2, v12
	v_mul_f32_e32 v30, s2, v11
	flat_store_dword v[24:25], v32 offset:128
	flat_store_dword v[24:25], v33 offset:192
	flat_store_dword v[22:23], v28
	flat_store_dword v[22:23], v29 offset:64
	flat_store_dword v[22:23], v30 offset:128
	v_add_co_u32 v24, vcc_lo, v26, s6
	v_add_co_ci_u32_e64 v25, null, s7, v27, vcc_lo
	v_mul_f32_e32 v28, s2, v10
	v_add_co_u32 v24, vcc_lo, v24, v0
	v_mul_f32_e32 v26, s2, v9
	v_add_co_ci_u32_e64 v25, null, v25, v1, vcc_lo
	v_mul_f32_e32 v27, s2, v8
	v_mul_f32_e32 v29, s2, v2
	;; [unrolled: 1-line block ×3, first 2 shown]
	flat_store_dword v[22:23], v28 offset:192
	flat_store_dword v[24:25], v26
	flat_store_dword v[24:25], v27 offset:64
	flat_store_dword v[24:25], v29 offset:128
	;; [unrolled: 1-line block ×3, first 2 shown]
	s_andn2_b32 vcc_lo, exec_lo, s5
	s_cbranch_vccnz .LBB114_6
.LBB114_5:
	v_mul_lo_u32 v7, v7, s14
	v_mul_lo_u32 v24, v4, s15
	v_mad_u64_u32 v[22:23], null, v4, s14, 0
	s_lshl_b64 s[6:7], s[16:17], 2
	s_add_u32 s5, s12, s6
	s_addc_u32 s6, s13, s7
	v_add3_u32 v23, v23, v24, v7
	v_mad_u64_u32 v[24:25], null, v4, s0, 0
	s_lshl_b64 s[0:1], s[0:1], 6
	v_lshlrev_b64 v[22:23], 2, v[22:23]
	v_add3_u32 v25, v25, v6, v5
	v_add_co_u32 v7, vcc_lo, s5, v22
	v_add_co_ci_u32_e64 v26, null, s6, v23, vcc_lo
	v_lshlrev_b64 v[4:5], 2, v[24:25]
	v_add_co_u32 v22, vcc_lo, v7, v0
	v_add_co_ci_u32_e64 v23, null, v26, v1, vcc_lo
	v_add_co_u32 v24, vcc_lo, s3, v4
	flat_load_dword v27, v[22:23]
	v_add_co_ci_u32_e64 v25, null, s4, v5, vcc_lo
	v_add_co_u32 v4, vcc_lo, v24, v0
	s_lshl_b64 s[4:5], s[14:15], 6
	v_add_co_ci_u32_e64 v5, null, v25, v1, vcc_lo
	s_waitcnt vmcnt(0) lgkmcnt(0)
	v_mul_f32_e32 v6, s8, v27
	v_fmac_f32_e32 v6, s2, v18
	flat_store_dword v[4:5], v6
	flat_load_dword v6, v[22:23] offset:64
	s_waitcnt vmcnt(0) lgkmcnt(0)
	v_mul_f32_e32 v6, s8, v6
	v_fmac_f32_e32 v6, s2, v21
	flat_store_dword v[4:5], v6 offset:64
	flat_load_dword v6, v[22:23] offset:128
	s_waitcnt vmcnt(0) lgkmcnt(0)
	v_mul_f32_e32 v6, s8, v6
	v_fmac_f32_e32 v6, s2, v20
	v_add_co_u32 v20, vcc_lo, v7, s4
	v_add_co_ci_u32_e64 v21, null, s5, v26, vcc_lo
	flat_store_dword v[4:5], v6 offset:128
	flat_load_dword v6, v[22:23] offset:192
	s_waitcnt vmcnt(0) lgkmcnt(0)
	v_mul_f32_e32 v18, s8, v6
	v_add_co_u32 v6, vcc_lo, v20, v0
	v_add_co_ci_u32_e64 v7, null, v21, v1, vcc_lo
	v_fmac_f32_e32 v18, s2, v19
	flat_store_dword v[4:5], v18 offset:192
	flat_load_dword v4, v[6:7]
	v_add_co_u32 v18, vcc_lo, v24, s0
	v_add_co_ci_u32_e64 v19, null, s1, v25, vcc_lo
	s_waitcnt vmcnt(0) lgkmcnt(0)
	v_mul_f32_e32 v22, s8, v4
	v_add_co_u32 v4, vcc_lo, v18, v0
	v_add_co_ci_u32_e64 v5, null, v19, v1, vcc_lo
	v_fmac_f32_e32 v22, s2, v17
	flat_store_dword v[4:5], v22
	flat_load_dword v17, v[6:7] offset:64
	s_waitcnt vmcnt(0) lgkmcnt(0)
	v_mul_f32_e32 v17, s8, v17
	v_fmac_f32_e32 v17, s2, v16
	flat_store_dword v[4:5], v17 offset:64
	flat_load_dword v16, v[6:7] offset:128
	s_waitcnt vmcnt(0) lgkmcnt(0)
	v_mul_f32_e32 v16, s8, v16
	v_fmac_f32_e32 v16, s2, v15
	flat_store_dword v[4:5], v16 offset:128
	flat_load_dword v6, v[6:7] offset:192
	v_add_co_u32 v16, vcc_lo, v20, s4
	v_add_co_ci_u32_e64 v17, null, s5, v21, vcc_lo
	s_waitcnt vmcnt(0) lgkmcnt(0)
	v_mul_f32_e32 v15, s8, v6
	v_add_co_u32 v6, vcc_lo, v16, v0
	v_add_co_ci_u32_e64 v7, null, v17, v1, vcc_lo
	v_fmac_f32_e32 v15, s2, v14
	v_add_co_u32 v14, vcc_lo, v18, s0
	flat_store_dword v[4:5], v15 offset:192
	flat_load_dword v4, v[6:7]
	v_add_co_ci_u32_e64 v15, null, s1, v19, vcc_lo
	s_waitcnt vmcnt(0) lgkmcnt(0)
	v_mul_f32_e32 v18, s8, v4
	v_add_co_u32 v4, vcc_lo, v14, v0
	v_add_co_ci_u32_e64 v5, null, v15, v1, vcc_lo
	v_fmac_f32_e32 v18, s2, v13
	flat_store_dword v[4:5], v18
	flat_load_dword v13, v[6:7] offset:64
	s_waitcnt vmcnt(0) lgkmcnt(0)
	v_mul_f32_e32 v13, s8, v13
	v_fmac_f32_e32 v13, s2, v12
	flat_store_dword v[4:5], v13 offset:64
	flat_load_dword v12, v[6:7] offset:128
	s_waitcnt vmcnt(0) lgkmcnt(0)
	v_mul_f32_e32 v12, s8, v12
	v_fmac_f32_e32 v12, s2, v11
	flat_store_dword v[4:5], v12 offset:128
	flat_load_dword v6, v[6:7] offset:192
	s_waitcnt vmcnt(0) lgkmcnt(0)
	v_mul_f32_e32 v11, s8, v6
	v_add_co_u32 v6, vcc_lo, v16, s4
	v_add_co_ci_u32_e64 v7, null, s5, v17, vcc_lo
	v_fmac_f32_e32 v11, s2, v10
	v_add_co_u32 v6, vcc_lo, v6, v0
	v_add_co_ci_u32_e64 v7, null, v7, v1, vcc_lo
	flat_store_dword v[4:5], v11 offset:192
	v_add_co_u32 v5, vcc_lo, v14, s0
	flat_load_dword v4, v[6:7]
	v_add_co_ci_u32_e64 v10, null, s1, v15, vcc_lo
	v_add_co_u32 v0, vcc_lo, v5, v0
	v_add_co_ci_u32_e64 v1, null, v10, v1, vcc_lo
	s_waitcnt vmcnt(0) lgkmcnt(0)
	v_mul_f32_e32 v4, s8, v4
	v_fmac_f32_e32 v4, s2, v9
	flat_store_dword v[0:1], v4
	flat_load_dword v4, v[6:7] offset:64
	s_waitcnt vmcnt(0) lgkmcnt(0)
	v_mul_f32_e32 v4, s8, v4
	v_fmac_f32_e32 v4, s2, v8
	flat_store_dword v[0:1], v4 offset:64
	flat_load_dword v4, v[6:7] offset:128
	s_waitcnt vmcnt(0) lgkmcnt(0)
	v_mul_f32_e32 v4, s8, v4
	v_fmac_f32_e32 v4, s2, v2
	flat_store_dword v[0:1], v4 offset:128
	;; [unrolled: 5-line block ×3, first 2 shown]
.LBB114_6:
	s_endpgm
.LBB114_7:
	s_branch .LBB114_5
	.section	.rodata,"a",@progbits
	.p2align	6, 0x0
	.amdhsa_kernel _ZN12_GLOBAL__N_127rocblas_gemm_batched_kernelIfLi16ELi16ELi64ELi64ELi4ELi64ELi4ELi4ELi64ELc78ELc84EKPKDF16_KPKfKPfEEvlllT_PT11_llSB_llS9_PT12_llPT13_lli
		.amdhsa_group_segment_fixed_size 2048
		.amdhsa_private_segment_fixed_size 0
		.amdhsa_kernarg_size 140
		.amdhsa_user_sgpr_count 6
		.amdhsa_user_sgpr_private_segment_buffer 1
		.amdhsa_user_sgpr_dispatch_ptr 0
		.amdhsa_user_sgpr_queue_ptr 0
		.amdhsa_user_sgpr_kernarg_segment_ptr 1
		.amdhsa_user_sgpr_dispatch_id 0
		.amdhsa_user_sgpr_flat_scratch_init 0
		.amdhsa_user_sgpr_private_segment_size 0
		.amdhsa_wavefront_size32 1
		.amdhsa_uses_dynamic_stack 0
		.amdhsa_system_sgpr_private_segment_wavefront_offset 0
		.amdhsa_system_sgpr_workgroup_id_x 1
		.amdhsa_system_sgpr_workgroup_id_y 1
		.amdhsa_system_sgpr_workgroup_id_z 1
		.amdhsa_system_sgpr_workgroup_info 0
		.amdhsa_system_vgpr_workitem_id 1
		.amdhsa_next_free_vgpr 58
		.amdhsa_next_free_sgpr 36
		.amdhsa_reserve_vcc 1
		.amdhsa_reserve_flat_scratch 0
		.amdhsa_float_round_mode_32 0
		.amdhsa_float_round_mode_16_64 0
		.amdhsa_float_denorm_mode_32 3
		.amdhsa_float_denorm_mode_16_64 3
		.amdhsa_dx10_clamp 1
		.amdhsa_ieee_mode 1
		.amdhsa_fp16_overflow 0
		.amdhsa_workgroup_processor_mode 1
		.amdhsa_memory_ordered 1
		.amdhsa_forward_progress 1
		.amdhsa_shared_vgpr_count 0
		.amdhsa_exception_fp_ieee_invalid_op 0
		.amdhsa_exception_fp_denorm_src 0
		.amdhsa_exception_fp_ieee_div_zero 0
		.amdhsa_exception_fp_ieee_overflow 0
		.amdhsa_exception_fp_ieee_underflow 0
		.amdhsa_exception_fp_ieee_inexact 0
		.amdhsa_exception_int_div_zero 0
	.end_amdhsa_kernel
	.section	.text._ZN12_GLOBAL__N_127rocblas_gemm_batched_kernelIfLi16ELi16ELi64ELi64ELi4ELi64ELi4ELi4ELi64ELc78ELc84EKPKDF16_KPKfKPfEEvlllT_PT11_llSB_llS9_PT12_llPT13_lli,"axG",@progbits,_ZN12_GLOBAL__N_127rocblas_gemm_batched_kernelIfLi16ELi16ELi64ELi64ELi4ELi64ELi4ELi4ELi64ELc78ELc84EKPKDF16_KPKfKPfEEvlllT_PT11_llSB_llS9_PT12_llPT13_lli,comdat
.Lfunc_end114:
	.size	_ZN12_GLOBAL__N_127rocblas_gemm_batched_kernelIfLi16ELi16ELi64ELi64ELi4ELi64ELi4ELi4ELi64ELc78ELc84EKPKDF16_KPKfKPfEEvlllT_PT11_llSB_llS9_PT12_llPT13_lli, .Lfunc_end114-_ZN12_GLOBAL__N_127rocblas_gemm_batched_kernelIfLi16ELi16ELi64ELi64ELi4ELi64ELi4ELi4ELi64ELc78ELc84EKPKDF16_KPKfKPfEEvlllT_PT11_llSB_llS9_PT12_llPT13_lli
                                        ; -- End function
	.set _ZN12_GLOBAL__N_127rocblas_gemm_batched_kernelIfLi16ELi16ELi64ELi64ELi4ELi64ELi4ELi4ELi64ELc78ELc84EKPKDF16_KPKfKPfEEvlllT_PT11_llSB_llS9_PT12_llPT13_lli.num_vgpr, 58
	.set _ZN12_GLOBAL__N_127rocblas_gemm_batched_kernelIfLi16ELi16ELi64ELi64ELi4ELi64ELi4ELi4ELi64ELc78ELc84EKPKDF16_KPKfKPfEEvlllT_PT11_llSB_llS9_PT12_llPT13_lli.num_agpr, 0
	.set _ZN12_GLOBAL__N_127rocblas_gemm_batched_kernelIfLi16ELi16ELi64ELi64ELi4ELi64ELi4ELi4ELi64ELc78ELc84EKPKDF16_KPKfKPfEEvlllT_PT11_llSB_llS9_PT12_llPT13_lli.numbered_sgpr, 36
	.set _ZN12_GLOBAL__N_127rocblas_gemm_batched_kernelIfLi16ELi16ELi64ELi64ELi4ELi64ELi4ELi4ELi64ELc78ELc84EKPKDF16_KPKfKPfEEvlllT_PT11_llSB_llS9_PT12_llPT13_lli.num_named_barrier, 0
	.set _ZN12_GLOBAL__N_127rocblas_gemm_batched_kernelIfLi16ELi16ELi64ELi64ELi4ELi64ELi4ELi4ELi64ELc78ELc84EKPKDF16_KPKfKPfEEvlllT_PT11_llSB_llS9_PT12_llPT13_lli.private_seg_size, 0
	.set _ZN12_GLOBAL__N_127rocblas_gemm_batched_kernelIfLi16ELi16ELi64ELi64ELi4ELi64ELi4ELi4ELi64ELc78ELc84EKPKDF16_KPKfKPfEEvlllT_PT11_llSB_llS9_PT12_llPT13_lli.uses_vcc, 1
	.set _ZN12_GLOBAL__N_127rocblas_gemm_batched_kernelIfLi16ELi16ELi64ELi64ELi4ELi64ELi4ELi4ELi64ELc78ELc84EKPKDF16_KPKfKPfEEvlllT_PT11_llSB_llS9_PT12_llPT13_lli.uses_flat_scratch, 0
	.set _ZN12_GLOBAL__N_127rocblas_gemm_batched_kernelIfLi16ELi16ELi64ELi64ELi4ELi64ELi4ELi4ELi64ELc78ELc84EKPKDF16_KPKfKPfEEvlllT_PT11_llSB_llS9_PT12_llPT13_lli.has_dyn_sized_stack, 0
	.set _ZN12_GLOBAL__N_127rocblas_gemm_batched_kernelIfLi16ELi16ELi64ELi64ELi4ELi64ELi4ELi4ELi64ELc78ELc84EKPKDF16_KPKfKPfEEvlllT_PT11_llSB_llS9_PT12_llPT13_lli.has_recursion, 0
	.set _ZN12_GLOBAL__N_127rocblas_gemm_batched_kernelIfLi16ELi16ELi64ELi64ELi4ELi64ELi4ELi4ELi64ELc78ELc84EKPKDF16_KPKfKPfEEvlllT_PT11_llSB_llS9_PT12_llPT13_lli.has_indirect_call, 0
	.section	.AMDGPU.csdata,"",@progbits
; Kernel info:
; codeLenInByte = 2268
; TotalNumSgprs: 38
; NumVgprs: 58
; ScratchSize: 0
; MemoryBound: 0
; FloatMode: 240
; IeeeMode: 1
; LDSByteSize: 2048 bytes/workgroup (compile time only)
; SGPRBlocks: 0
; VGPRBlocks: 7
; NumSGPRsForWavesPerEU: 38
; NumVGPRsForWavesPerEU: 58
; Occupancy: 16
; WaveLimiterHint : 1
; COMPUTE_PGM_RSRC2:SCRATCH_EN: 0
; COMPUTE_PGM_RSRC2:USER_SGPR: 6
; COMPUTE_PGM_RSRC2:TRAP_HANDLER: 0
; COMPUTE_PGM_RSRC2:TGID_X_EN: 1
; COMPUTE_PGM_RSRC2:TGID_Y_EN: 1
; COMPUTE_PGM_RSRC2:TGID_Z_EN: 1
; COMPUTE_PGM_RSRC2:TIDIG_COMP_CNT: 1
	.section	.text._ZN12_GLOBAL__N_127rocblas_gemm_batched_kernelIfLi16ELi16ELi64ELi64ELi4ELi64ELi4ELi4ELi64ELc84ELc84EKPKDF16_KPKfKPfEEvlllT_PT11_llSB_llS9_PT12_llPT13_lli,"axG",@progbits,_ZN12_GLOBAL__N_127rocblas_gemm_batched_kernelIfLi16ELi16ELi64ELi64ELi4ELi64ELi4ELi4ELi64ELc84ELc84EKPKDF16_KPKfKPfEEvlllT_PT11_llSB_llS9_PT12_llPT13_lli,comdat
	.globl	_ZN12_GLOBAL__N_127rocblas_gemm_batched_kernelIfLi16ELi16ELi64ELi64ELi4ELi64ELi4ELi4ELi64ELc84ELc84EKPKDF16_KPKfKPfEEvlllT_PT11_llSB_llS9_PT12_llPT13_lli ; -- Begin function _ZN12_GLOBAL__N_127rocblas_gemm_batched_kernelIfLi16ELi16ELi64ELi64ELi4ELi64ELi4ELi4ELi64ELc84ELc84EKPKDF16_KPKfKPfEEvlllT_PT11_llSB_llS9_PT12_llPT13_lli
	.p2align	8
	.type	_ZN12_GLOBAL__N_127rocblas_gemm_batched_kernelIfLi16ELi16ELi64ELi64ELi4ELi64ELi4ELi4ELi64ELc84ELc84EKPKDF16_KPKfKPfEEvlllT_PT11_llSB_llS9_PT12_llPT13_lli,@function
_ZN12_GLOBAL__N_127rocblas_gemm_batched_kernelIfLi16ELi16ELi64ELi64ELi4ELi64ELi4ELi4ELi64ELc84ELc84EKPKDF16_KPKfKPfEEvlllT_PT11_llSB_llS9_PT12_llPT13_lli: ; @_ZN12_GLOBAL__N_127rocblas_gemm_batched_kernelIfLi16ELi16ELi64ELi64ELi4ELi64ELi4ELi4ELi64ELc84ELc84EKPKDF16_KPKfKPfEEvlllT_PT11_llSB_llS9_PT12_llPT13_lli
; %bb.0:
	s_clause 0x1
	s_load_dwordx8 s[12:19], s[4:5], 0x58
	s_load_dwordx2 s[28:29], s[4:5], 0x10
	s_mov_b32 s9, 0
	s_load_dwordx4 s[0:3], s[4:5], 0x78
	s_lshl_b64 s[34:35], s[8:9], 3
	s_mov_b32 s10, s7
	v_mov_b32_e32 v18, 0
	v_mov_b32_e32 v21, 0
	;; [unrolled: 1-line block ×14, first 2 shown]
	s_waitcnt lgkmcnt(0)
	s_add_u32 s8, s12, s34
	s_addc_u32 s9, s13, s35
	s_add_u32 s18, s18, s34
	s_addc_u32 s19, s19, s35
	s_load_dwordx2 s[12:13], s[8:9], 0x0
	s_load_dwordx2 s[18:19], s[18:19], 0x0
	v_cmp_lt_i64_e64 s20, s[28:29], 1
	v_mov_b32_e32 v2, 0
	v_mov_b32_e32 v3, 0
	s_ashr_i32 s7, s6, 31
	s_ashr_i32 s11, s10, 31
	s_lshl_b64 s[6:7], s[6:7], 6
	s_and_b32 vcc_lo, exec_lo, s20
	s_lshl_b64 s[30:31], s[10:11], 6
	s_cbranch_vccnz .LBB115_3
; %bb.1:
	s_clause 0x1
	s_load_dwordx8 s[20:27], s[4:5], 0x20
	s_load_dwordx4 s[8:11], s[4:5], 0x40
	v_lshlrev_b32_e32 v8, 4, v1
	v_and_b32_e32 v10, 3, v0
	v_mov_b32_e32 v3, 0
	v_lshlrev_b32_e32 v22, 2, v0
	v_add_nc_u32_e32 v9, v8, v0
	v_lshlrev_b32_e32 v12, 2, v10
	v_add_nc_u32_e32 v23, 0x400, v8
	v_mov_b32_e32 v16, v3
	v_mov_b32_e32 v17, v3
	v_and_b32_e32 v11, 63, v9
	v_lshrrev_b32_e32 v2, 2, v9
	v_lshrrev_b32_e32 v9, 6, v9
	v_mov_b32_e32 v19, v3
	v_mov_b32_e32 v20, v3
	v_add_co_u32 v6, s33, s6, v11
	v_add_co_ci_u32_e64 v7, null, s7, 0, s33
	s_waitcnt lgkmcnt(0)
	s_add_u32 s20, s20, s34
	s_addc_u32 s21, s21, s35
	s_add_u32 s26, s26, s34
	s_addc_u32 s27, s27, s35
	v_mad_u64_u32 v[4:5], null, s8, v10, v[2:3]
	s_load_dwordx2 s[26:27], s[26:27], 0x0
	v_mul_lo_u32 v13, s23, v6
	v_mul_lo_u32 v14, s22, v7
	v_mad_u64_u32 v[6:7], null, s22, v6, 0
	v_lshlrev_b32_e32 v11, 2, v11
	v_lshl_or_b32 v12, v2, 4, v12
	v_mov_b32_e32 v2, v5
	v_lshlrev_b32_e32 v15, 1, v9
	s_load_dwordx2 s[20:21], s[20:21], 0x0
	v_lshl_or_b32 v24, v9, 8, v11
	v_add3_u32 v7, v7, v14, v13
	v_mad_u64_u32 v[8:9], null, s9, v10, v[2:3]
	s_lshl_b64 s[10:11], s[10:11], 1
	v_add_nc_u32_e32 v25, 0x400, v12
	v_lshlrev_b64 v[5:6], 1, v[6:7]
	v_add_co_u32 v7, vcc_lo, v4, s30
	v_mov_b32_e32 v9, v3
	v_add_co_ci_u32_e64 v8, null, s31, v8, vcc_lo
	s_waitcnt lgkmcnt(0)
	s_add_u32 s22, s26, s10
	s_addc_u32 s23, s27, s11
	s_lshl_b64 s[10:11], s[24:25], 1
	v_mov_b32_e32 v10, v3
	v_add_co_u32 v2, vcc_lo, v5, s10
	v_add_co_ci_u32_e64 v6, null, s11, v6, vcc_lo
	v_lshlrev_b64 v[4:5], 1, v[7:8]
	v_add_co_u32 v2, vcc_lo, v2, v15
	v_add_co_ci_u32_e64 v7, null, 0, v6, vcc_lo
	v_mov_b32_e32 v8, v3
	v_add_co_u32 v4, vcc_lo, s22, v4
	v_add_co_ci_u32_e64 v5, null, s23, v5, vcc_lo
	v_add_co_u32 v6, vcc_lo, s20, v2
	v_add_co_ci_u32_e64 v7, null, s21, v7, vcc_lo
	v_mov_b32_e32 v2, v3
	v_mov_b32_e32 v11, v3
	;; [unrolled: 1-line block ×8, first 2 shown]
	s_lshl_b64 s[8:9], s[8:9], 3
	s_mov_b64 s[10:11], 0
.LBB115_2:                              ; =>This Inner Loop Header: Depth=1
	flat_load_ushort v26, v[6:7]
	flat_load_ushort v27, v[4:5]
	s_add_u32 s10, s10, 4
	s_addc_u32 s11, s11, 0
	v_add_co_u32 v4, vcc_lo, v4, s8
	v_cmp_lt_i64_e64 s20, s[10:11], s[28:29]
	v_add_co_ci_u32_e64 v5, null, s9, v5, vcc_lo
	v_add_co_u32 v6, vcc_lo, v6, 8
	v_add_co_ci_u32_e64 v7, null, 0, v7, vcc_lo
	s_and_b32 vcc_lo, exec_lo, s20
	s_waitcnt vmcnt(1) lgkmcnt(1)
	v_cvt_f32_f16_e32 v26, v26
	s_waitcnt vmcnt(0) lgkmcnt(0)
	v_cvt_f32_f16_e32 v27, v27
	ds_write_b32 v24, v26
	ds_write_b32 v25, v27
	s_waitcnt lgkmcnt(0)
	s_barrier
	buffer_gl0_inv
	ds_read_b128 v[26:29], v23
	ds_read2_b32 v[42:43], v22 offset1:16
	ds_read2_b32 v[44:45], v22 offset0:32 offset1:48
	ds_read_b128 v[30:33], v23 offset:256
	ds_read_b128 v[34:37], v23 offset:512
	;; [unrolled: 1-line block ×3, first 2 shown]
	ds_read2_b32 v[46:47], v22 offset0:64 offset1:80
	ds_read2_b32 v[48:49], v22 offset0:96 offset1:112
	;; [unrolled: 1-line block ×6, first 2 shown]
	s_waitcnt lgkmcnt(0)
	s_barrier
	buffer_gl0_inv
	v_fmac_f32_e32 v18, v42, v26
	v_fmac_f32_e32 v21, v43, v26
	;; [unrolled: 1-line block ×64, first 2 shown]
	s_cbranch_vccnz .LBB115_2
.LBB115_3:
	s_load_dword s8, s[4:5], 0x50
	s_lshl_b64 s[10:11], s[2:3], 2
	s_load_dword s2, s[4:5], 0x18
	v_add_co_u32 v4, s4, s30, v1
	v_add_co_ci_u32_e64 v7, null, s31, 0, s4
	v_add_co_u32 v0, s4, s6, v0
	v_add_co_ci_u32_e64 v1, null, s7, 0, s4
	v_mul_lo_u32 v5, v7, s0
	v_mul_lo_u32 v6, v4, s1
	s_waitcnt lgkmcnt(0)
	s_add_u32 s3, s18, s10
	v_lshlrev_b64 v[0:1], 2, v[0:1]
	s_addc_u32 s4, s19, s11
	v_cmp_neq_f32_e64 s5, s8, 0
	s_and_b32 vcc_lo, exec_lo, s5
	s_mov_b32 s5, 0
	s_cbranch_vccnz .LBB115_7
; %bb.4:
	v_mad_u64_u32 v[22:23], null, v4, s0, 0
	s_lshl_b64 s[6:7], s[0:1], 6
	v_mul_f32_e32 v26, s2, v18
	v_mul_f32_e32 v27, s2, v21
	;; [unrolled: 1-line block ×5, first 2 shown]
	v_add3_u32 v23, v23, v6, v5
	v_mul_f32_e32 v31, s2, v16
	v_mul_f32_e32 v32, s2, v15
	;; [unrolled: 1-line block ×3, first 2 shown]
	v_lshlrev_b64 v[22:23], 2, v[22:23]
	v_add_co_u32 v22, vcc_lo, s3, v22
	v_add_co_ci_u32_e64 v23, null, s4, v23, vcc_lo
	v_add_co_u32 v34, vcc_lo, v22, s6
	v_add_co_ci_u32_e64 v35, null, s7, v23, vcc_lo
	;; [unrolled: 2-line block ×4, first 2 shown]
	flat_store_dword v[22:23], v26
	flat_store_dword v[22:23], v27 offset:64
	flat_store_dword v[22:23], v28 offset:128
	;; [unrolled: 1-line block ×3, first 2 shown]
	flat_store_dword v[24:25], v30
	flat_store_dword v[24:25], v31 offset:64
	v_add_co_u32 v26, vcc_lo, v34, s6
	v_add_co_ci_u32_e64 v27, null, s7, v35, vcc_lo
	v_mul_f32_e32 v28, s2, v13
	v_add_co_u32 v22, vcc_lo, v26, v0
	v_add_co_ci_u32_e64 v23, null, v27, v1, vcc_lo
	v_mul_f32_e32 v29, s2, v12
	v_mul_f32_e32 v30, s2, v11
	flat_store_dword v[24:25], v32 offset:128
	flat_store_dword v[24:25], v33 offset:192
	flat_store_dword v[22:23], v28
	flat_store_dword v[22:23], v29 offset:64
	flat_store_dword v[22:23], v30 offset:128
	v_add_co_u32 v24, vcc_lo, v26, s6
	v_add_co_ci_u32_e64 v25, null, s7, v27, vcc_lo
	v_mul_f32_e32 v28, s2, v10
	v_add_co_u32 v24, vcc_lo, v24, v0
	v_mul_f32_e32 v26, s2, v9
	v_add_co_ci_u32_e64 v25, null, v25, v1, vcc_lo
	v_mul_f32_e32 v27, s2, v8
	v_mul_f32_e32 v29, s2, v2
	;; [unrolled: 1-line block ×3, first 2 shown]
	flat_store_dword v[22:23], v28 offset:192
	flat_store_dword v[24:25], v26
	flat_store_dword v[24:25], v27 offset:64
	flat_store_dword v[24:25], v29 offset:128
	;; [unrolled: 1-line block ×3, first 2 shown]
	s_andn2_b32 vcc_lo, exec_lo, s5
	s_cbranch_vccnz .LBB115_6
.LBB115_5:
	v_mul_lo_u32 v7, v7, s14
	v_mul_lo_u32 v24, v4, s15
	v_mad_u64_u32 v[22:23], null, v4, s14, 0
	s_lshl_b64 s[6:7], s[16:17], 2
	s_add_u32 s5, s12, s6
	s_addc_u32 s6, s13, s7
	v_add3_u32 v23, v23, v24, v7
	v_mad_u64_u32 v[24:25], null, v4, s0, 0
	s_lshl_b64 s[0:1], s[0:1], 6
	v_lshlrev_b64 v[22:23], 2, v[22:23]
	v_add3_u32 v25, v25, v6, v5
	v_add_co_u32 v7, vcc_lo, s5, v22
	v_add_co_ci_u32_e64 v26, null, s6, v23, vcc_lo
	v_lshlrev_b64 v[4:5], 2, v[24:25]
	v_add_co_u32 v22, vcc_lo, v7, v0
	v_add_co_ci_u32_e64 v23, null, v26, v1, vcc_lo
	v_add_co_u32 v24, vcc_lo, s3, v4
	flat_load_dword v27, v[22:23]
	v_add_co_ci_u32_e64 v25, null, s4, v5, vcc_lo
	v_add_co_u32 v4, vcc_lo, v24, v0
	s_lshl_b64 s[4:5], s[14:15], 6
	v_add_co_ci_u32_e64 v5, null, v25, v1, vcc_lo
	s_waitcnt vmcnt(0) lgkmcnt(0)
	v_mul_f32_e32 v6, s8, v27
	v_fmac_f32_e32 v6, s2, v18
	flat_store_dword v[4:5], v6
	flat_load_dword v6, v[22:23] offset:64
	s_waitcnt vmcnt(0) lgkmcnt(0)
	v_mul_f32_e32 v6, s8, v6
	v_fmac_f32_e32 v6, s2, v21
	flat_store_dword v[4:5], v6 offset:64
	flat_load_dword v6, v[22:23] offset:128
	s_waitcnt vmcnt(0) lgkmcnt(0)
	v_mul_f32_e32 v6, s8, v6
	v_fmac_f32_e32 v6, s2, v20
	v_add_co_u32 v20, vcc_lo, v7, s4
	v_add_co_ci_u32_e64 v21, null, s5, v26, vcc_lo
	flat_store_dword v[4:5], v6 offset:128
	flat_load_dword v6, v[22:23] offset:192
	s_waitcnt vmcnt(0) lgkmcnt(0)
	v_mul_f32_e32 v18, s8, v6
	v_add_co_u32 v6, vcc_lo, v20, v0
	v_add_co_ci_u32_e64 v7, null, v21, v1, vcc_lo
	v_fmac_f32_e32 v18, s2, v19
	flat_store_dword v[4:5], v18 offset:192
	flat_load_dword v4, v[6:7]
	v_add_co_u32 v18, vcc_lo, v24, s0
	v_add_co_ci_u32_e64 v19, null, s1, v25, vcc_lo
	s_waitcnt vmcnt(0) lgkmcnt(0)
	v_mul_f32_e32 v22, s8, v4
	v_add_co_u32 v4, vcc_lo, v18, v0
	v_add_co_ci_u32_e64 v5, null, v19, v1, vcc_lo
	v_fmac_f32_e32 v22, s2, v17
	flat_store_dword v[4:5], v22
	flat_load_dword v17, v[6:7] offset:64
	s_waitcnt vmcnt(0) lgkmcnt(0)
	v_mul_f32_e32 v17, s8, v17
	v_fmac_f32_e32 v17, s2, v16
	flat_store_dword v[4:5], v17 offset:64
	flat_load_dword v16, v[6:7] offset:128
	s_waitcnt vmcnt(0) lgkmcnt(0)
	v_mul_f32_e32 v16, s8, v16
	v_fmac_f32_e32 v16, s2, v15
	flat_store_dword v[4:5], v16 offset:128
	flat_load_dword v6, v[6:7] offset:192
	v_add_co_u32 v16, vcc_lo, v20, s4
	v_add_co_ci_u32_e64 v17, null, s5, v21, vcc_lo
	s_waitcnt vmcnt(0) lgkmcnt(0)
	v_mul_f32_e32 v15, s8, v6
	v_add_co_u32 v6, vcc_lo, v16, v0
	v_add_co_ci_u32_e64 v7, null, v17, v1, vcc_lo
	v_fmac_f32_e32 v15, s2, v14
	v_add_co_u32 v14, vcc_lo, v18, s0
	flat_store_dword v[4:5], v15 offset:192
	flat_load_dword v4, v[6:7]
	v_add_co_ci_u32_e64 v15, null, s1, v19, vcc_lo
	s_waitcnt vmcnt(0) lgkmcnt(0)
	v_mul_f32_e32 v18, s8, v4
	v_add_co_u32 v4, vcc_lo, v14, v0
	v_add_co_ci_u32_e64 v5, null, v15, v1, vcc_lo
	v_fmac_f32_e32 v18, s2, v13
	flat_store_dword v[4:5], v18
	flat_load_dword v13, v[6:7] offset:64
	s_waitcnt vmcnt(0) lgkmcnt(0)
	v_mul_f32_e32 v13, s8, v13
	v_fmac_f32_e32 v13, s2, v12
	flat_store_dword v[4:5], v13 offset:64
	flat_load_dword v12, v[6:7] offset:128
	s_waitcnt vmcnt(0) lgkmcnt(0)
	v_mul_f32_e32 v12, s8, v12
	v_fmac_f32_e32 v12, s2, v11
	flat_store_dword v[4:5], v12 offset:128
	flat_load_dword v6, v[6:7] offset:192
	s_waitcnt vmcnt(0) lgkmcnt(0)
	v_mul_f32_e32 v11, s8, v6
	v_add_co_u32 v6, vcc_lo, v16, s4
	v_add_co_ci_u32_e64 v7, null, s5, v17, vcc_lo
	v_fmac_f32_e32 v11, s2, v10
	v_add_co_u32 v6, vcc_lo, v6, v0
	v_add_co_ci_u32_e64 v7, null, v7, v1, vcc_lo
	flat_store_dword v[4:5], v11 offset:192
	v_add_co_u32 v5, vcc_lo, v14, s0
	flat_load_dword v4, v[6:7]
	v_add_co_ci_u32_e64 v10, null, s1, v15, vcc_lo
	v_add_co_u32 v0, vcc_lo, v5, v0
	v_add_co_ci_u32_e64 v1, null, v10, v1, vcc_lo
	s_waitcnt vmcnt(0) lgkmcnt(0)
	v_mul_f32_e32 v4, s8, v4
	v_fmac_f32_e32 v4, s2, v9
	flat_store_dword v[0:1], v4
	flat_load_dword v4, v[6:7] offset:64
	s_waitcnt vmcnt(0) lgkmcnt(0)
	v_mul_f32_e32 v4, s8, v4
	v_fmac_f32_e32 v4, s2, v8
	flat_store_dword v[0:1], v4 offset:64
	flat_load_dword v4, v[6:7] offset:128
	s_waitcnt vmcnt(0) lgkmcnt(0)
	v_mul_f32_e32 v4, s8, v4
	v_fmac_f32_e32 v4, s2, v2
	flat_store_dword v[0:1], v4 offset:128
	;; [unrolled: 5-line block ×3, first 2 shown]
.LBB115_6:
	s_endpgm
.LBB115_7:
	s_branch .LBB115_5
	.section	.rodata,"a",@progbits
	.p2align	6, 0x0
	.amdhsa_kernel _ZN12_GLOBAL__N_127rocblas_gemm_batched_kernelIfLi16ELi16ELi64ELi64ELi4ELi64ELi4ELi4ELi64ELc84ELc84EKPKDF16_KPKfKPfEEvlllT_PT11_llSB_llS9_PT12_llPT13_lli
		.amdhsa_group_segment_fixed_size 2048
		.amdhsa_private_segment_fixed_size 0
		.amdhsa_kernarg_size 140
		.amdhsa_user_sgpr_count 6
		.amdhsa_user_sgpr_private_segment_buffer 1
		.amdhsa_user_sgpr_dispatch_ptr 0
		.amdhsa_user_sgpr_queue_ptr 0
		.amdhsa_user_sgpr_kernarg_segment_ptr 1
		.amdhsa_user_sgpr_dispatch_id 0
		.amdhsa_user_sgpr_flat_scratch_init 0
		.amdhsa_user_sgpr_private_segment_size 0
		.amdhsa_wavefront_size32 1
		.amdhsa_uses_dynamic_stack 0
		.amdhsa_system_sgpr_private_segment_wavefront_offset 0
		.amdhsa_system_sgpr_workgroup_id_x 1
		.amdhsa_system_sgpr_workgroup_id_y 1
		.amdhsa_system_sgpr_workgroup_id_z 1
		.amdhsa_system_sgpr_workgroup_info 0
		.amdhsa_system_vgpr_workitem_id 1
		.amdhsa_next_free_vgpr 58
		.amdhsa_next_free_sgpr 36
		.amdhsa_reserve_vcc 1
		.amdhsa_reserve_flat_scratch 0
		.amdhsa_float_round_mode_32 0
		.amdhsa_float_round_mode_16_64 0
		.amdhsa_float_denorm_mode_32 3
		.amdhsa_float_denorm_mode_16_64 3
		.amdhsa_dx10_clamp 1
		.amdhsa_ieee_mode 1
		.amdhsa_fp16_overflow 0
		.amdhsa_workgroup_processor_mode 1
		.amdhsa_memory_ordered 1
		.amdhsa_forward_progress 1
		.amdhsa_shared_vgpr_count 0
		.amdhsa_exception_fp_ieee_invalid_op 0
		.amdhsa_exception_fp_denorm_src 0
		.amdhsa_exception_fp_ieee_div_zero 0
		.amdhsa_exception_fp_ieee_overflow 0
		.amdhsa_exception_fp_ieee_underflow 0
		.amdhsa_exception_fp_ieee_inexact 0
		.amdhsa_exception_int_div_zero 0
	.end_amdhsa_kernel
	.section	.text._ZN12_GLOBAL__N_127rocblas_gemm_batched_kernelIfLi16ELi16ELi64ELi64ELi4ELi64ELi4ELi4ELi64ELc84ELc84EKPKDF16_KPKfKPfEEvlllT_PT11_llSB_llS9_PT12_llPT13_lli,"axG",@progbits,_ZN12_GLOBAL__N_127rocblas_gemm_batched_kernelIfLi16ELi16ELi64ELi64ELi4ELi64ELi4ELi4ELi64ELc84ELc84EKPKDF16_KPKfKPfEEvlllT_PT11_llSB_llS9_PT12_llPT13_lli,comdat
.Lfunc_end115:
	.size	_ZN12_GLOBAL__N_127rocblas_gemm_batched_kernelIfLi16ELi16ELi64ELi64ELi4ELi64ELi4ELi4ELi64ELc84ELc84EKPKDF16_KPKfKPfEEvlllT_PT11_llSB_llS9_PT12_llPT13_lli, .Lfunc_end115-_ZN12_GLOBAL__N_127rocblas_gemm_batched_kernelIfLi16ELi16ELi64ELi64ELi4ELi64ELi4ELi4ELi64ELc84ELc84EKPKDF16_KPKfKPfEEvlllT_PT11_llSB_llS9_PT12_llPT13_lli
                                        ; -- End function
	.set _ZN12_GLOBAL__N_127rocblas_gemm_batched_kernelIfLi16ELi16ELi64ELi64ELi4ELi64ELi4ELi4ELi64ELc84ELc84EKPKDF16_KPKfKPfEEvlllT_PT11_llSB_llS9_PT12_llPT13_lli.num_vgpr, 58
	.set _ZN12_GLOBAL__N_127rocblas_gemm_batched_kernelIfLi16ELi16ELi64ELi64ELi4ELi64ELi4ELi4ELi64ELc84ELc84EKPKDF16_KPKfKPfEEvlllT_PT11_llSB_llS9_PT12_llPT13_lli.num_agpr, 0
	.set _ZN12_GLOBAL__N_127rocblas_gemm_batched_kernelIfLi16ELi16ELi64ELi64ELi4ELi64ELi4ELi4ELi64ELc84ELc84EKPKDF16_KPKfKPfEEvlllT_PT11_llSB_llS9_PT12_llPT13_lli.numbered_sgpr, 36
	.set _ZN12_GLOBAL__N_127rocblas_gemm_batched_kernelIfLi16ELi16ELi64ELi64ELi4ELi64ELi4ELi4ELi64ELc84ELc84EKPKDF16_KPKfKPfEEvlllT_PT11_llSB_llS9_PT12_llPT13_lli.num_named_barrier, 0
	.set _ZN12_GLOBAL__N_127rocblas_gemm_batched_kernelIfLi16ELi16ELi64ELi64ELi4ELi64ELi4ELi4ELi64ELc84ELc84EKPKDF16_KPKfKPfEEvlllT_PT11_llSB_llS9_PT12_llPT13_lli.private_seg_size, 0
	.set _ZN12_GLOBAL__N_127rocblas_gemm_batched_kernelIfLi16ELi16ELi64ELi64ELi4ELi64ELi4ELi4ELi64ELc84ELc84EKPKDF16_KPKfKPfEEvlllT_PT11_llSB_llS9_PT12_llPT13_lli.uses_vcc, 1
	.set _ZN12_GLOBAL__N_127rocblas_gemm_batched_kernelIfLi16ELi16ELi64ELi64ELi4ELi64ELi4ELi4ELi64ELc84ELc84EKPKDF16_KPKfKPfEEvlllT_PT11_llSB_llS9_PT12_llPT13_lli.uses_flat_scratch, 0
	.set _ZN12_GLOBAL__N_127rocblas_gemm_batched_kernelIfLi16ELi16ELi64ELi64ELi4ELi64ELi4ELi4ELi64ELc84ELc84EKPKDF16_KPKfKPfEEvlllT_PT11_llSB_llS9_PT12_llPT13_lli.has_dyn_sized_stack, 0
	.set _ZN12_GLOBAL__N_127rocblas_gemm_batched_kernelIfLi16ELi16ELi64ELi64ELi4ELi64ELi4ELi4ELi64ELc84ELc84EKPKDF16_KPKfKPfEEvlllT_PT11_llSB_llS9_PT12_llPT13_lli.has_recursion, 0
	.set _ZN12_GLOBAL__N_127rocblas_gemm_batched_kernelIfLi16ELi16ELi64ELi64ELi4ELi64ELi4ELi4ELi64ELc84ELc84EKPKDF16_KPKfKPfEEvlllT_PT11_llSB_llS9_PT12_llPT13_lli.has_indirect_call, 0
	.section	.AMDGPU.csdata,"",@progbits
; Kernel info:
; codeLenInByte = 2304
; TotalNumSgprs: 38
; NumVgprs: 58
; ScratchSize: 0
; MemoryBound: 0
; FloatMode: 240
; IeeeMode: 1
; LDSByteSize: 2048 bytes/workgroup (compile time only)
; SGPRBlocks: 0
; VGPRBlocks: 7
; NumSGPRsForWavesPerEU: 38
; NumVGPRsForWavesPerEU: 58
; Occupancy: 16
; WaveLimiterHint : 1
; COMPUTE_PGM_RSRC2:SCRATCH_EN: 0
; COMPUTE_PGM_RSRC2:USER_SGPR: 6
; COMPUTE_PGM_RSRC2:TRAP_HANDLER: 0
; COMPUTE_PGM_RSRC2:TGID_X_EN: 1
; COMPUTE_PGM_RSRC2:TGID_Y_EN: 1
; COMPUTE_PGM_RSRC2:TGID_Z_EN: 1
; COMPUTE_PGM_RSRC2:TIDIG_COMP_CNT: 1
	.section	.text._ZN12_GLOBAL__N_127rocblas_gemm_batched_kernelIfLi16ELi16ELi64ELi64ELi4ELi64ELi4ELi4ELi64ELc67ELc67EKPKDF16_KPKfKPfEEvlllT_PT11_llSB_llS9_PT12_llPT13_lli,"axG",@progbits,_ZN12_GLOBAL__N_127rocblas_gemm_batched_kernelIfLi16ELi16ELi64ELi64ELi4ELi64ELi4ELi4ELi64ELc67ELc67EKPKDF16_KPKfKPfEEvlllT_PT11_llSB_llS9_PT12_llPT13_lli,comdat
	.globl	_ZN12_GLOBAL__N_127rocblas_gemm_batched_kernelIfLi16ELi16ELi64ELi64ELi4ELi64ELi4ELi4ELi64ELc67ELc67EKPKDF16_KPKfKPfEEvlllT_PT11_llSB_llS9_PT12_llPT13_lli ; -- Begin function _ZN12_GLOBAL__N_127rocblas_gemm_batched_kernelIfLi16ELi16ELi64ELi64ELi4ELi64ELi4ELi4ELi64ELc67ELc67EKPKDF16_KPKfKPfEEvlllT_PT11_llSB_llS9_PT12_llPT13_lli
	.p2align	8
	.type	_ZN12_GLOBAL__N_127rocblas_gemm_batched_kernelIfLi16ELi16ELi64ELi64ELi4ELi64ELi4ELi4ELi64ELc67ELc67EKPKDF16_KPKfKPfEEvlllT_PT11_llSB_llS9_PT12_llPT13_lli,@function
_ZN12_GLOBAL__N_127rocblas_gemm_batched_kernelIfLi16ELi16ELi64ELi64ELi4ELi64ELi4ELi4ELi64ELc67ELc67EKPKDF16_KPKfKPfEEvlllT_PT11_llSB_llS9_PT12_llPT13_lli: ; @_ZN12_GLOBAL__N_127rocblas_gemm_batched_kernelIfLi16ELi16ELi64ELi64ELi4ELi64ELi4ELi4ELi64ELc67ELc67EKPKDF16_KPKfKPfEEvlllT_PT11_llSB_llS9_PT12_llPT13_lli
; %bb.0:
	s_clause 0x1
	s_load_dwordx8 s[12:19], s[4:5], 0x58
	s_load_dwordx2 s[28:29], s[4:5], 0x10
	s_mov_b32 s9, 0
	s_load_dwordx4 s[0:3], s[4:5], 0x78
	s_lshl_b64 s[34:35], s[8:9], 3
	s_mov_b32 s10, s7
	v_mov_b32_e32 v18, 0
	v_mov_b32_e32 v21, 0
	;; [unrolled: 1-line block ×14, first 2 shown]
	s_waitcnt lgkmcnt(0)
	s_add_u32 s8, s12, s34
	s_addc_u32 s9, s13, s35
	s_add_u32 s18, s18, s34
	s_addc_u32 s19, s19, s35
	s_load_dwordx2 s[12:13], s[8:9], 0x0
	s_load_dwordx2 s[18:19], s[18:19], 0x0
	v_cmp_lt_i64_e64 s20, s[28:29], 1
	v_mov_b32_e32 v2, 0
	v_mov_b32_e32 v3, 0
	s_ashr_i32 s7, s6, 31
	s_ashr_i32 s11, s10, 31
	s_lshl_b64 s[6:7], s[6:7], 6
	s_and_b32 vcc_lo, exec_lo, s20
	s_lshl_b64 s[30:31], s[10:11], 6
	s_cbranch_vccnz .LBB116_3
; %bb.1:
	s_clause 0x1
	s_load_dwordx8 s[20:27], s[4:5], 0x20
	s_load_dwordx4 s[8:11], s[4:5], 0x40
	v_lshlrev_b32_e32 v8, 4, v1
	v_and_b32_e32 v10, 3, v0
	v_mov_b32_e32 v3, 0
	v_lshlrev_b32_e32 v22, 2, v0
	v_add_nc_u32_e32 v9, v8, v0
	v_lshlrev_b32_e32 v12, 2, v10
	v_add_nc_u32_e32 v23, 0x400, v8
	v_mov_b32_e32 v16, v3
	v_mov_b32_e32 v17, v3
	v_and_b32_e32 v11, 63, v9
	v_lshrrev_b32_e32 v2, 2, v9
	v_lshrrev_b32_e32 v9, 6, v9
	v_mov_b32_e32 v19, v3
	v_mov_b32_e32 v20, v3
	v_add_co_u32 v6, s33, s6, v11
	v_add_co_ci_u32_e64 v7, null, s7, 0, s33
	s_waitcnt lgkmcnt(0)
	s_add_u32 s20, s20, s34
	s_addc_u32 s21, s21, s35
	s_add_u32 s26, s26, s34
	s_addc_u32 s27, s27, s35
	v_mad_u64_u32 v[4:5], null, s8, v10, v[2:3]
	s_load_dwordx2 s[26:27], s[26:27], 0x0
	v_mul_lo_u32 v13, s23, v6
	v_mul_lo_u32 v14, s22, v7
	v_mad_u64_u32 v[6:7], null, s22, v6, 0
	v_lshlrev_b32_e32 v11, 2, v11
	v_lshl_or_b32 v12, v2, 4, v12
	v_mov_b32_e32 v2, v5
	v_lshlrev_b32_e32 v15, 1, v9
	s_load_dwordx2 s[20:21], s[20:21], 0x0
	v_lshl_or_b32 v24, v9, 8, v11
	v_add3_u32 v7, v7, v14, v13
	v_mad_u64_u32 v[8:9], null, s9, v10, v[2:3]
	s_lshl_b64 s[10:11], s[10:11], 1
	v_add_nc_u32_e32 v25, 0x400, v12
	v_lshlrev_b64 v[5:6], 1, v[6:7]
	v_add_co_u32 v7, vcc_lo, v4, s30
	v_mov_b32_e32 v9, v3
	v_add_co_ci_u32_e64 v8, null, s31, v8, vcc_lo
	s_waitcnt lgkmcnt(0)
	s_add_u32 s22, s26, s10
	s_addc_u32 s23, s27, s11
	s_lshl_b64 s[10:11], s[24:25], 1
	v_mov_b32_e32 v10, v3
	v_add_co_u32 v2, vcc_lo, v5, s10
	v_add_co_ci_u32_e64 v6, null, s11, v6, vcc_lo
	v_lshlrev_b64 v[4:5], 1, v[7:8]
	v_add_co_u32 v2, vcc_lo, v2, v15
	v_add_co_ci_u32_e64 v7, null, 0, v6, vcc_lo
	v_mov_b32_e32 v8, v3
	v_add_co_u32 v4, vcc_lo, s22, v4
	v_add_co_ci_u32_e64 v5, null, s23, v5, vcc_lo
	v_add_co_u32 v6, vcc_lo, s20, v2
	v_add_co_ci_u32_e64 v7, null, s21, v7, vcc_lo
	v_mov_b32_e32 v2, v3
	v_mov_b32_e32 v11, v3
	;; [unrolled: 1-line block ×8, first 2 shown]
	s_lshl_b64 s[8:9], s[8:9], 3
	s_mov_b64 s[10:11], 0
.LBB116_2:                              ; =>This Inner Loop Header: Depth=1
	flat_load_ushort v26, v[6:7]
	flat_load_ushort v27, v[4:5]
	s_add_u32 s10, s10, 4
	s_addc_u32 s11, s11, 0
	v_add_co_u32 v4, vcc_lo, v4, s8
	v_cmp_lt_i64_e64 s20, s[10:11], s[28:29]
	v_add_co_ci_u32_e64 v5, null, s9, v5, vcc_lo
	v_add_co_u32 v6, vcc_lo, v6, 8
	v_add_co_ci_u32_e64 v7, null, 0, v7, vcc_lo
	s_and_b32 vcc_lo, exec_lo, s20
	s_waitcnt vmcnt(1) lgkmcnt(1)
	v_cvt_f32_f16_e32 v26, v26
	s_waitcnt vmcnt(0) lgkmcnt(0)
	v_cvt_f32_f16_e32 v27, v27
	ds_write_b32 v24, v26
	ds_write_b32 v25, v27
	s_waitcnt lgkmcnt(0)
	s_barrier
	buffer_gl0_inv
	ds_read_b128 v[26:29], v23
	ds_read2_b32 v[42:43], v22 offset1:16
	ds_read2_b32 v[44:45], v22 offset0:32 offset1:48
	ds_read_b128 v[30:33], v23 offset:256
	ds_read_b128 v[34:37], v23 offset:512
	;; [unrolled: 1-line block ×3, first 2 shown]
	ds_read2_b32 v[46:47], v22 offset0:64 offset1:80
	ds_read2_b32 v[48:49], v22 offset0:96 offset1:112
	;; [unrolled: 1-line block ×6, first 2 shown]
	s_waitcnt lgkmcnt(0)
	s_barrier
	buffer_gl0_inv
	v_fmac_f32_e32 v18, v42, v26
	v_fmac_f32_e32 v21, v43, v26
	;; [unrolled: 1-line block ×64, first 2 shown]
	s_cbranch_vccnz .LBB116_2
.LBB116_3:
	s_load_dword s8, s[4:5], 0x50
	s_lshl_b64 s[10:11], s[2:3], 2
	s_load_dword s2, s[4:5], 0x18
	v_add_co_u32 v4, s4, s30, v1
	v_add_co_ci_u32_e64 v7, null, s31, 0, s4
	v_add_co_u32 v0, s4, s6, v0
	v_add_co_ci_u32_e64 v1, null, s7, 0, s4
	v_mul_lo_u32 v5, v7, s0
	v_mul_lo_u32 v6, v4, s1
	s_waitcnt lgkmcnt(0)
	s_add_u32 s3, s18, s10
	v_lshlrev_b64 v[0:1], 2, v[0:1]
	s_addc_u32 s4, s19, s11
	v_cmp_neq_f32_e64 s5, s8, 0
	s_and_b32 vcc_lo, exec_lo, s5
	s_mov_b32 s5, 0
	s_cbranch_vccnz .LBB116_7
; %bb.4:
	v_mad_u64_u32 v[22:23], null, v4, s0, 0
	s_lshl_b64 s[6:7], s[0:1], 6
	v_mul_f32_e32 v26, s2, v18
	v_mul_f32_e32 v27, s2, v21
	v_mul_f32_e32 v28, s2, v20
	v_mul_f32_e32 v29, s2, v19
	v_mul_f32_e32 v30, s2, v17
	v_add3_u32 v23, v23, v6, v5
	v_mul_f32_e32 v31, s2, v16
	v_mul_f32_e32 v32, s2, v15
	;; [unrolled: 1-line block ×3, first 2 shown]
	v_lshlrev_b64 v[22:23], 2, v[22:23]
	v_add_co_u32 v22, vcc_lo, s3, v22
	v_add_co_ci_u32_e64 v23, null, s4, v23, vcc_lo
	v_add_co_u32 v34, vcc_lo, v22, s6
	v_add_co_ci_u32_e64 v35, null, s7, v23, vcc_lo
	;; [unrolled: 2-line block ×4, first 2 shown]
	flat_store_dword v[22:23], v26
	flat_store_dword v[22:23], v27 offset:64
	flat_store_dword v[22:23], v28 offset:128
	;; [unrolled: 1-line block ×3, first 2 shown]
	flat_store_dword v[24:25], v30
	flat_store_dword v[24:25], v31 offset:64
	v_add_co_u32 v26, vcc_lo, v34, s6
	v_add_co_ci_u32_e64 v27, null, s7, v35, vcc_lo
	v_mul_f32_e32 v28, s2, v13
	v_add_co_u32 v22, vcc_lo, v26, v0
	v_add_co_ci_u32_e64 v23, null, v27, v1, vcc_lo
	v_mul_f32_e32 v29, s2, v12
	v_mul_f32_e32 v30, s2, v11
	flat_store_dword v[24:25], v32 offset:128
	flat_store_dword v[24:25], v33 offset:192
	flat_store_dword v[22:23], v28
	flat_store_dword v[22:23], v29 offset:64
	flat_store_dword v[22:23], v30 offset:128
	v_add_co_u32 v24, vcc_lo, v26, s6
	v_add_co_ci_u32_e64 v25, null, s7, v27, vcc_lo
	v_mul_f32_e32 v28, s2, v10
	v_add_co_u32 v24, vcc_lo, v24, v0
	v_mul_f32_e32 v26, s2, v9
	v_add_co_ci_u32_e64 v25, null, v25, v1, vcc_lo
	v_mul_f32_e32 v27, s2, v8
	v_mul_f32_e32 v29, s2, v2
	;; [unrolled: 1-line block ×3, first 2 shown]
	flat_store_dword v[22:23], v28 offset:192
	flat_store_dword v[24:25], v26
	flat_store_dword v[24:25], v27 offset:64
	flat_store_dword v[24:25], v29 offset:128
	;; [unrolled: 1-line block ×3, first 2 shown]
	s_andn2_b32 vcc_lo, exec_lo, s5
	s_cbranch_vccnz .LBB116_6
.LBB116_5:
	v_mul_lo_u32 v7, v7, s14
	v_mul_lo_u32 v24, v4, s15
	v_mad_u64_u32 v[22:23], null, v4, s14, 0
	s_lshl_b64 s[6:7], s[16:17], 2
	s_add_u32 s5, s12, s6
	s_addc_u32 s6, s13, s7
	v_add3_u32 v23, v23, v24, v7
	v_mad_u64_u32 v[24:25], null, v4, s0, 0
	s_lshl_b64 s[0:1], s[0:1], 6
	v_lshlrev_b64 v[22:23], 2, v[22:23]
	v_add3_u32 v25, v25, v6, v5
	v_add_co_u32 v7, vcc_lo, s5, v22
	v_add_co_ci_u32_e64 v26, null, s6, v23, vcc_lo
	v_lshlrev_b64 v[4:5], 2, v[24:25]
	v_add_co_u32 v22, vcc_lo, v7, v0
	v_add_co_ci_u32_e64 v23, null, v26, v1, vcc_lo
	v_add_co_u32 v24, vcc_lo, s3, v4
	flat_load_dword v27, v[22:23]
	v_add_co_ci_u32_e64 v25, null, s4, v5, vcc_lo
	v_add_co_u32 v4, vcc_lo, v24, v0
	s_lshl_b64 s[4:5], s[14:15], 6
	v_add_co_ci_u32_e64 v5, null, v25, v1, vcc_lo
	s_waitcnt vmcnt(0) lgkmcnt(0)
	v_mul_f32_e32 v6, s8, v27
	v_fmac_f32_e32 v6, s2, v18
	flat_store_dword v[4:5], v6
	flat_load_dword v6, v[22:23] offset:64
	s_waitcnt vmcnt(0) lgkmcnt(0)
	v_mul_f32_e32 v6, s8, v6
	v_fmac_f32_e32 v6, s2, v21
	flat_store_dword v[4:5], v6 offset:64
	flat_load_dword v6, v[22:23] offset:128
	s_waitcnt vmcnt(0) lgkmcnt(0)
	v_mul_f32_e32 v6, s8, v6
	v_fmac_f32_e32 v6, s2, v20
	v_add_co_u32 v20, vcc_lo, v7, s4
	v_add_co_ci_u32_e64 v21, null, s5, v26, vcc_lo
	flat_store_dword v[4:5], v6 offset:128
	flat_load_dword v6, v[22:23] offset:192
	s_waitcnt vmcnt(0) lgkmcnt(0)
	v_mul_f32_e32 v18, s8, v6
	v_add_co_u32 v6, vcc_lo, v20, v0
	v_add_co_ci_u32_e64 v7, null, v21, v1, vcc_lo
	v_fmac_f32_e32 v18, s2, v19
	flat_store_dword v[4:5], v18 offset:192
	flat_load_dword v4, v[6:7]
	v_add_co_u32 v18, vcc_lo, v24, s0
	v_add_co_ci_u32_e64 v19, null, s1, v25, vcc_lo
	s_waitcnt vmcnt(0) lgkmcnt(0)
	v_mul_f32_e32 v22, s8, v4
	v_add_co_u32 v4, vcc_lo, v18, v0
	v_add_co_ci_u32_e64 v5, null, v19, v1, vcc_lo
	v_fmac_f32_e32 v22, s2, v17
	flat_store_dword v[4:5], v22
	flat_load_dword v17, v[6:7] offset:64
	s_waitcnt vmcnt(0) lgkmcnt(0)
	v_mul_f32_e32 v17, s8, v17
	v_fmac_f32_e32 v17, s2, v16
	flat_store_dword v[4:5], v17 offset:64
	flat_load_dword v16, v[6:7] offset:128
	s_waitcnt vmcnt(0) lgkmcnt(0)
	v_mul_f32_e32 v16, s8, v16
	v_fmac_f32_e32 v16, s2, v15
	flat_store_dword v[4:5], v16 offset:128
	flat_load_dword v6, v[6:7] offset:192
	v_add_co_u32 v16, vcc_lo, v20, s4
	v_add_co_ci_u32_e64 v17, null, s5, v21, vcc_lo
	s_waitcnt vmcnt(0) lgkmcnt(0)
	v_mul_f32_e32 v15, s8, v6
	v_add_co_u32 v6, vcc_lo, v16, v0
	v_add_co_ci_u32_e64 v7, null, v17, v1, vcc_lo
	v_fmac_f32_e32 v15, s2, v14
	v_add_co_u32 v14, vcc_lo, v18, s0
	flat_store_dword v[4:5], v15 offset:192
	flat_load_dword v4, v[6:7]
	v_add_co_ci_u32_e64 v15, null, s1, v19, vcc_lo
	s_waitcnt vmcnt(0) lgkmcnt(0)
	v_mul_f32_e32 v18, s8, v4
	v_add_co_u32 v4, vcc_lo, v14, v0
	v_add_co_ci_u32_e64 v5, null, v15, v1, vcc_lo
	v_fmac_f32_e32 v18, s2, v13
	flat_store_dword v[4:5], v18
	flat_load_dword v13, v[6:7] offset:64
	s_waitcnt vmcnt(0) lgkmcnt(0)
	v_mul_f32_e32 v13, s8, v13
	v_fmac_f32_e32 v13, s2, v12
	flat_store_dword v[4:5], v13 offset:64
	flat_load_dword v12, v[6:7] offset:128
	s_waitcnt vmcnt(0) lgkmcnt(0)
	v_mul_f32_e32 v12, s8, v12
	v_fmac_f32_e32 v12, s2, v11
	flat_store_dword v[4:5], v12 offset:128
	flat_load_dword v6, v[6:7] offset:192
	s_waitcnt vmcnt(0) lgkmcnt(0)
	v_mul_f32_e32 v11, s8, v6
	v_add_co_u32 v6, vcc_lo, v16, s4
	v_add_co_ci_u32_e64 v7, null, s5, v17, vcc_lo
	v_fmac_f32_e32 v11, s2, v10
	v_add_co_u32 v6, vcc_lo, v6, v0
	v_add_co_ci_u32_e64 v7, null, v7, v1, vcc_lo
	flat_store_dword v[4:5], v11 offset:192
	v_add_co_u32 v5, vcc_lo, v14, s0
	flat_load_dword v4, v[6:7]
	v_add_co_ci_u32_e64 v10, null, s1, v15, vcc_lo
	v_add_co_u32 v0, vcc_lo, v5, v0
	v_add_co_ci_u32_e64 v1, null, v10, v1, vcc_lo
	s_waitcnt vmcnt(0) lgkmcnt(0)
	v_mul_f32_e32 v4, s8, v4
	v_fmac_f32_e32 v4, s2, v9
	flat_store_dword v[0:1], v4
	flat_load_dword v4, v[6:7] offset:64
	s_waitcnt vmcnt(0) lgkmcnt(0)
	v_mul_f32_e32 v4, s8, v4
	v_fmac_f32_e32 v4, s2, v8
	flat_store_dword v[0:1], v4 offset:64
	flat_load_dword v4, v[6:7] offset:128
	s_waitcnt vmcnt(0) lgkmcnt(0)
	v_mul_f32_e32 v4, s8, v4
	v_fmac_f32_e32 v4, s2, v2
	flat_store_dword v[0:1], v4 offset:128
	;; [unrolled: 5-line block ×3, first 2 shown]
.LBB116_6:
	s_endpgm
.LBB116_7:
	s_branch .LBB116_5
	.section	.rodata,"a",@progbits
	.p2align	6, 0x0
	.amdhsa_kernel _ZN12_GLOBAL__N_127rocblas_gemm_batched_kernelIfLi16ELi16ELi64ELi64ELi4ELi64ELi4ELi4ELi64ELc67ELc67EKPKDF16_KPKfKPfEEvlllT_PT11_llSB_llS9_PT12_llPT13_lli
		.amdhsa_group_segment_fixed_size 2048
		.amdhsa_private_segment_fixed_size 0
		.amdhsa_kernarg_size 140
		.amdhsa_user_sgpr_count 6
		.amdhsa_user_sgpr_private_segment_buffer 1
		.amdhsa_user_sgpr_dispatch_ptr 0
		.amdhsa_user_sgpr_queue_ptr 0
		.amdhsa_user_sgpr_kernarg_segment_ptr 1
		.amdhsa_user_sgpr_dispatch_id 0
		.amdhsa_user_sgpr_flat_scratch_init 0
		.amdhsa_user_sgpr_private_segment_size 0
		.amdhsa_wavefront_size32 1
		.amdhsa_uses_dynamic_stack 0
		.amdhsa_system_sgpr_private_segment_wavefront_offset 0
		.amdhsa_system_sgpr_workgroup_id_x 1
		.amdhsa_system_sgpr_workgroup_id_y 1
		.amdhsa_system_sgpr_workgroup_id_z 1
		.amdhsa_system_sgpr_workgroup_info 0
		.amdhsa_system_vgpr_workitem_id 1
		.amdhsa_next_free_vgpr 58
		.amdhsa_next_free_sgpr 36
		.amdhsa_reserve_vcc 1
		.amdhsa_reserve_flat_scratch 0
		.amdhsa_float_round_mode_32 0
		.amdhsa_float_round_mode_16_64 0
		.amdhsa_float_denorm_mode_32 3
		.amdhsa_float_denorm_mode_16_64 3
		.amdhsa_dx10_clamp 1
		.amdhsa_ieee_mode 1
		.amdhsa_fp16_overflow 0
		.amdhsa_workgroup_processor_mode 1
		.amdhsa_memory_ordered 1
		.amdhsa_forward_progress 1
		.amdhsa_shared_vgpr_count 0
		.amdhsa_exception_fp_ieee_invalid_op 0
		.amdhsa_exception_fp_denorm_src 0
		.amdhsa_exception_fp_ieee_div_zero 0
		.amdhsa_exception_fp_ieee_overflow 0
		.amdhsa_exception_fp_ieee_underflow 0
		.amdhsa_exception_fp_ieee_inexact 0
		.amdhsa_exception_int_div_zero 0
	.end_amdhsa_kernel
	.section	.text._ZN12_GLOBAL__N_127rocblas_gemm_batched_kernelIfLi16ELi16ELi64ELi64ELi4ELi64ELi4ELi4ELi64ELc67ELc67EKPKDF16_KPKfKPfEEvlllT_PT11_llSB_llS9_PT12_llPT13_lli,"axG",@progbits,_ZN12_GLOBAL__N_127rocblas_gemm_batched_kernelIfLi16ELi16ELi64ELi64ELi4ELi64ELi4ELi4ELi64ELc67ELc67EKPKDF16_KPKfKPfEEvlllT_PT11_llSB_llS9_PT12_llPT13_lli,comdat
.Lfunc_end116:
	.size	_ZN12_GLOBAL__N_127rocblas_gemm_batched_kernelIfLi16ELi16ELi64ELi64ELi4ELi64ELi4ELi4ELi64ELc67ELc67EKPKDF16_KPKfKPfEEvlllT_PT11_llSB_llS9_PT12_llPT13_lli, .Lfunc_end116-_ZN12_GLOBAL__N_127rocblas_gemm_batched_kernelIfLi16ELi16ELi64ELi64ELi4ELi64ELi4ELi4ELi64ELc67ELc67EKPKDF16_KPKfKPfEEvlllT_PT11_llSB_llS9_PT12_llPT13_lli
                                        ; -- End function
	.set _ZN12_GLOBAL__N_127rocblas_gemm_batched_kernelIfLi16ELi16ELi64ELi64ELi4ELi64ELi4ELi4ELi64ELc67ELc67EKPKDF16_KPKfKPfEEvlllT_PT11_llSB_llS9_PT12_llPT13_lli.num_vgpr, 58
	.set _ZN12_GLOBAL__N_127rocblas_gemm_batched_kernelIfLi16ELi16ELi64ELi64ELi4ELi64ELi4ELi4ELi64ELc67ELc67EKPKDF16_KPKfKPfEEvlllT_PT11_llSB_llS9_PT12_llPT13_lli.num_agpr, 0
	.set _ZN12_GLOBAL__N_127rocblas_gemm_batched_kernelIfLi16ELi16ELi64ELi64ELi4ELi64ELi4ELi4ELi64ELc67ELc67EKPKDF16_KPKfKPfEEvlllT_PT11_llSB_llS9_PT12_llPT13_lli.numbered_sgpr, 36
	.set _ZN12_GLOBAL__N_127rocblas_gemm_batched_kernelIfLi16ELi16ELi64ELi64ELi4ELi64ELi4ELi4ELi64ELc67ELc67EKPKDF16_KPKfKPfEEvlllT_PT11_llSB_llS9_PT12_llPT13_lli.num_named_barrier, 0
	.set _ZN12_GLOBAL__N_127rocblas_gemm_batched_kernelIfLi16ELi16ELi64ELi64ELi4ELi64ELi4ELi4ELi64ELc67ELc67EKPKDF16_KPKfKPfEEvlllT_PT11_llSB_llS9_PT12_llPT13_lli.private_seg_size, 0
	.set _ZN12_GLOBAL__N_127rocblas_gemm_batched_kernelIfLi16ELi16ELi64ELi64ELi4ELi64ELi4ELi4ELi64ELc67ELc67EKPKDF16_KPKfKPfEEvlllT_PT11_llSB_llS9_PT12_llPT13_lli.uses_vcc, 1
	.set _ZN12_GLOBAL__N_127rocblas_gemm_batched_kernelIfLi16ELi16ELi64ELi64ELi4ELi64ELi4ELi4ELi64ELc67ELc67EKPKDF16_KPKfKPfEEvlllT_PT11_llSB_llS9_PT12_llPT13_lli.uses_flat_scratch, 0
	.set _ZN12_GLOBAL__N_127rocblas_gemm_batched_kernelIfLi16ELi16ELi64ELi64ELi4ELi64ELi4ELi4ELi64ELc67ELc67EKPKDF16_KPKfKPfEEvlllT_PT11_llSB_llS9_PT12_llPT13_lli.has_dyn_sized_stack, 0
	.set _ZN12_GLOBAL__N_127rocblas_gemm_batched_kernelIfLi16ELi16ELi64ELi64ELi4ELi64ELi4ELi4ELi64ELc67ELc67EKPKDF16_KPKfKPfEEvlllT_PT11_llSB_llS9_PT12_llPT13_lli.has_recursion, 0
	.set _ZN12_GLOBAL__N_127rocblas_gemm_batched_kernelIfLi16ELi16ELi64ELi64ELi4ELi64ELi4ELi4ELi64ELc67ELc67EKPKDF16_KPKfKPfEEvlllT_PT11_llSB_llS9_PT12_llPT13_lli.has_indirect_call, 0
	.section	.AMDGPU.csdata,"",@progbits
; Kernel info:
; codeLenInByte = 2304
; TotalNumSgprs: 38
; NumVgprs: 58
; ScratchSize: 0
; MemoryBound: 0
; FloatMode: 240
; IeeeMode: 1
; LDSByteSize: 2048 bytes/workgroup (compile time only)
; SGPRBlocks: 0
; VGPRBlocks: 7
; NumSGPRsForWavesPerEU: 38
; NumVGPRsForWavesPerEU: 58
; Occupancy: 16
; WaveLimiterHint : 1
; COMPUTE_PGM_RSRC2:SCRATCH_EN: 0
; COMPUTE_PGM_RSRC2:USER_SGPR: 6
; COMPUTE_PGM_RSRC2:TRAP_HANDLER: 0
; COMPUTE_PGM_RSRC2:TGID_X_EN: 1
; COMPUTE_PGM_RSRC2:TGID_Y_EN: 1
; COMPUTE_PGM_RSRC2:TGID_Z_EN: 1
; COMPUTE_PGM_RSRC2:TIDIG_COMP_CNT: 1
	.section	.text._ZN12_GLOBAL__N_127rocblas_gemm_batched_kernelIfLi16ELi16ELi64ELi64ELi4ELi64ELi4ELi4ELi64ELc67ELc78EKPKDF16_KPKfKPfEEvlllT_PT11_llSB_llS9_PT12_llPT13_lli,"axG",@progbits,_ZN12_GLOBAL__N_127rocblas_gemm_batched_kernelIfLi16ELi16ELi64ELi64ELi4ELi64ELi4ELi4ELi64ELc67ELc78EKPKDF16_KPKfKPfEEvlllT_PT11_llSB_llS9_PT12_llPT13_lli,comdat
	.globl	_ZN12_GLOBAL__N_127rocblas_gemm_batched_kernelIfLi16ELi16ELi64ELi64ELi4ELi64ELi4ELi4ELi64ELc67ELc78EKPKDF16_KPKfKPfEEvlllT_PT11_llSB_llS9_PT12_llPT13_lli ; -- Begin function _ZN12_GLOBAL__N_127rocblas_gemm_batched_kernelIfLi16ELi16ELi64ELi64ELi4ELi64ELi4ELi4ELi64ELc67ELc78EKPKDF16_KPKfKPfEEvlllT_PT11_llSB_llS9_PT12_llPT13_lli
	.p2align	8
	.type	_ZN12_GLOBAL__N_127rocblas_gemm_batched_kernelIfLi16ELi16ELi64ELi64ELi4ELi64ELi4ELi4ELi64ELc67ELc78EKPKDF16_KPKfKPfEEvlllT_PT11_llSB_llS9_PT12_llPT13_lli,@function
_ZN12_GLOBAL__N_127rocblas_gemm_batched_kernelIfLi16ELi16ELi64ELi64ELi4ELi64ELi4ELi4ELi64ELc67ELc78EKPKDF16_KPKfKPfEEvlllT_PT11_llSB_llS9_PT12_llPT13_lli: ; @_ZN12_GLOBAL__N_127rocblas_gemm_batched_kernelIfLi16ELi16ELi64ELi64ELi4ELi64ELi4ELi4ELi64ELc67ELc78EKPKDF16_KPKfKPfEEvlllT_PT11_llSB_llS9_PT12_llPT13_lli
; %bb.0:
	s_clause 0x1
	s_load_dwordx8 s[12:19], s[4:5], 0x58
	s_load_dwordx2 s[28:29], s[4:5], 0x10
	s_mov_b32 s9, 0
	s_load_dwordx4 s[0:3], s[4:5], 0x78
	s_lshl_b64 s[34:35], s[8:9], 3
	s_mov_b32 s10, s7
	v_mov_b32_e32 v18, 0
	v_mov_b32_e32 v21, 0
	;; [unrolled: 1-line block ×14, first 2 shown]
	s_waitcnt lgkmcnt(0)
	s_add_u32 s8, s12, s34
	s_addc_u32 s9, s13, s35
	s_add_u32 s18, s18, s34
	s_addc_u32 s19, s19, s35
	s_load_dwordx2 s[12:13], s[8:9], 0x0
	s_load_dwordx2 s[18:19], s[18:19], 0x0
	v_cmp_lt_i64_e64 s20, s[28:29], 1
	v_mov_b32_e32 v7, 0
	v_mov_b32_e32 v6, 0
	s_ashr_i32 s7, s6, 31
	s_ashr_i32 s11, s10, 31
	s_lshl_b64 s[6:7], s[6:7], 6
	s_and_b32 vcc_lo, exec_lo, s20
	s_lshl_b64 s[30:31], s[10:11], 6
	s_cbranch_vccnz .LBB117_3
; %bb.1:
	v_lshlrev_b32_e32 v7, 4, v1
	s_clause 0x1
	s_load_dwordx8 s[20:27], s[4:5], 0x20
	s_load_dwordx4 s[8:11], s[4:5], 0x40
	v_and_b32_e32 v8, 3, v0
	v_lshlrev_b32_e32 v24, 2, v0
	v_mov_b32_e32 v16, 0
	v_add_nc_u32_e32 v2, v7, v0
	v_add_nc_u32_e32 v25, 0x400, v7
	v_lshlrev_b32_e32 v7, 1, v8
	v_lshlrev_b32_e32 v9, 2, v8
	v_mov_b32_e32 v17, 0
	v_lshrrev_b32_e32 v6, 2, v2
	v_and_b32_e32 v10, 63, v2
	v_lshrrev_b32_e32 v11, 6, v2
	v_mov_b32_e32 v19, 0
	v_mov_b32_e32 v20, 0
	v_add_co_u32 v2, s33, v6, s30
	v_add_co_ci_u32_e64 v3, null, 0, s31, s33
	v_add_co_u32 v4, s33, s6, v10
	v_add_co_ci_u32_e64 v5, null, s7, 0, s33
	s_waitcnt lgkmcnt(0)
	v_mul_lo_u32 v12, s9, v2
	v_mul_lo_u32 v13, s8, v3
	v_mad_u64_u32 v[2:3], null, s8, v2, 0
	v_mul_lo_u32 v14, s23, v4
	v_mul_lo_u32 v15, s22, v5
	v_mad_u64_u32 v[4:5], null, s22, v4, 0
	s_add_u32 s20, s20, s34
	s_addc_u32 s21, s21, s35
	s_add_u32 s26, s26, s34
	v_add3_u32 v3, v3, v13, v12
	s_addc_u32 s27, s27, s35
	s_load_dwordx2 s[20:21], s[20:21], 0x0
	s_load_dwordx2 s[8:9], s[26:27], 0x0
	v_add3_u32 v5, v5, v15, v14
	v_lshlrev_b64 v[2:3], 1, v[2:3]
	s_lshl_b64 s[10:11], s[10:11], 1
	v_lshlrev_b32_e32 v8, 1, v11
	v_lshlrev_b32_e32 v10, 2, v10
	v_lshlrev_b64 v[4:5], 1, v[4:5]
	v_lshl_or_b32 v9, v6, 4, v9
	v_add_co_u32 v2, vcc_lo, v2, s10
	v_add_co_ci_u32_e64 v3, null, s11, v3, vcc_lo
	s_lshl_b64 s[10:11], s[24:25], 1
	v_mov_b32_e32 v6, 0
	v_add_co_u32 v4, vcc_lo, v4, s10
	v_add_co_ci_u32_e64 v5, null, s11, v5, vcc_lo
	v_add_co_u32 v2, vcc_lo, v2, v7
	v_add_co_ci_u32_e64 v3, null, 0, v3, vcc_lo
	;; [unrolled: 2-line block ×3, first 2 shown]
	s_waitcnt lgkmcnt(0)
	v_add_co_u32 v2, vcc_lo, s8, v2
	v_add_co_ci_u32_e64 v3, null, s9, v3, vcc_lo
	v_add_co_u32 v4, vcc_lo, s20, v4
	v_lshl_or_b32 v22, v11, 8, v10
	v_add_nc_u32_e32 v23, 0x400, v9
	v_add_co_ci_u32_e64 v5, null, s21, v5, vcc_lo
	v_mov_b32_e32 v7, 0
	v_mov_b32_e32 v8, 0
	;; [unrolled: 1-line block ×11, first 2 shown]
	s_mov_b64 s[8:9], 0
.LBB117_2:                              ; =>This Inner Loop Header: Depth=1
	flat_load_ushort v26, v[4:5]
	flat_load_ushort v27, v[2:3]
	s_add_u32 s8, s8, 4
	s_addc_u32 s9, s9, 0
	v_add_co_u32 v2, vcc_lo, v2, 8
	v_cmp_lt_i64_e64 s10, s[8:9], s[28:29]
	v_add_co_ci_u32_e64 v3, null, 0, v3, vcc_lo
	v_add_co_u32 v4, vcc_lo, v4, 8
	v_add_co_ci_u32_e64 v5, null, 0, v5, vcc_lo
	s_and_b32 vcc_lo, exec_lo, s10
	s_waitcnt vmcnt(1) lgkmcnt(1)
	v_cvt_f32_f16_e32 v26, v26
	s_waitcnt vmcnt(0) lgkmcnt(0)
	v_cvt_f32_f16_e32 v27, v27
	ds_write_b32 v22, v26
	ds_write_b32 v23, v27
	s_waitcnt lgkmcnt(0)
	s_barrier
	buffer_gl0_inv
	ds_read_b128 v[26:29], v25
	ds_read2_b32 v[42:43], v24 offset1:16
	ds_read2_b32 v[44:45], v24 offset0:32 offset1:48
	ds_read_b128 v[30:33], v25 offset:256
	ds_read_b128 v[34:37], v25 offset:512
	ds_read_b128 v[38:41], v25 offset:768
	ds_read2_b32 v[46:47], v24 offset0:64 offset1:80
	ds_read2_b32 v[48:49], v24 offset0:96 offset1:112
	;; [unrolled: 1-line block ×6, first 2 shown]
	s_waitcnt lgkmcnt(0)
	s_barrier
	buffer_gl0_inv
	v_fmac_f32_e32 v18, v42, v26
	v_fmac_f32_e32 v21, v43, v26
	;; [unrolled: 1-line block ×64, first 2 shown]
	s_cbranch_vccnz .LBB117_2
.LBB117_3:
	s_load_dword s8, s[4:5], 0x50
	s_lshl_b64 s[10:11], s[2:3], 2
	s_load_dword s2, s[4:5], 0x18
	v_add_co_u32 v2, s4, s30, v1
	v_add_co_ci_u32_e64 v5, null, s31, 0, s4
	v_add_co_u32 v0, s4, s6, v0
	v_add_co_ci_u32_e64 v1, null, s7, 0, s4
	v_mul_lo_u32 v3, v5, s0
	v_mul_lo_u32 v4, v2, s1
	s_waitcnt lgkmcnt(0)
	s_add_u32 s3, s18, s10
	v_lshlrev_b64 v[0:1], 2, v[0:1]
	s_addc_u32 s4, s19, s11
	v_cmp_neq_f32_e64 s5, s8, 0
	s_and_b32 vcc_lo, exec_lo, s5
	s_mov_b32 s5, 0
	s_cbranch_vccnz .LBB117_7
; %bb.4:
	v_mad_u64_u32 v[22:23], null, v2, s0, 0
	s_lshl_b64 s[6:7], s[0:1], 6
	v_mul_f32_e32 v26, s2, v18
	v_mul_f32_e32 v27, s2, v21
	;; [unrolled: 1-line block ×5, first 2 shown]
	v_add3_u32 v23, v23, v4, v3
	v_mul_f32_e32 v31, s2, v16
	v_mul_f32_e32 v32, s2, v15
	;; [unrolled: 1-line block ×3, first 2 shown]
	v_lshlrev_b64 v[22:23], 2, v[22:23]
	v_add_co_u32 v22, vcc_lo, s3, v22
	v_add_co_ci_u32_e64 v23, null, s4, v23, vcc_lo
	v_add_co_u32 v34, vcc_lo, v22, s6
	v_add_co_ci_u32_e64 v35, null, s7, v23, vcc_lo
	;; [unrolled: 2-line block ×4, first 2 shown]
	flat_store_dword v[22:23], v26
	flat_store_dword v[22:23], v27 offset:64
	flat_store_dword v[22:23], v28 offset:128
	;; [unrolled: 1-line block ×3, first 2 shown]
	flat_store_dword v[24:25], v30
	flat_store_dword v[24:25], v31 offset:64
	v_add_co_u32 v26, vcc_lo, v34, s6
	v_add_co_ci_u32_e64 v27, null, s7, v35, vcc_lo
	v_mul_f32_e32 v28, s2, v13
	v_add_co_u32 v22, vcc_lo, v26, v0
	v_add_co_ci_u32_e64 v23, null, v27, v1, vcc_lo
	v_mul_f32_e32 v29, s2, v12
	v_mul_f32_e32 v30, s2, v11
	flat_store_dword v[24:25], v32 offset:128
	flat_store_dword v[24:25], v33 offset:192
	flat_store_dword v[22:23], v28
	flat_store_dword v[22:23], v29 offset:64
	flat_store_dword v[22:23], v30 offset:128
	v_add_co_u32 v24, vcc_lo, v26, s6
	v_add_co_ci_u32_e64 v25, null, s7, v27, vcc_lo
	v_mul_f32_e32 v28, s2, v10
	v_add_co_u32 v24, vcc_lo, v24, v0
	v_mul_f32_e32 v26, s2, v9
	v_add_co_ci_u32_e64 v25, null, v25, v1, vcc_lo
	v_mul_f32_e32 v27, s2, v8
	v_mul_f32_e32 v29, s2, v7
	;; [unrolled: 1-line block ×3, first 2 shown]
	flat_store_dword v[22:23], v28 offset:192
	flat_store_dword v[24:25], v26
	flat_store_dword v[24:25], v27 offset:64
	flat_store_dword v[24:25], v29 offset:128
	;; [unrolled: 1-line block ×3, first 2 shown]
	s_andn2_b32 vcc_lo, exec_lo, s5
	s_cbranch_vccnz .LBB117_6
.LBB117_5:
	v_mul_lo_u32 v5, v5, s14
	v_mul_lo_u32 v24, v2, s15
	v_mad_u64_u32 v[22:23], null, v2, s14, 0
	s_lshl_b64 s[6:7], s[16:17], 2
	s_add_u32 s5, s12, s6
	s_addc_u32 s6, s13, s7
	v_add3_u32 v23, v23, v24, v5
	v_mad_u64_u32 v[24:25], null, v2, s0, 0
	s_lshl_b64 s[0:1], s[0:1], 6
	v_lshlrev_b64 v[22:23], 2, v[22:23]
	v_add3_u32 v25, v25, v4, v3
	v_add_co_u32 v5, vcc_lo, s5, v22
	v_add_co_ci_u32_e64 v26, null, s6, v23, vcc_lo
	v_lshlrev_b64 v[2:3], 2, v[24:25]
	v_add_co_u32 v22, vcc_lo, v5, v0
	v_add_co_ci_u32_e64 v23, null, v26, v1, vcc_lo
	v_add_co_u32 v24, vcc_lo, s3, v2
	flat_load_dword v27, v[22:23]
	v_add_co_ci_u32_e64 v25, null, s4, v3, vcc_lo
	v_add_co_u32 v2, vcc_lo, v24, v0
	s_lshl_b64 s[4:5], s[14:15], 6
	v_add_co_ci_u32_e64 v3, null, v25, v1, vcc_lo
	s_waitcnt vmcnt(0) lgkmcnt(0)
	v_mul_f32_e32 v4, s8, v27
	v_fmac_f32_e32 v4, s2, v18
	flat_store_dword v[2:3], v4
	flat_load_dword v4, v[22:23] offset:64
	s_waitcnt vmcnt(0) lgkmcnt(0)
	v_mul_f32_e32 v4, s8, v4
	v_fmac_f32_e32 v4, s2, v21
	flat_store_dword v[2:3], v4 offset:64
	flat_load_dword v4, v[22:23] offset:128
	s_waitcnt vmcnt(0) lgkmcnt(0)
	v_mul_f32_e32 v4, s8, v4
	v_fmac_f32_e32 v4, s2, v20
	v_add_co_u32 v20, vcc_lo, v5, s4
	v_add_co_ci_u32_e64 v21, null, s5, v26, vcc_lo
	flat_store_dword v[2:3], v4 offset:128
	flat_load_dword v4, v[22:23] offset:192
	s_waitcnt vmcnt(0) lgkmcnt(0)
	v_mul_f32_e32 v18, s8, v4
	v_add_co_u32 v4, vcc_lo, v20, v0
	v_add_co_ci_u32_e64 v5, null, v21, v1, vcc_lo
	v_fmac_f32_e32 v18, s2, v19
	flat_store_dword v[2:3], v18 offset:192
	flat_load_dword v2, v[4:5]
	v_add_co_u32 v18, vcc_lo, v24, s0
	v_add_co_ci_u32_e64 v19, null, s1, v25, vcc_lo
	s_waitcnt vmcnt(0) lgkmcnt(0)
	v_mul_f32_e32 v22, s8, v2
	v_add_co_u32 v2, vcc_lo, v18, v0
	v_add_co_ci_u32_e64 v3, null, v19, v1, vcc_lo
	v_fmac_f32_e32 v22, s2, v17
	flat_store_dword v[2:3], v22
	flat_load_dword v17, v[4:5] offset:64
	s_waitcnt vmcnt(0) lgkmcnt(0)
	v_mul_f32_e32 v17, s8, v17
	v_fmac_f32_e32 v17, s2, v16
	flat_store_dword v[2:3], v17 offset:64
	flat_load_dword v16, v[4:5] offset:128
	s_waitcnt vmcnt(0) lgkmcnt(0)
	v_mul_f32_e32 v16, s8, v16
	v_fmac_f32_e32 v16, s2, v15
	flat_store_dword v[2:3], v16 offset:128
	flat_load_dword v4, v[4:5] offset:192
	v_add_co_u32 v16, vcc_lo, v20, s4
	v_add_co_ci_u32_e64 v17, null, s5, v21, vcc_lo
	s_waitcnt vmcnt(0) lgkmcnt(0)
	v_mul_f32_e32 v15, s8, v4
	v_add_co_u32 v4, vcc_lo, v16, v0
	v_add_co_ci_u32_e64 v5, null, v17, v1, vcc_lo
	v_fmac_f32_e32 v15, s2, v14
	v_add_co_u32 v14, vcc_lo, v18, s0
	flat_store_dword v[2:3], v15 offset:192
	flat_load_dword v2, v[4:5]
	v_add_co_ci_u32_e64 v15, null, s1, v19, vcc_lo
	s_waitcnt vmcnt(0) lgkmcnt(0)
	v_mul_f32_e32 v18, s8, v2
	v_add_co_u32 v2, vcc_lo, v14, v0
	v_add_co_ci_u32_e64 v3, null, v15, v1, vcc_lo
	v_fmac_f32_e32 v18, s2, v13
	flat_store_dword v[2:3], v18
	flat_load_dword v13, v[4:5] offset:64
	s_waitcnt vmcnt(0) lgkmcnt(0)
	v_mul_f32_e32 v13, s8, v13
	v_fmac_f32_e32 v13, s2, v12
	flat_store_dword v[2:3], v13 offset:64
	flat_load_dword v12, v[4:5] offset:128
	s_waitcnt vmcnt(0) lgkmcnt(0)
	v_mul_f32_e32 v12, s8, v12
	v_fmac_f32_e32 v12, s2, v11
	flat_store_dword v[2:3], v12 offset:128
	flat_load_dword v4, v[4:5] offset:192
	s_waitcnt vmcnt(0) lgkmcnt(0)
	v_mul_f32_e32 v11, s8, v4
	v_add_co_u32 v4, vcc_lo, v16, s4
	v_add_co_ci_u32_e64 v5, null, s5, v17, vcc_lo
	v_fmac_f32_e32 v11, s2, v10
	v_add_co_u32 v4, vcc_lo, v4, v0
	v_add_co_ci_u32_e64 v5, null, v5, v1, vcc_lo
	flat_store_dword v[2:3], v11 offset:192
	v_add_co_u32 v3, vcc_lo, v14, s0
	flat_load_dword v2, v[4:5]
	v_add_co_ci_u32_e64 v10, null, s1, v15, vcc_lo
	v_add_co_u32 v0, vcc_lo, v3, v0
	v_add_co_ci_u32_e64 v1, null, v10, v1, vcc_lo
	s_waitcnt vmcnt(0) lgkmcnt(0)
	v_mul_f32_e32 v2, s8, v2
	v_fmac_f32_e32 v2, s2, v9
	flat_store_dword v[0:1], v2
	flat_load_dword v2, v[4:5] offset:64
	s_waitcnt vmcnt(0) lgkmcnt(0)
	v_mul_f32_e32 v2, s8, v2
	v_fmac_f32_e32 v2, s2, v8
	flat_store_dword v[0:1], v2 offset:64
	flat_load_dword v2, v[4:5] offset:128
	s_waitcnt vmcnt(0) lgkmcnt(0)
	v_mul_f32_e32 v2, s8, v2
	v_fmac_f32_e32 v2, s2, v7
	flat_store_dword v[0:1], v2 offset:128
	;; [unrolled: 5-line block ×3, first 2 shown]
.LBB117_6:
	s_endpgm
.LBB117_7:
	s_branch .LBB117_5
	.section	.rodata,"a",@progbits
	.p2align	6, 0x0
	.amdhsa_kernel _ZN12_GLOBAL__N_127rocblas_gemm_batched_kernelIfLi16ELi16ELi64ELi64ELi4ELi64ELi4ELi4ELi64ELc67ELc78EKPKDF16_KPKfKPfEEvlllT_PT11_llSB_llS9_PT12_llPT13_lli
		.amdhsa_group_segment_fixed_size 2048
		.amdhsa_private_segment_fixed_size 0
		.amdhsa_kernarg_size 140
		.amdhsa_user_sgpr_count 6
		.amdhsa_user_sgpr_private_segment_buffer 1
		.amdhsa_user_sgpr_dispatch_ptr 0
		.amdhsa_user_sgpr_queue_ptr 0
		.amdhsa_user_sgpr_kernarg_segment_ptr 1
		.amdhsa_user_sgpr_dispatch_id 0
		.amdhsa_user_sgpr_flat_scratch_init 0
		.amdhsa_user_sgpr_private_segment_size 0
		.amdhsa_wavefront_size32 1
		.amdhsa_uses_dynamic_stack 0
		.amdhsa_system_sgpr_private_segment_wavefront_offset 0
		.amdhsa_system_sgpr_workgroup_id_x 1
		.amdhsa_system_sgpr_workgroup_id_y 1
		.amdhsa_system_sgpr_workgroup_id_z 1
		.amdhsa_system_sgpr_workgroup_info 0
		.amdhsa_system_vgpr_workitem_id 1
		.amdhsa_next_free_vgpr 58
		.amdhsa_next_free_sgpr 36
		.amdhsa_reserve_vcc 1
		.amdhsa_reserve_flat_scratch 0
		.amdhsa_float_round_mode_32 0
		.amdhsa_float_round_mode_16_64 0
		.amdhsa_float_denorm_mode_32 3
		.amdhsa_float_denorm_mode_16_64 3
		.amdhsa_dx10_clamp 1
		.amdhsa_ieee_mode 1
		.amdhsa_fp16_overflow 0
		.amdhsa_workgroup_processor_mode 1
		.amdhsa_memory_ordered 1
		.amdhsa_forward_progress 1
		.amdhsa_shared_vgpr_count 0
		.amdhsa_exception_fp_ieee_invalid_op 0
		.amdhsa_exception_fp_denorm_src 0
		.amdhsa_exception_fp_ieee_div_zero 0
		.amdhsa_exception_fp_ieee_overflow 0
		.amdhsa_exception_fp_ieee_underflow 0
		.amdhsa_exception_fp_ieee_inexact 0
		.amdhsa_exception_int_div_zero 0
	.end_amdhsa_kernel
	.section	.text._ZN12_GLOBAL__N_127rocblas_gemm_batched_kernelIfLi16ELi16ELi64ELi64ELi4ELi64ELi4ELi4ELi64ELc67ELc78EKPKDF16_KPKfKPfEEvlllT_PT11_llSB_llS9_PT12_llPT13_lli,"axG",@progbits,_ZN12_GLOBAL__N_127rocblas_gemm_batched_kernelIfLi16ELi16ELi64ELi64ELi4ELi64ELi4ELi4ELi64ELc67ELc78EKPKDF16_KPKfKPfEEvlllT_PT11_llSB_llS9_PT12_llPT13_lli,comdat
.Lfunc_end117:
	.size	_ZN12_GLOBAL__N_127rocblas_gemm_batched_kernelIfLi16ELi16ELi64ELi64ELi4ELi64ELi4ELi4ELi64ELc67ELc78EKPKDF16_KPKfKPfEEvlllT_PT11_llSB_llS9_PT12_llPT13_lli, .Lfunc_end117-_ZN12_GLOBAL__N_127rocblas_gemm_batched_kernelIfLi16ELi16ELi64ELi64ELi4ELi64ELi4ELi4ELi64ELc67ELc78EKPKDF16_KPKfKPfEEvlllT_PT11_llSB_llS9_PT12_llPT13_lli
                                        ; -- End function
	.set _ZN12_GLOBAL__N_127rocblas_gemm_batched_kernelIfLi16ELi16ELi64ELi64ELi4ELi64ELi4ELi4ELi64ELc67ELc78EKPKDF16_KPKfKPfEEvlllT_PT11_llSB_llS9_PT12_llPT13_lli.num_vgpr, 58
	.set _ZN12_GLOBAL__N_127rocblas_gemm_batched_kernelIfLi16ELi16ELi64ELi64ELi4ELi64ELi4ELi4ELi64ELc67ELc78EKPKDF16_KPKfKPfEEvlllT_PT11_llSB_llS9_PT12_llPT13_lli.num_agpr, 0
	.set _ZN12_GLOBAL__N_127rocblas_gemm_batched_kernelIfLi16ELi16ELi64ELi64ELi4ELi64ELi4ELi4ELi64ELc67ELc78EKPKDF16_KPKfKPfEEvlllT_PT11_llSB_llS9_PT12_llPT13_lli.numbered_sgpr, 36
	.set _ZN12_GLOBAL__N_127rocblas_gemm_batched_kernelIfLi16ELi16ELi64ELi64ELi4ELi64ELi4ELi4ELi64ELc67ELc78EKPKDF16_KPKfKPfEEvlllT_PT11_llSB_llS9_PT12_llPT13_lli.num_named_barrier, 0
	.set _ZN12_GLOBAL__N_127rocblas_gemm_batched_kernelIfLi16ELi16ELi64ELi64ELi4ELi64ELi4ELi4ELi64ELc67ELc78EKPKDF16_KPKfKPfEEvlllT_PT11_llSB_llS9_PT12_llPT13_lli.private_seg_size, 0
	.set _ZN12_GLOBAL__N_127rocblas_gemm_batched_kernelIfLi16ELi16ELi64ELi64ELi4ELi64ELi4ELi4ELi64ELc67ELc78EKPKDF16_KPKfKPfEEvlllT_PT11_llSB_llS9_PT12_llPT13_lli.uses_vcc, 1
	.set _ZN12_GLOBAL__N_127rocblas_gemm_batched_kernelIfLi16ELi16ELi64ELi64ELi4ELi64ELi4ELi4ELi64ELc67ELc78EKPKDF16_KPKfKPfEEvlllT_PT11_llSB_llS9_PT12_llPT13_lli.uses_flat_scratch, 0
	.set _ZN12_GLOBAL__N_127rocblas_gemm_batched_kernelIfLi16ELi16ELi64ELi64ELi4ELi64ELi4ELi4ELi64ELc67ELc78EKPKDF16_KPKfKPfEEvlllT_PT11_llSB_llS9_PT12_llPT13_lli.has_dyn_sized_stack, 0
	.set _ZN12_GLOBAL__N_127rocblas_gemm_batched_kernelIfLi16ELi16ELi64ELi64ELi4ELi64ELi4ELi4ELi64ELc67ELc78EKPKDF16_KPKfKPfEEvlllT_PT11_llSB_llS9_PT12_llPT13_lli.has_recursion, 0
	.set _ZN12_GLOBAL__N_127rocblas_gemm_batched_kernelIfLi16ELi16ELi64ELi64ELi4ELi64ELi4ELi4ELi64ELc67ELc78EKPKDF16_KPKfKPfEEvlllT_PT11_llSB_llS9_PT12_llPT13_lli.has_indirect_call, 0
	.section	.AMDGPU.csdata,"",@progbits
; Kernel info:
; codeLenInByte = 2340
; TotalNumSgprs: 38
; NumVgprs: 58
; ScratchSize: 0
; MemoryBound: 0
; FloatMode: 240
; IeeeMode: 1
; LDSByteSize: 2048 bytes/workgroup (compile time only)
; SGPRBlocks: 0
; VGPRBlocks: 7
; NumSGPRsForWavesPerEU: 38
; NumVGPRsForWavesPerEU: 58
; Occupancy: 16
; WaveLimiterHint : 1
; COMPUTE_PGM_RSRC2:SCRATCH_EN: 0
; COMPUTE_PGM_RSRC2:USER_SGPR: 6
; COMPUTE_PGM_RSRC2:TRAP_HANDLER: 0
; COMPUTE_PGM_RSRC2:TGID_X_EN: 1
; COMPUTE_PGM_RSRC2:TGID_Y_EN: 1
; COMPUTE_PGM_RSRC2:TGID_Z_EN: 1
; COMPUTE_PGM_RSRC2:TIDIG_COMP_CNT: 1
	.section	.text._ZN12_GLOBAL__N_127rocblas_gemm_batched_kernelIfLi16ELi16ELi64ELi64ELi4ELi64ELi4ELi4ELi64ELc67ELc84EKPKDF16_KPKfKPfEEvlllT_PT11_llSB_llS9_PT12_llPT13_lli,"axG",@progbits,_ZN12_GLOBAL__N_127rocblas_gemm_batched_kernelIfLi16ELi16ELi64ELi64ELi4ELi64ELi4ELi4ELi64ELc67ELc84EKPKDF16_KPKfKPfEEvlllT_PT11_llSB_llS9_PT12_llPT13_lli,comdat
	.globl	_ZN12_GLOBAL__N_127rocblas_gemm_batched_kernelIfLi16ELi16ELi64ELi64ELi4ELi64ELi4ELi4ELi64ELc67ELc84EKPKDF16_KPKfKPfEEvlllT_PT11_llSB_llS9_PT12_llPT13_lli ; -- Begin function _ZN12_GLOBAL__N_127rocblas_gemm_batched_kernelIfLi16ELi16ELi64ELi64ELi4ELi64ELi4ELi4ELi64ELc67ELc84EKPKDF16_KPKfKPfEEvlllT_PT11_llSB_llS9_PT12_llPT13_lli
	.p2align	8
	.type	_ZN12_GLOBAL__N_127rocblas_gemm_batched_kernelIfLi16ELi16ELi64ELi64ELi4ELi64ELi4ELi4ELi64ELc67ELc84EKPKDF16_KPKfKPfEEvlllT_PT11_llSB_llS9_PT12_llPT13_lli,@function
_ZN12_GLOBAL__N_127rocblas_gemm_batched_kernelIfLi16ELi16ELi64ELi64ELi4ELi64ELi4ELi4ELi64ELc67ELc84EKPKDF16_KPKfKPfEEvlllT_PT11_llSB_llS9_PT12_llPT13_lli: ; @_ZN12_GLOBAL__N_127rocblas_gemm_batched_kernelIfLi16ELi16ELi64ELi64ELi4ELi64ELi4ELi4ELi64ELc67ELc84EKPKDF16_KPKfKPfEEvlllT_PT11_llSB_llS9_PT12_llPT13_lli
; %bb.0:
	s_clause 0x1
	s_load_dwordx8 s[12:19], s[4:5], 0x58
	s_load_dwordx2 s[28:29], s[4:5], 0x10
	s_mov_b32 s9, 0
	s_load_dwordx4 s[0:3], s[4:5], 0x78
	s_lshl_b64 s[34:35], s[8:9], 3
	s_mov_b32 s10, s7
	v_mov_b32_e32 v18, 0
	v_mov_b32_e32 v21, 0
	;; [unrolled: 1-line block ×14, first 2 shown]
	s_waitcnt lgkmcnt(0)
	s_add_u32 s8, s12, s34
	s_addc_u32 s9, s13, s35
	s_add_u32 s18, s18, s34
	s_addc_u32 s19, s19, s35
	s_load_dwordx2 s[12:13], s[8:9], 0x0
	s_load_dwordx2 s[18:19], s[18:19], 0x0
	v_cmp_lt_i64_e64 s20, s[28:29], 1
	v_mov_b32_e32 v2, 0
	v_mov_b32_e32 v3, 0
	s_ashr_i32 s7, s6, 31
	s_ashr_i32 s11, s10, 31
	s_lshl_b64 s[6:7], s[6:7], 6
	s_and_b32 vcc_lo, exec_lo, s20
	s_lshl_b64 s[30:31], s[10:11], 6
	s_cbranch_vccnz .LBB118_3
; %bb.1:
	s_clause 0x1
	s_load_dwordx8 s[20:27], s[4:5], 0x20
	s_load_dwordx4 s[8:11], s[4:5], 0x40
	v_lshlrev_b32_e32 v8, 4, v1
	v_and_b32_e32 v10, 3, v0
	v_mov_b32_e32 v3, 0
	v_lshlrev_b32_e32 v22, 2, v0
	v_add_nc_u32_e32 v9, v8, v0
	v_lshlrev_b32_e32 v12, 2, v10
	v_add_nc_u32_e32 v23, 0x400, v8
	v_mov_b32_e32 v16, v3
	v_mov_b32_e32 v17, v3
	v_and_b32_e32 v11, 63, v9
	v_lshrrev_b32_e32 v2, 2, v9
	v_lshrrev_b32_e32 v9, 6, v9
	v_mov_b32_e32 v19, v3
	v_mov_b32_e32 v20, v3
	v_add_co_u32 v6, s33, s6, v11
	v_add_co_ci_u32_e64 v7, null, s7, 0, s33
	s_waitcnt lgkmcnt(0)
	s_add_u32 s20, s20, s34
	s_addc_u32 s21, s21, s35
	s_add_u32 s26, s26, s34
	s_addc_u32 s27, s27, s35
	v_mad_u64_u32 v[4:5], null, s8, v10, v[2:3]
	s_load_dwordx2 s[26:27], s[26:27], 0x0
	v_mul_lo_u32 v13, s23, v6
	v_mul_lo_u32 v14, s22, v7
	v_mad_u64_u32 v[6:7], null, s22, v6, 0
	v_lshlrev_b32_e32 v11, 2, v11
	v_lshl_or_b32 v12, v2, 4, v12
	v_mov_b32_e32 v2, v5
	v_lshlrev_b32_e32 v15, 1, v9
	s_load_dwordx2 s[20:21], s[20:21], 0x0
	v_lshl_or_b32 v24, v9, 8, v11
	v_add3_u32 v7, v7, v14, v13
	v_mad_u64_u32 v[8:9], null, s9, v10, v[2:3]
	s_lshl_b64 s[10:11], s[10:11], 1
	v_add_nc_u32_e32 v25, 0x400, v12
	v_lshlrev_b64 v[5:6], 1, v[6:7]
	v_add_co_u32 v7, vcc_lo, v4, s30
	v_mov_b32_e32 v9, v3
	v_add_co_ci_u32_e64 v8, null, s31, v8, vcc_lo
	s_waitcnt lgkmcnt(0)
	s_add_u32 s22, s26, s10
	s_addc_u32 s23, s27, s11
	s_lshl_b64 s[10:11], s[24:25], 1
	v_mov_b32_e32 v10, v3
	v_add_co_u32 v2, vcc_lo, v5, s10
	v_add_co_ci_u32_e64 v6, null, s11, v6, vcc_lo
	v_lshlrev_b64 v[4:5], 1, v[7:8]
	v_add_co_u32 v2, vcc_lo, v2, v15
	v_add_co_ci_u32_e64 v7, null, 0, v6, vcc_lo
	v_mov_b32_e32 v8, v3
	v_add_co_u32 v4, vcc_lo, s22, v4
	v_add_co_ci_u32_e64 v5, null, s23, v5, vcc_lo
	v_add_co_u32 v6, vcc_lo, s20, v2
	v_add_co_ci_u32_e64 v7, null, s21, v7, vcc_lo
	v_mov_b32_e32 v2, v3
	v_mov_b32_e32 v11, v3
	;; [unrolled: 1-line block ×8, first 2 shown]
	s_lshl_b64 s[8:9], s[8:9], 3
	s_mov_b64 s[10:11], 0
.LBB118_2:                              ; =>This Inner Loop Header: Depth=1
	flat_load_ushort v26, v[6:7]
	flat_load_ushort v27, v[4:5]
	s_add_u32 s10, s10, 4
	s_addc_u32 s11, s11, 0
	v_add_co_u32 v4, vcc_lo, v4, s8
	v_cmp_lt_i64_e64 s20, s[10:11], s[28:29]
	v_add_co_ci_u32_e64 v5, null, s9, v5, vcc_lo
	v_add_co_u32 v6, vcc_lo, v6, 8
	v_add_co_ci_u32_e64 v7, null, 0, v7, vcc_lo
	s_and_b32 vcc_lo, exec_lo, s20
	s_waitcnt vmcnt(1) lgkmcnt(1)
	v_cvt_f32_f16_e32 v26, v26
	s_waitcnt vmcnt(0) lgkmcnt(0)
	v_cvt_f32_f16_e32 v27, v27
	ds_write_b32 v24, v26
	ds_write_b32 v25, v27
	s_waitcnt lgkmcnt(0)
	s_barrier
	buffer_gl0_inv
	ds_read_b128 v[26:29], v23
	ds_read2_b32 v[42:43], v22 offset1:16
	ds_read2_b32 v[44:45], v22 offset0:32 offset1:48
	ds_read_b128 v[30:33], v23 offset:256
	ds_read_b128 v[34:37], v23 offset:512
	ds_read_b128 v[38:41], v23 offset:768
	ds_read2_b32 v[46:47], v22 offset0:64 offset1:80
	ds_read2_b32 v[48:49], v22 offset0:96 offset1:112
	;; [unrolled: 1-line block ×6, first 2 shown]
	s_waitcnt lgkmcnt(0)
	s_barrier
	buffer_gl0_inv
	v_fmac_f32_e32 v18, v42, v26
	v_fmac_f32_e32 v21, v43, v26
	;; [unrolled: 1-line block ×64, first 2 shown]
	s_cbranch_vccnz .LBB118_2
.LBB118_3:
	s_load_dword s8, s[4:5], 0x50
	s_lshl_b64 s[10:11], s[2:3], 2
	s_load_dword s2, s[4:5], 0x18
	v_add_co_u32 v4, s4, s30, v1
	v_add_co_ci_u32_e64 v7, null, s31, 0, s4
	v_add_co_u32 v0, s4, s6, v0
	v_add_co_ci_u32_e64 v1, null, s7, 0, s4
	v_mul_lo_u32 v5, v7, s0
	v_mul_lo_u32 v6, v4, s1
	s_waitcnt lgkmcnt(0)
	s_add_u32 s3, s18, s10
	v_lshlrev_b64 v[0:1], 2, v[0:1]
	s_addc_u32 s4, s19, s11
	v_cmp_neq_f32_e64 s5, s8, 0
	s_and_b32 vcc_lo, exec_lo, s5
	s_mov_b32 s5, 0
	s_cbranch_vccnz .LBB118_7
; %bb.4:
	v_mad_u64_u32 v[22:23], null, v4, s0, 0
	s_lshl_b64 s[6:7], s[0:1], 6
	v_mul_f32_e32 v26, s2, v18
	v_mul_f32_e32 v27, s2, v21
	v_mul_f32_e32 v28, s2, v20
	v_mul_f32_e32 v29, s2, v19
	v_mul_f32_e32 v30, s2, v17
	v_add3_u32 v23, v23, v6, v5
	v_mul_f32_e32 v31, s2, v16
	v_mul_f32_e32 v32, s2, v15
	;; [unrolled: 1-line block ×3, first 2 shown]
	v_lshlrev_b64 v[22:23], 2, v[22:23]
	v_add_co_u32 v22, vcc_lo, s3, v22
	v_add_co_ci_u32_e64 v23, null, s4, v23, vcc_lo
	v_add_co_u32 v34, vcc_lo, v22, s6
	v_add_co_ci_u32_e64 v35, null, s7, v23, vcc_lo
	;; [unrolled: 2-line block ×4, first 2 shown]
	flat_store_dword v[22:23], v26
	flat_store_dword v[22:23], v27 offset:64
	flat_store_dword v[22:23], v28 offset:128
	;; [unrolled: 1-line block ×3, first 2 shown]
	flat_store_dword v[24:25], v30
	flat_store_dword v[24:25], v31 offset:64
	v_add_co_u32 v26, vcc_lo, v34, s6
	v_add_co_ci_u32_e64 v27, null, s7, v35, vcc_lo
	v_mul_f32_e32 v28, s2, v13
	v_add_co_u32 v22, vcc_lo, v26, v0
	v_add_co_ci_u32_e64 v23, null, v27, v1, vcc_lo
	v_mul_f32_e32 v29, s2, v12
	v_mul_f32_e32 v30, s2, v11
	flat_store_dword v[24:25], v32 offset:128
	flat_store_dword v[24:25], v33 offset:192
	flat_store_dword v[22:23], v28
	flat_store_dword v[22:23], v29 offset:64
	flat_store_dword v[22:23], v30 offset:128
	v_add_co_u32 v24, vcc_lo, v26, s6
	v_add_co_ci_u32_e64 v25, null, s7, v27, vcc_lo
	v_mul_f32_e32 v28, s2, v10
	v_add_co_u32 v24, vcc_lo, v24, v0
	v_mul_f32_e32 v26, s2, v9
	v_add_co_ci_u32_e64 v25, null, v25, v1, vcc_lo
	v_mul_f32_e32 v27, s2, v8
	v_mul_f32_e32 v29, s2, v2
	;; [unrolled: 1-line block ×3, first 2 shown]
	flat_store_dword v[22:23], v28 offset:192
	flat_store_dword v[24:25], v26
	flat_store_dword v[24:25], v27 offset:64
	flat_store_dword v[24:25], v29 offset:128
	;; [unrolled: 1-line block ×3, first 2 shown]
	s_andn2_b32 vcc_lo, exec_lo, s5
	s_cbranch_vccnz .LBB118_6
.LBB118_5:
	v_mul_lo_u32 v7, v7, s14
	v_mul_lo_u32 v24, v4, s15
	v_mad_u64_u32 v[22:23], null, v4, s14, 0
	s_lshl_b64 s[6:7], s[16:17], 2
	s_add_u32 s5, s12, s6
	s_addc_u32 s6, s13, s7
	v_add3_u32 v23, v23, v24, v7
	v_mad_u64_u32 v[24:25], null, v4, s0, 0
	s_lshl_b64 s[0:1], s[0:1], 6
	v_lshlrev_b64 v[22:23], 2, v[22:23]
	v_add3_u32 v25, v25, v6, v5
	v_add_co_u32 v7, vcc_lo, s5, v22
	v_add_co_ci_u32_e64 v26, null, s6, v23, vcc_lo
	v_lshlrev_b64 v[4:5], 2, v[24:25]
	v_add_co_u32 v22, vcc_lo, v7, v0
	v_add_co_ci_u32_e64 v23, null, v26, v1, vcc_lo
	v_add_co_u32 v24, vcc_lo, s3, v4
	flat_load_dword v27, v[22:23]
	v_add_co_ci_u32_e64 v25, null, s4, v5, vcc_lo
	v_add_co_u32 v4, vcc_lo, v24, v0
	s_lshl_b64 s[4:5], s[14:15], 6
	v_add_co_ci_u32_e64 v5, null, v25, v1, vcc_lo
	s_waitcnt vmcnt(0) lgkmcnt(0)
	v_mul_f32_e32 v6, s8, v27
	v_fmac_f32_e32 v6, s2, v18
	flat_store_dword v[4:5], v6
	flat_load_dword v6, v[22:23] offset:64
	s_waitcnt vmcnt(0) lgkmcnt(0)
	v_mul_f32_e32 v6, s8, v6
	v_fmac_f32_e32 v6, s2, v21
	flat_store_dword v[4:5], v6 offset:64
	flat_load_dword v6, v[22:23] offset:128
	s_waitcnt vmcnt(0) lgkmcnt(0)
	v_mul_f32_e32 v6, s8, v6
	v_fmac_f32_e32 v6, s2, v20
	v_add_co_u32 v20, vcc_lo, v7, s4
	v_add_co_ci_u32_e64 v21, null, s5, v26, vcc_lo
	flat_store_dword v[4:5], v6 offset:128
	flat_load_dword v6, v[22:23] offset:192
	s_waitcnt vmcnt(0) lgkmcnt(0)
	v_mul_f32_e32 v18, s8, v6
	v_add_co_u32 v6, vcc_lo, v20, v0
	v_add_co_ci_u32_e64 v7, null, v21, v1, vcc_lo
	v_fmac_f32_e32 v18, s2, v19
	flat_store_dword v[4:5], v18 offset:192
	flat_load_dword v4, v[6:7]
	v_add_co_u32 v18, vcc_lo, v24, s0
	v_add_co_ci_u32_e64 v19, null, s1, v25, vcc_lo
	s_waitcnt vmcnt(0) lgkmcnt(0)
	v_mul_f32_e32 v22, s8, v4
	v_add_co_u32 v4, vcc_lo, v18, v0
	v_add_co_ci_u32_e64 v5, null, v19, v1, vcc_lo
	v_fmac_f32_e32 v22, s2, v17
	flat_store_dword v[4:5], v22
	flat_load_dword v17, v[6:7] offset:64
	s_waitcnt vmcnt(0) lgkmcnt(0)
	v_mul_f32_e32 v17, s8, v17
	v_fmac_f32_e32 v17, s2, v16
	flat_store_dword v[4:5], v17 offset:64
	flat_load_dword v16, v[6:7] offset:128
	s_waitcnt vmcnt(0) lgkmcnt(0)
	v_mul_f32_e32 v16, s8, v16
	v_fmac_f32_e32 v16, s2, v15
	flat_store_dword v[4:5], v16 offset:128
	flat_load_dword v6, v[6:7] offset:192
	v_add_co_u32 v16, vcc_lo, v20, s4
	v_add_co_ci_u32_e64 v17, null, s5, v21, vcc_lo
	s_waitcnt vmcnt(0) lgkmcnt(0)
	v_mul_f32_e32 v15, s8, v6
	v_add_co_u32 v6, vcc_lo, v16, v0
	v_add_co_ci_u32_e64 v7, null, v17, v1, vcc_lo
	v_fmac_f32_e32 v15, s2, v14
	v_add_co_u32 v14, vcc_lo, v18, s0
	flat_store_dword v[4:5], v15 offset:192
	flat_load_dword v4, v[6:7]
	v_add_co_ci_u32_e64 v15, null, s1, v19, vcc_lo
	s_waitcnt vmcnt(0) lgkmcnt(0)
	v_mul_f32_e32 v18, s8, v4
	v_add_co_u32 v4, vcc_lo, v14, v0
	v_add_co_ci_u32_e64 v5, null, v15, v1, vcc_lo
	v_fmac_f32_e32 v18, s2, v13
	flat_store_dword v[4:5], v18
	flat_load_dword v13, v[6:7] offset:64
	s_waitcnt vmcnt(0) lgkmcnt(0)
	v_mul_f32_e32 v13, s8, v13
	v_fmac_f32_e32 v13, s2, v12
	flat_store_dword v[4:5], v13 offset:64
	flat_load_dword v12, v[6:7] offset:128
	s_waitcnt vmcnt(0) lgkmcnt(0)
	v_mul_f32_e32 v12, s8, v12
	v_fmac_f32_e32 v12, s2, v11
	flat_store_dword v[4:5], v12 offset:128
	flat_load_dword v6, v[6:7] offset:192
	s_waitcnt vmcnt(0) lgkmcnt(0)
	v_mul_f32_e32 v11, s8, v6
	v_add_co_u32 v6, vcc_lo, v16, s4
	v_add_co_ci_u32_e64 v7, null, s5, v17, vcc_lo
	v_fmac_f32_e32 v11, s2, v10
	v_add_co_u32 v6, vcc_lo, v6, v0
	v_add_co_ci_u32_e64 v7, null, v7, v1, vcc_lo
	flat_store_dword v[4:5], v11 offset:192
	v_add_co_u32 v5, vcc_lo, v14, s0
	flat_load_dword v4, v[6:7]
	v_add_co_ci_u32_e64 v10, null, s1, v15, vcc_lo
	v_add_co_u32 v0, vcc_lo, v5, v0
	v_add_co_ci_u32_e64 v1, null, v10, v1, vcc_lo
	s_waitcnt vmcnt(0) lgkmcnt(0)
	v_mul_f32_e32 v4, s8, v4
	v_fmac_f32_e32 v4, s2, v9
	flat_store_dword v[0:1], v4
	flat_load_dword v4, v[6:7] offset:64
	s_waitcnt vmcnt(0) lgkmcnt(0)
	v_mul_f32_e32 v4, s8, v4
	v_fmac_f32_e32 v4, s2, v8
	flat_store_dword v[0:1], v4 offset:64
	flat_load_dword v4, v[6:7] offset:128
	s_waitcnt vmcnt(0) lgkmcnt(0)
	v_mul_f32_e32 v4, s8, v4
	v_fmac_f32_e32 v4, s2, v2
	flat_store_dword v[0:1], v4 offset:128
	flat_load_dword v2, v[6:7] offset:192
	s_waitcnt vmcnt(0) lgkmcnt(0)
	v_mul_f32_e32 v2, s8, v2
	v_fmac_f32_e32 v2, s2, v3
	flat_store_dword v[0:1], v2 offset:192
.LBB118_6:
	s_endpgm
.LBB118_7:
	s_branch .LBB118_5
	.section	.rodata,"a",@progbits
	.p2align	6, 0x0
	.amdhsa_kernel _ZN12_GLOBAL__N_127rocblas_gemm_batched_kernelIfLi16ELi16ELi64ELi64ELi4ELi64ELi4ELi4ELi64ELc67ELc84EKPKDF16_KPKfKPfEEvlllT_PT11_llSB_llS9_PT12_llPT13_lli
		.amdhsa_group_segment_fixed_size 2048
		.amdhsa_private_segment_fixed_size 0
		.amdhsa_kernarg_size 140
		.amdhsa_user_sgpr_count 6
		.amdhsa_user_sgpr_private_segment_buffer 1
		.amdhsa_user_sgpr_dispatch_ptr 0
		.amdhsa_user_sgpr_queue_ptr 0
		.amdhsa_user_sgpr_kernarg_segment_ptr 1
		.amdhsa_user_sgpr_dispatch_id 0
		.amdhsa_user_sgpr_flat_scratch_init 0
		.amdhsa_user_sgpr_private_segment_size 0
		.amdhsa_wavefront_size32 1
		.amdhsa_uses_dynamic_stack 0
		.amdhsa_system_sgpr_private_segment_wavefront_offset 0
		.amdhsa_system_sgpr_workgroup_id_x 1
		.amdhsa_system_sgpr_workgroup_id_y 1
		.amdhsa_system_sgpr_workgroup_id_z 1
		.amdhsa_system_sgpr_workgroup_info 0
		.amdhsa_system_vgpr_workitem_id 1
		.amdhsa_next_free_vgpr 58
		.amdhsa_next_free_sgpr 36
		.amdhsa_reserve_vcc 1
		.amdhsa_reserve_flat_scratch 0
		.amdhsa_float_round_mode_32 0
		.amdhsa_float_round_mode_16_64 0
		.amdhsa_float_denorm_mode_32 3
		.amdhsa_float_denorm_mode_16_64 3
		.amdhsa_dx10_clamp 1
		.amdhsa_ieee_mode 1
		.amdhsa_fp16_overflow 0
		.amdhsa_workgroup_processor_mode 1
		.amdhsa_memory_ordered 1
		.amdhsa_forward_progress 1
		.amdhsa_shared_vgpr_count 0
		.amdhsa_exception_fp_ieee_invalid_op 0
		.amdhsa_exception_fp_denorm_src 0
		.amdhsa_exception_fp_ieee_div_zero 0
		.amdhsa_exception_fp_ieee_overflow 0
		.amdhsa_exception_fp_ieee_underflow 0
		.amdhsa_exception_fp_ieee_inexact 0
		.amdhsa_exception_int_div_zero 0
	.end_amdhsa_kernel
	.section	.text._ZN12_GLOBAL__N_127rocblas_gemm_batched_kernelIfLi16ELi16ELi64ELi64ELi4ELi64ELi4ELi4ELi64ELc67ELc84EKPKDF16_KPKfKPfEEvlllT_PT11_llSB_llS9_PT12_llPT13_lli,"axG",@progbits,_ZN12_GLOBAL__N_127rocblas_gemm_batched_kernelIfLi16ELi16ELi64ELi64ELi4ELi64ELi4ELi4ELi64ELc67ELc84EKPKDF16_KPKfKPfEEvlllT_PT11_llSB_llS9_PT12_llPT13_lli,comdat
.Lfunc_end118:
	.size	_ZN12_GLOBAL__N_127rocblas_gemm_batched_kernelIfLi16ELi16ELi64ELi64ELi4ELi64ELi4ELi4ELi64ELc67ELc84EKPKDF16_KPKfKPfEEvlllT_PT11_llSB_llS9_PT12_llPT13_lli, .Lfunc_end118-_ZN12_GLOBAL__N_127rocblas_gemm_batched_kernelIfLi16ELi16ELi64ELi64ELi4ELi64ELi4ELi4ELi64ELc67ELc84EKPKDF16_KPKfKPfEEvlllT_PT11_llSB_llS9_PT12_llPT13_lli
                                        ; -- End function
	.set _ZN12_GLOBAL__N_127rocblas_gemm_batched_kernelIfLi16ELi16ELi64ELi64ELi4ELi64ELi4ELi4ELi64ELc67ELc84EKPKDF16_KPKfKPfEEvlllT_PT11_llSB_llS9_PT12_llPT13_lli.num_vgpr, 58
	.set _ZN12_GLOBAL__N_127rocblas_gemm_batched_kernelIfLi16ELi16ELi64ELi64ELi4ELi64ELi4ELi4ELi64ELc67ELc84EKPKDF16_KPKfKPfEEvlllT_PT11_llSB_llS9_PT12_llPT13_lli.num_agpr, 0
	.set _ZN12_GLOBAL__N_127rocblas_gemm_batched_kernelIfLi16ELi16ELi64ELi64ELi4ELi64ELi4ELi4ELi64ELc67ELc84EKPKDF16_KPKfKPfEEvlllT_PT11_llSB_llS9_PT12_llPT13_lli.numbered_sgpr, 36
	.set _ZN12_GLOBAL__N_127rocblas_gemm_batched_kernelIfLi16ELi16ELi64ELi64ELi4ELi64ELi4ELi4ELi64ELc67ELc84EKPKDF16_KPKfKPfEEvlllT_PT11_llSB_llS9_PT12_llPT13_lli.num_named_barrier, 0
	.set _ZN12_GLOBAL__N_127rocblas_gemm_batched_kernelIfLi16ELi16ELi64ELi64ELi4ELi64ELi4ELi4ELi64ELc67ELc84EKPKDF16_KPKfKPfEEvlllT_PT11_llSB_llS9_PT12_llPT13_lli.private_seg_size, 0
	.set _ZN12_GLOBAL__N_127rocblas_gemm_batched_kernelIfLi16ELi16ELi64ELi64ELi4ELi64ELi4ELi4ELi64ELc67ELc84EKPKDF16_KPKfKPfEEvlllT_PT11_llSB_llS9_PT12_llPT13_lli.uses_vcc, 1
	.set _ZN12_GLOBAL__N_127rocblas_gemm_batched_kernelIfLi16ELi16ELi64ELi64ELi4ELi64ELi4ELi4ELi64ELc67ELc84EKPKDF16_KPKfKPfEEvlllT_PT11_llSB_llS9_PT12_llPT13_lli.uses_flat_scratch, 0
	.set _ZN12_GLOBAL__N_127rocblas_gemm_batched_kernelIfLi16ELi16ELi64ELi64ELi4ELi64ELi4ELi4ELi64ELc67ELc84EKPKDF16_KPKfKPfEEvlllT_PT11_llSB_llS9_PT12_llPT13_lli.has_dyn_sized_stack, 0
	.set _ZN12_GLOBAL__N_127rocblas_gemm_batched_kernelIfLi16ELi16ELi64ELi64ELi4ELi64ELi4ELi4ELi64ELc67ELc84EKPKDF16_KPKfKPfEEvlllT_PT11_llSB_llS9_PT12_llPT13_lli.has_recursion, 0
	.set _ZN12_GLOBAL__N_127rocblas_gemm_batched_kernelIfLi16ELi16ELi64ELi64ELi4ELi64ELi4ELi4ELi64ELc67ELc84EKPKDF16_KPKfKPfEEvlllT_PT11_llSB_llS9_PT12_llPT13_lli.has_indirect_call, 0
	.section	.AMDGPU.csdata,"",@progbits
; Kernel info:
; codeLenInByte = 2304
; TotalNumSgprs: 38
; NumVgprs: 58
; ScratchSize: 0
; MemoryBound: 0
; FloatMode: 240
; IeeeMode: 1
; LDSByteSize: 2048 bytes/workgroup (compile time only)
; SGPRBlocks: 0
; VGPRBlocks: 7
; NumSGPRsForWavesPerEU: 38
; NumVGPRsForWavesPerEU: 58
; Occupancy: 16
; WaveLimiterHint : 1
; COMPUTE_PGM_RSRC2:SCRATCH_EN: 0
; COMPUTE_PGM_RSRC2:USER_SGPR: 6
; COMPUTE_PGM_RSRC2:TRAP_HANDLER: 0
; COMPUTE_PGM_RSRC2:TGID_X_EN: 1
; COMPUTE_PGM_RSRC2:TGID_Y_EN: 1
; COMPUTE_PGM_RSRC2:TGID_Z_EN: 1
; COMPUTE_PGM_RSRC2:TIDIG_COMP_CNT: 1
	.section	.text._ZN12_GLOBAL__N_127rocblas_gemm_batched_kernelIfLi16ELi16ELi64ELi64ELi4ELi64ELi4ELi4ELi64ELc78ELc67EKPKDF16_KPKfKPfEEvlllT_PT11_llSB_llS9_PT12_llPT13_lli,"axG",@progbits,_ZN12_GLOBAL__N_127rocblas_gemm_batched_kernelIfLi16ELi16ELi64ELi64ELi4ELi64ELi4ELi4ELi64ELc78ELc67EKPKDF16_KPKfKPfEEvlllT_PT11_llSB_llS9_PT12_llPT13_lli,comdat
	.globl	_ZN12_GLOBAL__N_127rocblas_gemm_batched_kernelIfLi16ELi16ELi64ELi64ELi4ELi64ELi4ELi4ELi64ELc78ELc67EKPKDF16_KPKfKPfEEvlllT_PT11_llSB_llS9_PT12_llPT13_lli ; -- Begin function _ZN12_GLOBAL__N_127rocblas_gemm_batched_kernelIfLi16ELi16ELi64ELi64ELi4ELi64ELi4ELi4ELi64ELc78ELc67EKPKDF16_KPKfKPfEEvlllT_PT11_llSB_llS9_PT12_llPT13_lli
	.p2align	8
	.type	_ZN12_GLOBAL__N_127rocblas_gemm_batched_kernelIfLi16ELi16ELi64ELi64ELi4ELi64ELi4ELi4ELi64ELc78ELc67EKPKDF16_KPKfKPfEEvlllT_PT11_llSB_llS9_PT12_llPT13_lli,@function
_ZN12_GLOBAL__N_127rocblas_gemm_batched_kernelIfLi16ELi16ELi64ELi64ELi4ELi64ELi4ELi4ELi64ELc78ELc67EKPKDF16_KPKfKPfEEvlllT_PT11_llSB_llS9_PT12_llPT13_lli: ; @_ZN12_GLOBAL__N_127rocblas_gemm_batched_kernelIfLi16ELi16ELi64ELi64ELi4ELi64ELi4ELi4ELi64ELc78ELc67EKPKDF16_KPKfKPfEEvlllT_PT11_llSB_llS9_PT12_llPT13_lli
; %bb.0:
	s_clause 0x1
	s_load_dwordx8 s[12:19], s[4:5], 0x58
	s_load_dwordx2 s[28:29], s[4:5], 0x10
	s_mov_b32 s9, 0
	s_load_dwordx4 s[0:3], s[4:5], 0x78
	s_lshl_b64 s[34:35], s[8:9], 3
	s_mov_b32 s10, s7
	v_mov_b32_e32 v18, 0
	v_mov_b32_e32 v21, 0
	;; [unrolled: 1-line block ×14, first 2 shown]
	s_waitcnt lgkmcnt(0)
	s_add_u32 s8, s12, s34
	s_addc_u32 s9, s13, s35
	s_add_u32 s18, s18, s34
	s_addc_u32 s19, s19, s35
	s_load_dwordx2 s[12:13], s[8:9], 0x0
	s_load_dwordx2 s[18:19], s[18:19], 0x0
	v_cmp_lt_i64_e64 s20, s[28:29], 1
	v_mov_b32_e32 v2, 0
	v_mov_b32_e32 v3, 0
	s_ashr_i32 s7, s6, 31
	s_ashr_i32 s11, s10, 31
	s_lshl_b64 s[6:7], s[6:7], 6
	s_and_b32 vcc_lo, exec_lo, s20
	s_lshl_b64 s[30:31], s[10:11], 6
	s_cbranch_vccnz .LBB119_3
; %bb.1:
	s_clause 0x1
	s_load_dwordx8 s[20:27], s[4:5], 0x20
	s_load_dwordx4 s[8:11], s[4:5], 0x40
	v_lshlrev_b32_e32 v8, 4, v1
	v_and_b32_e32 v9, 3, v0
	v_mov_b32_e32 v3, 0
	v_lshlrev_b32_e32 v22, 2, v0
	v_add_nc_u32_e32 v4, v8, v0
	v_lshlrev_b32_e32 v11, 2, v9
	v_add_nc_u32_e32 v23, 0x400, v8
	v_mov_b32_e32 v14, v3
	v_mov_b32_e32 v15, v3
	v_lshrrev_b32_e32 v2, 2, v4
	v_lshrrev_b32_e32 v12, 6, v4
	v_and_b32_e32 v10, 63, v4
	v_mov_b32_e32 v16, v3
	v_mov_b32_e32 v17, v3
	v_lshl_or_b32 v11, v2, 4, v11
	v_mov_b32_e32 v19, v3
	v_lshlrev_b32_e32 v13, 2, v10
	s_waitcnt lgkmcnt(0)
	v_mad_u64_u32 v[6:7], null, s22, v12, s[6:7]
	v_mad_u64_u32 v[4:5], null, s8, v9, v[2:3]
	s_add_u32 s20, s20, s34
	s_addc_u32 s21, s21, s35
	s_add_u32 s26, s26, s34
	s_addc_u32 s27, s27, s35
	s_load_dwordx2 s[20:21], s[20:21], 0x0
	s_load_dwordx2 s[26:27], s[26:27], 0x0
	v_mov_b32_e32 v2, v5
	v_mov_b32_e32 v5, v7
	v_add_co_u32 v4, vcc_lo, v4, s30
	s_lshl_b64 s[10:11], s[10:11], 1
	v_mad_u64_u32 v[7:8], null, s9, v9, v[2:3]
	v_mad_u64_u32 v[8:9], null, s23, v12, v[5:6]
	v_lshl_or_b32 v24, v12, 8, v13
	v_add_nc_u32_e32 v25, 0x400, v11
	v_mov_b32_e32 v2, v3
	v_mov_b32_e32 v9, v3
	v_add_co_ci_u32_e64 v5, null, s31, v7, vcc_lo
	v_add_co_u32 v6, vcc_lo, v6, v10
	v_add_co_ci_u32_e64 v7, null, 0, v8, vcc_lo
	v_lshlrev_b64 v[4:5], 1, v[4:5]
	s_waitcnt lgkmcnt(0)
	s_add_u32 s26, s26, s10
	s_addc_u32 s27, s27, s11
	v_lshlrev_b64 v[6:7], 1, v[6:7]
	s_lshl_b64 s[10:11], s[24:25], 1
	s_lshl_b64 s[8:9], s[8:9], 3
	s_add_u32 s10, s20, s10
	v_add_co_u32 v4, vcc_lo, s26, v4
	s_addc_u32 s11, s21, s11
	v_add_co_ci_u32_e64 v5, null, s27, v5, vcc_lo
	v_add_co_u32 v6, vcc_lo, s10, v6
	v_add_co_ci_u32_e64 v7, null, s11, v7, vcc_lo
	v_mov_b32_e32 v8, v3
	v_mov_b32_e32 v10, v3
	v_mov_b32_e32 v11, v3
	v_mov_b32_e32 v12, v3
	v_mov_b32_e32 v13, v3
	v_mov_b32_e32 v20, v3
	v_mov_b32_e32 v21, v3
	v_mov_b32_e32 v18, v3
	s_lshl_b64 s[10:11], s[22:23], 3
	s_mov_b64 s[20:21], 0
.LBB119_2:                              ; =>This Inner Loop Header: Depth=1
	flat_load_ushort v26, v[6:7]
	flat_load_ushort v27, v[4:5]
	s_add_u32 s20, s20, 4
	s_addc_u32 s21, s21, 0
	v_add_co_u32 v4, vcc_lo, v4, s8
	v_cmp_lt_i64_e64 s22, s[20:21], s[28:29]
	v_add_co_ci_u32_e64 v5, null, s9, v5, vcc_lo
	v_add_co_u32 v6, vcc_lo, v6, s10
	v_add_co_ci_u32_e64 v7, null, s11, v7, vcc_lo
	s_and_b32 vcc_lo, exec_lo, s22
	s_waitcnt vmcnt(1) lgkmcnt(1)
	v_cvt_f32_f16_e32 v26, v26
	s_waitcnt vmcnt(0) lgkmcnt(0)
	v_cvt_f32_f16_e32 v27, v27
	ds_write_b32 v24, v26
	ds_write_b32 v25, v27
	s_waitcnt lgkmcnt(0)
	s_barrier
	buffer_gl0_inv
	ds_read_b128 v[26:29], v23
	ds_read2_b32 v[42:43], v22 offset1:16
	ds_read2_b32 v[44:45], v22 offset0:32 offset1:48
	ds_read_b128 v[30:33], v23 offset:256
	ds_read_b128 v[34:37], v23 offset:512
	;; [unrolled: 1-line block ×3, first 2 shown]
	ds_read2_b32 v[46:47], v22 offset0:64 offset1:80
	ds_read2_b32 v[48:49], v22 offset0:96 offset1:112
	;; [unrolled: 1-line block ×6, first 2 shown]
	s_waitcnt lgkmcnt(0)
	s_barrier
	buffer_gl0_inv
	v_fmac_f32_e32 v18, v42, v26
	v_fmac_f32_e32 v21, v43, v26
	;; [unrolled: 1-line block ×64, first 2 shown]
	s_cbranch_vccnz .LBB119_2
.LBB119_3:
	s_load_dword s8, s[4:5], 0x50
	s_lshl_b64 s[10:11], s[2:3], 2
	s_load_dword s2, s[4:5], 0x18
	v_add_co_u32 v4, s4, s30, v1
	v_add_co_ci_u32_e64 v7, null, s31, 0, s4
	v_add_co_u32 v0, s4, s6, v0
	v_add_co_ci_u32_e64 v1, null, s7, 0, s4
	v_mul_lo_u32 v5, v7, s0
	v_mul_lo_u32 v6, v4, s1
	s_waitcnt lgkmcnt(0)
	s_add_u32 s3, s18, s10
	v_lshlrev_b64 v[0:1], 2, v[0:1]
	s_addc_u32 s4, s19, s11
	v_cmp_neq_f32_e64 s5, s8, 0
	s_and_b32 vcc_lo, exec_lo, s5
	s_mov_b32 s5, 0
	s_cbranch_vccnz .LBB119_7
; %bb.4:
	v_mad_u64_u32 v[22:23], null, v4, s0, 0
	s_lshl_b64 s[6:7], s[0:1], 6
	v_mul_f32_e32 v26, s2, v18
	v_mul_f32_e32 v27, s2, v21
	;; [unrolled: 1-line block ×5, first 2 shown]
	v_add3_u32 v23, v23, v6, v5
	v_mul_f32_e32 v31, s2, v16
	v_mul_f32_e32 v32, s2, v15
	;; [unrolled: 1-line block ×3, first 2 shown]
	v_lshlrev_b64 v[22:23], 2, v[22:23]
	v_add_co_u32 v22, vcc_lo, s3, v22
	v_add_co_ci_u32_e64 v23, null, s4, v23, vcc_lo
	v_add_co_u32 v34, vcc_lo, v22, s6
	v_add_co_ci_u32_e64 v35, null, s7, v23, vcc_lo
	;; [unrolled: 2-line block ×4, first 2 shown]
	flat_store_dword v[22:23], v26
	flat_store_dword v[22:23], v27 offset:64
	flat_store_dword v[22:23], v28 offset:128
	;; [unrolled: 1-line block ×3, first 2 shown]
	flat_store_dword v[24:25], v30
	flat_store_dword v[24:25], v31 offset:64
	v_add_co_u32 v26, vcc_lo, v34, s6
	v_add_co_ci_u32_e64 v27, null, s7, v35, vcc_lo
	v_mul_f32_e32 v28, s2, v13
	v_add_co_u32 v22, vcc_lo, v26, v0
	v_add_co_ci_u32_e64 v23, null, v27, v1, vcc_lo
	v_mul_f32_e32 v29, s2, v12
	v_mul_f32_e32 v30, s2, v11
	flat_store_dword v[24:25], v32 offset:128
	flat_store_dword v[24:25], v33 offset:192
	flat_store_dword v[22:23], v28
	flat_store_dword v[22:23], v29 offset:64
	flat_store_dword v[22:23], v30 offset:128
	v_add_co_u32 v24, vcc_lo, v26, s6
	v_add_co_ci_u32_e64 v25, null, s7, v27, vcc_lo
	v_mul_f32_e32 v28, s2, v10
	v_add_co_u32 v24, vcc_lo, v24, v0
	v_mul_f32_e32 v26, s2, v9
	v_add_co_ci_u32_e64 v25, null, v25, v1, vcc_lo
	v_mul_f32_e32 v27, s2, v8
	v_mul_f32_e32 v29, s2, v2
	;; [unrolled: 1-line block ×3, first 2 shown]
	flat_store_dword v[22:23], v28 offset:192
	flat_store_dword v[24:25], v26
	flat_store_dword v[24:25], v27 offset:64
	flat_store_dword v[24:25], v29 offset:128
	flat_store_dword v[24:25], v30 offset:192
	s_andn2_b32 vcc_lo, exec_lo, s5
	s_cbranch_vccnz .LBB119_6
.LBB119_5:
	v_mul_lo_u32 v7, v7, s14
	v_mul_lo_u32 v24, v4, s15
	v_mad_u64_u32 v[22:23], null, v4, s14, 0
	s_lshl_b64 s[6:7], s[16:17], 2
	s_add_u32 s5, s12, s6
	s_addc_u32 s6, s13, s7
	v_add3_u32 v23, v23, v24, v7
	v_mad_u64_u32 v[24:25], null, v4, s0, 0
	s_lshl_b64 s[0:1], s[0:1], 6
	v_lshlrev_b64 v[22:23], 2, v[22:23]
	v_add3_u32 v25, v25, v6, v5
	v_add_co_u32 v7, vcc_lo, s5, v22
	v_add_co_ci_u32_e64 v26, null, s6, v23, vcc_lo
	v_lshlrev_b64 v[4:5], 2, v[24:25]
	v_add_co_u32 v22, vcc_lo, v7, v0
	v_add_co_ci_u32_e64 v23, null, v26, v1, vcc_lo
	v_add_co_u32 v24, vcc_lo, s3, v4
	flat_load_dword v27, v[22:23]
	v_add_co_ci_u32_e64 v25, null, s4, v5, vcc_lo
	v_add_co_u32 v4, vcc_lo, v24, v0
	s_lshl_b64 s[4:5], s[14:15], 6
	v_add_co_ci_u32_e64 v5, null, v25, v1, vcc_lo
	s_waitcnt vmcnt(0) lgkmcnt(0)
	v_mul_f32_e32 v6, s8, v27
	v_fmac_f32_e32 v6, s2, v18
	flat_store_dword v[4:5], v6
	flat_load_dword v6, v[22:23] offset:64
	s_waitcnt vmcnt(0) lgkmcnt(0)
	v_mul_f32_e32 v6, s8, v6
	v_fmac_f32_e32 v6, s2, v21
	flat_store_dword v[4:5], v6 offset:64
	flat_load_dword v6, v[22:23] offset:128
	s_waitcnt vmcnt(0) lgkmcnt(0)
	v_mul_f32_e32 v6, s8, v6
	v_fmac_f32_e32 v6, s2, v20
	v_add_co_u32 v20, vcc_lo, v7, s4
	v_add_co_ci_u32_e64 v21, null, s5, v26, vcc_lo
	flat_store_dword v[4:5], v6 offset:128
	flat_load_dword v6, v[22:23] offset:192
	s_waitcnt vmcnt(0) lgkmcnt(0)
	v_mul_f32_e32 v18, s8, v6
	v_add_co_u32 v6, vcc_lo, v20, v0
	v_add_co_ci_u32_e64 v7, null, v21, v1, vcc_lo
	v_fmac_f32_e32 v18, s2, v19
	flat_store_dword v[4:5], v18 offset:192
	flat_load_dword v4, v[6:7]
	v_add_co_u32 v18, vcc_lo, v24, s0
	v_add_co_ci_u32_e64 v19, null, s1, v25, vcc_lo
	s_waitcnt vmcnt(0) lgkmcnt(0)
	v_mul_f32_e32 v22, s8, v4
	v_add_co_u32 v4, vcc_lo, v18, v0
	v_add_co_ci_u32_e64 v5, null, v19, v1, vcc_lo
	v_fmac_f32_e32 v22, s2, v17
	flat_store_dword v[4:5], v22
	flat_load_dword v17, v[6:7] offset:64
	s_waitcnt vmcnt(0) lgkmcnt(0)
	v_mul_f32_e32 v17, s8, v17
	v_fmac_f32_e32 v17, s2, v16
	flat_store_dword v[4:5], v17 offset:64
	flat_load_dword v16, v[6:7] offset:128
	s_waitcnt vmcnt(0) lgkmcnt(0)
	v_mul_f32_e32 v16, s8, v16
	v_fmac_f32_e32 v16, s2, v15
	flat_store_dword v[4:5], v16 offset:128
	flat_load_dword v6, v[6:7] offset:192
	v_add_co_u32 v16, vcc_lo, v20, s4
	v_add_co_ci_u32_e64 v17, null, s5, v21, vcc_lo
	s_waitcnt vmcnt(0) lgkmcnt(0)
	v_mul_f32_e32 v15, s8, v6
	v_add_co_u32 v6, vcc_lo, v16, v0
	v_add_co_ci_u32_e64 v7, null, v17, v1, vcc_lo
	v_fmac_f32_e32 v15, s2, v14
	v_add_co_u32 v14, vcc_lo, v18, s0
	flat_store_dword v[4:5], v15 offset:192
	flat_load_dword v4, v[6:7]
	v_add_co_ci_u32_e64 v15, null, s1, v19, vcc_lo
	s_waitcnt vmcnt(0) lgkmcnt(0)
	v_mul_f32_e32 v18, s8, v4
	v_add_co_u32 v4, vcc_lo, v14, v0
	v_add_co_ci_u32_e64 v5, null, v15, v1, vcc_lo
	v_fmac_f32_e32 v18, s2, v13
	flat_store_dword v[4:5], v18
	flat_load_dword v13, v[6:7] offset:64
	s_waitcnt vmcnt(0) lgkmcnt(0)
	v_mul_f32_e32 v13, s8, v13
	v_fmac_f32_e32 v13, s2, v12
	flat_store_dword v[4:5], v13 offset:64
	flat_load_dword v12, v[6:7] offset:128
	s_waitcnt vmcnt(0) lgkmcnt(0)
	v_mul_f32_e32 v12, s8, v12
	v_fmac_f32_e32 v12, s2, v11
	flat_store_dword v[4:5], v12 offset:128
	flat_load_dword v6, v[6:7] offset:192
	s_waitcnt vmcnt(0) lgkmcnt(0)
	v_mul_f32_e32 v11, s8, v6
	v_add_co_u32 v6, vcc_lo, v16, s4
	v_add_co_ci_u32_e64 v7, null, s5, v17, vcc_lo
	v_fmac_f32_e32 v11, s2, v10
	v_add_co_u32 v6, vcc_lo, v6, v0
	v_add_co_ci_u32_e64 v7, null, v7, v1, vcc_lo
	flat_store_dword v[4:5], v11 offset:192
	v_add_co_u32 v5, vcc_lo, v14, s0
	flat_load_dword v4, v[6:7]
	v_add_co_ci_u32_e64 v10, null, s1, v15, vcc_lo
	v_add_co_u32 v0, vcc_lo, v5, v0
	v_add_co_ci_u32_e64 v1, null, v10, v1, vcc_lo
	s_waitcnt vmcnt(0) lgkmcnt(0)
	v_mul_f32_e32 v4, s8, v4
	v_fmac_f32_e32 v4, s2, v9
	flat_store_dword v[0:1], v4
	flat_load_dword v4, v[6:7] offset:64
	s_waitcnt vmcnt(0) lgkmcnt(0)
	v_mul_f32_e32 v4, s8, v4
	v_fmac_f32_e32 v4, s2, v8
	flat_store_dword v[0:1], v4 offset:64
	flat_load_dword v4, v[6:7] offset:128
	s_waitcnt vmcnt(0) lgkmcnt(0)
	v_mul_f32_e32 v4, s8, v4
	v_fmac_f32_e32 v4, s2, v2
	flat_store_dword v[0:1], v4 offset:128
	;; [unrolled: 5-line block ×3, first 2 shown]
.LBB119_6:
	s_endpgm
.LBB119_7:
	s_branch .LBB119_5
	.section	.rodata,"a",@progbits
	.p2align	6, 0x0
	.amdhsa_kernel _ZN12_GLOBAL__N_127rocblas_gemm_batched_kernelIfLi16ELi16ELi64ELi64ELi4ELi64ELi4ELi4ELi64ELc78ELc67EKPKDF16_KPKfKPfEEvlllT_PT11_llSB_llS9_PT12_llPT13_lli
		.amdhsa_group_segment_fixed_size 2048
		.amdhsa_private_segment_fixed_size 0
		.amdhsa_kernarg_size 140
		.amdhsa_user_sgpr_count 6
		.amdhsa_user_sgpr_private_segment_buffer 1
		.amdhsa_user_sgpr_dispatch_ptr 0
		.amdhsa_user_sgpr_queue_ptr 0
		.amdhsa_user_sgpr_kernarg_segment_ptr 1
		.amdhsa_user_sgpr_dispatch_id 0
		.amdhsa_user_sgpr_flat_scratch_init 0
		.amdhsa_user_sgpr_private_segment_size 0
		.amdhsa_wavefront_size32 1
		.amdhsa_uses_dynamic_stack 0
		.amdhsa_system_sgpr_private_segment_wavefront_offset 0
		.amdhsa_system_sgpr_workgroup_id_x 1
		.amdhsa_system_sgpr_workgroup_id_y 1
		.amdhsa_system_sgpr_workgroup_id_z 1
		.amdhsa_system_sgpr_workgroup_info 0
		.amdhsa_system_vgpr_workitem_id 1
		.amdhsa_next_free_vgpr 58
		.amdhsa_next_free_sgpr 36
		.amdhsa_reserve_vcc 1
		.amdhsa_reserve_flat_scratch 0
		.amdhsa_float_round_mode_32 0
		.amdhsa_float_round_mode_16_64 0
		.amdhsa_float_denorm_mode_32 3
		.amdhsa_float_denorm_mode_16_64 3
		.amdhsa_dx10_clamp 1
		.amdhsa_ieee_mode 1
		.amdhsa_fp16_overflow 0
		.amdhsa_workgroup_processor_mode 1
		.amdhsa_memory_ordered 1
		.amdhsa_forward_progress 1
		.amdhsa_shared_vgpr_count 0
		.amdhsa_exception_fp_ieee_invalid_op 0
		.amdhsa_exception_fp_denorm_src 0
		.amdhsa_exception_fp_ieee_div_zero 0
		.amdhsa_exception_fp_ieee_overflow 0
		.amdhsa_exception_fp_ieee_underflow 0
		.amdhsa_exception_fp_ieee_inexact 0
		.amdhsa_exception_int_div_zero 0
	.end_amdhsa_kernel
	.section	.text._ZN12_GLOBAL__N_127rocblas_gemm_batched_kernelIfLi16ELi16ELi64ELi64ELi4ELi64ELi4ELi4ELi64ELc78ELc67EKPKDF16_KPKfKPfEEvlllT_PT11_llSB_llS9_PT12_llPT13_lli,"axG",@progbits,_ZN12_GLOBAL__N_127rocblas_gemm_batched_kernelIfLi16ELi16ELi64ELi64ELi4ELi64ELi4ELi4ELi64ELc78ELc67EKPKDF16_KPKfKPfEEvlllT_PT11_llSB_llS9_PT12_llPT13_lli,comdat
.Lfunc_end119:
	.size	_ZN12_GLOBAL__N_127rocblas_gemm_batched_kernelIfLi16ELi16ELi64ELi64ELi4ELi64ELi4ELi4ELi64ELc78ELc67EKPKDF16_KPKfKPfEEvlllT_PT11_llSB_llS9_PT12_llPT13_lli, .Lfunc_end119-_ZN12_GLOBAL__N_127rocblas_gemm_batched_kernelIfLi16ELi16ELi64ELi64ELi4ELi64ELi4ELi4ELi64ELc78ELc67EKPKDF16_KPKfKPfEEvlllT_PT11_llSB_llS9_PT12_llPT13_lli
                                        ; -- End function
	.set _ZN12_GLOBAL__N_127rocblas_gemm_batched_kernelIfLi16ELi16ELi64ELi64ELi4ELi64ELi4ELi4ELi64ELc78ELc67EKPKDF16_KPKfKPfEEvlllT_PT11_llSB_llS9_PT12_llPT13_lli.num_vgpr, 58
	.set _ZN12_GLOBAL__N_127rocblas_gemm_batched_kernelIfLi16ELi16ELi64ELi64ELi4ELi64ELi4ELi4ELi64ELc78ELc67EKPKDF16_KPKfKPfEEvlllT_PT11_llSB_llS9_PT12_llPT13_lli.num_agpr, 0
	.set _ZN12_GLOBAL__N_127rocblas_gemm_batched_kernelIfLi16ELi16ELi64ELi64ELi4ELi64ELi4ELi4ELi64ELc78ELc67EKPKDF16_KPKfKPfEEvlllT_PT11_llSB_llS9_PT12_llPT13_lli.numbered_sgpr, 36
	.set _ZN12_GLOBAL__N_127rocblas_gemm_batched_kernelIfLi16ELi16ELi64ELi64ELi4ELi64ELi4ELi4ELi64ELc78ELc67EKPKDF16_KPKfKPfEEvlllT_PT11_llSB_llS9_PT12_llPT13_lli.num_named_barrier, 0
	.set _ZN12_GLOBAL__N_127rocblas_gemm_batched_kernelIfLi16ELi16ELi64ELi64ELi4ELi64ELi4ELi4ELi64ELc78ELc67EKPKDF16_KPKfKPfEEvlllT_PT11_llSB_llS9_PT12_llPT13_lli.private_seg_size, 0
	.set _ZN12_GLOBAL__N_127rocblas_gemm_batched_kernelIfLi16ELi16ELi64ELi64ELi4ELi64ELi4ELi4ELi64ELc78ELc67EKPKDF16_KPKfKPfEEvlllT_PT11_llSB_llS9_PT12_llPT13_lli.uses_vcc, 1
	.set _ZN12_GLOBAL__N_127rocblas_gemm_batched_kernelIfLi16ELi16ELi64ELi64ELi4ELi64ELi4ELi4ELi64ELc78ELc67EKPKDF16_KPKfKPfEEvlllT_PT11_llSB_llS9_PT12_llPT13_lli.uses_flat_scratch, 0
	.set _ZN12_GLOBAL__N_127rocblas_gemm_batched_kernelIfLi16ELi16ELi64ELi64ELi4ELi64ELi4ELi4ELi64ELc78ELc67EKPKDF16_KPKfKPfEEvlllT_PT11_llSB_llS9_PT12_llPT13_lli.has_dyn_sized_stack, 0
	.set _ZN12_GLOBAL__N_127rocblas_gemm_batched_kernelIfLi16ELi16ELi64ELi64ELi4ELi64ELi4ELi4ELi64ELc78ELc67EKPKDF16_KPKfKPfEEvlllT_PT11_llSB_llS9_PT12_llPT13_lli.has_recursion, 0
	.set _ZN12_GLOBAL__N_127rocblas_gemm_batched_kernelIfLi16ELi16ELi64ELi64ELi4ELi64ELi4ELi4ELi64ELc78ELc67EKPKDF16_KPKfKPfEEvlllT_PT11_llSB_llS9_PT12_llPT13_lli.has_indirect_call, 0
	.section	.AMDGPU.csdata,"",@progbits
; Kernel info:
; codeLenInByte = 2268
; TotalNumSgprs: 38
; NumVgprs: 58
; ScratchSize: 0
; MemoryBound: 0
; FloatMode: 240
; IeeeMode: 1
; LDSByteSize: 2048 bytes/workgroup (compile time only)
; SGPRBlocks: 0
; VGPRBlocks: 7
; NumSGPRsForWavesPerEU: 38
; NumVGPRsForWavesPerEU: 58
; Occupancy: 16
; WaveLimiterHint : 1
; COMPUTE_PGM_RSRC2:SCRATCH_EN: 0
; COMPUTE_PGM_RSRC2:USER_SGPR: 6
; COMPUTE_PGM_RSRC2:TRAP_HANDLER: 0
; COMPUTE_PGM_RSRC2:TGID_X_EN: 1
; COMPUTE_PGM_RSRC2:TGID_Y_EN: 1
; COMPUTE_PGM_RSRC2:TGID_Z_EN: 1
; COMPUTE_PGM_RSRC2:TIDIG_COMP_CNT: 1
	.section	.text._ZN12_GLOBAL__N_127rocblas_gemm_batched_kernelIfLi16ELi16ELi64ELi64ELi4ELi64ELi4ELi4ELi64ELc84ELc67EKPKDF16_KPKfKPfEEvlllT_PT11_llSB_llS9_PT12_llPT13_lli,"axG",@progbits,_ZN12_GLOBAL__N_127rocblas_gemm_batched_kernelIfLi16ELi16ELi64ELi64ELi4ELi64ELi4ELi4ELi64ELc84ELc67EKPKDF16_KPKfKPfEEvlllT_PT11_llSB_llS9_PT12_llPT13_lli,comdat
	.globl	_ZN12_GLOBAL__N_127rocblas_gemm_batched_kernelIfLi16ELi16ELi64ELi64ELi4ELi64ELi4ELi4ELi64ELc84ELc67EKPKDF16_KPKfKPfEEvlllT_PT11_llSB_llS9_PT12_llPT13_lli ; -- Begin function _ZN12_GLOBAL__N_127rocblas_gemm_batched_kernelIfLi16ELi16ELi64ELi64ELi4ELi64ELi4ELi4ELi64ELc84ELc67EKPKDF16_KPKfKPfEEvlllT_PT11_llSB_llS9_PT12_llPT13_lli
	.p2align	8
	.type	_ZN12_GLOBAL__N_127rocblas_gemm_batched_kernelIfLi16ELi16ELi64ELi64ELi4ELi64ELi4ELi4ELi64ELc84ELc67EKPKDF16_KPKfKPfEEvlllT_PT11_llSB_llS9_PT12_llPT13_lli,@function
_ZN12_GLOBAL__N_127rocblas_gemm_batched_kernelIfLi16ELi16ELi64ELi64ELi4ELi64ELi4ELi4ELi64ELc84ELc67EKPKDF16_KPKfKPfEEvlllT_PT11_llSB_llS9_PT12_llPT13_lli: ; @_ZN12_GLOBAL__N_127rocblas_gemm_batched_kernelIfLi16ELi16ELi64ELi64ELi4ELi64ELi4ELi4ELi64ELc84ELc67EKPKDF16_KPKfKPfEEvlllT_PT11_llSB_llS9_PT12_llPT13_lli
; %bb.0:
	s_clause 0x1
	s_load_dwordx8 s[12:19], s[4:5], 0x58
	s_load_dwordx2 s[28:29], s[4:5], 0x10
	s_mov_b32 s9, 0
	s_load_dwordx4 s[0:3], s[4:5], 0x78
	s_lshl_b64 s[34:35], s[8:9], 3
	s_mov_b32 s10, s7
	v_mov_b32_e32 v18, 0
	v_mov_b32_e32 v21, 0
	;; [unrolled: 1-line block ×14, first 2 shown]
	s_waitcnt lgkmcnt(0)
	s_add_u32 s8, s12, s34
	s_addc_u32 s9, s13, s35
	s_add_u32 s18, s18, s34
	s_addc_u32 s19, s19, s35
	s_load_dwordx2 s[12:13], s[8:9], 0x0
	s_load_dwordx2 s[18:19], s[18:19], 0x0
	v_cmp_lt_i64_e64 s20, s[28:29], 1
	v_mov_b32_e32 v2, 0
	v_mov_b32_e32 v3, 0
	s_ashr_i32 s7, s6, 31
	s_ashr_i32 s11, s10, 31
	s_lshl_b64 s[6:7], s[6:7], 6
	s_and_b32 vcc_lo, exec_lo, s20
	s_lshl_b64 s[30:31], s[10:11], 6
	s_cbranch_vccnz .LBB120_3
; %bb.1:
	s_clause 0x1
	s_load_dwordx8 s[20:27], s[4:5], 0x20
	s_load_dwordx4 s[8:11], s[4:5], 0x40
	v_lshlrev_b32_e32 v8, 4, v1
	v_and_b32_e32 v10, 3, v0
	v_mov_b32_e32 v3, 0
	v_lshlrev_b32_e32 v22, 2, v0
	v_add_nc_u32_e32 v9, v8, v0
	v_lshlrev_b32_e32 v12, 2, v10
	v_add_nc_u32_e32 v23, 0x400, v8
	v_mov_b32_e32 v16, v3
	v_mov_b32_e32 v17, v3
	v_and_b32_e32 v11, 63, v9
	v_lshrrev_b32_e32 v2, 2, v9
	v_lshrrev_b32_e32 v9, 6, v9
	v_mov_b32_e32 v19, v3
	v_mov_b32_e32 v20, v3
	v_add_co_u32 v6, s33, s6, v11
	v_add_co_ci_u32_e64 v7, null, s7, 0, s33
	s_waitcnt lgkmcnt(0)
	s_add_u32 s20, s20, s34
	s_addc_u32 s21, s21, s35
	s_add_u32 s26, s26, s34
	s_addc_u32 s27, s27, s35
	v_mad_u64_u32 v[4:5], null, s8, v10, v[2:3]
	s_load_dwordx2 s[26:27], s[26:27], 0x0
	v_mul_lo_u32 v13, s23, v6
	v_mul_lo_u32 v14, s22, v7
	v_mad_u64_u32 v[6:7], null, s22, v6, 0
	v_lshlrev_b32_e32 v11, 2, v11
	v_lshl_or_b32 v12, v2, 4, v12
	v_mov_b32_e32 v2, v5
	v_lshlrev_b32_e32 v15, 1, v9
	s_load_dwordx2 s[20:21], s[20:21], 0x0
	v_lshl_or_b32 v24, v9, 8, v11
	v_add3_u32 v7, v7, v14, v13
	v_mad_u64_u32 v[8:9], null, s9, v10, v[2:3]
	s_lshl_b64 s[10:11], s[10:11], 1
	v_add_nc_u32_e32 v25, 0x400, v12
	v_lshlrev_b64 v[5:6], 1, v[6:7]
	v_add_co_u32 v7, vcc_lo, v4, s30
	v_mov_b32_e32 v9, v3
	v_add_co_ci_u32_e64 v8, null, s31, v8, vcc_lo
	s_waitcnt lgkmcnt(0)
	s_add_u32 s22, s26, s10
	s_addc_u32 s23, s27, s11
	s_lshl_b64 s[10:11], s[24:25], 1
	v_mov_b32_e32 v10, v3
	v_add_co_u32 v2, vcc_lo, v5, s10
	v_add_co_ci_u32_e64 v6, null, s11, v6, vcc_lo
	v_lshlrev_b64 v[4:5], 1, v[7:8]
	v_add_co_u32 v2, vcc_lo, v2, v15
	v_add_co_ci_u32_e64 v7, null, 0, v6, vcc_lo
	v_mov_b32_e32 v8, v3
	v_add_co_u32 v4, vcc_lo, s22, v4
	v_add_co_ci_u32_e64 v5, null, s23, v5, vcc_lo
	v_add_co_u32 v6, vcc_lo, s20, v2
	v_add_co_ci_u32_e64 v7, null, s21, v7, vcc_lo
	v_mov_b32_e32 v2, v3
	v_mov_b32_e32 v11, v3
	;; [unrolled: 1-line block ×8, first 2 shown]
	s_lshl_b64 s[8:9], s[8:9], 3
	s_mov_b64 s[10:11], 0
.LBB120_2:                              ; =>This Inner Loop Header: Depth=1
	flat_load_ushort v26, v[6:7]
	flat_load_ushort v27, v[4:5]
	s_add_u32 s10, s10, 4
	s_addc_u32 s11, s11, 0
	v_add_co_u32 v4, vcc_lo, v4, s8
	v_cmp_lt_i64_e64 s20, s[10:11], s[28:29]
	v_add_co_ci_u32_e64 v5, null, s9, v5, vcc_lo
	v_add_co_u32 v6, vcc_lo, v6, 8
	v_add_co_ci_u32_e64 v7, null, 0, v7, vcc_lo
	s_and_b32 vcc_lo, exec_lo, s20
	s_waitcnt vmcnt(1) lgkmcnt(1)
	v_cvt_f32_f16_e32 v26, v26
	s_waitcnt vmcnt(0) lgkmcnt(0)
	v_cvt_f32_f16_e32 v27, v27
	ds_write_b32 v24, v26
	ds_write_b32 v25, v27
	s_waitcnt lgkmcnt(0)
	s_barrier
	buffer_gl0_inv
	ds_read_b128 v[26:29], v23
	ds_read2_b32 v[42:43], v22 offset1:16
	ds_read2_b32 v[44:45], v22 offset0:32 offset1:48
	ds_read_b128 v[30:33], v23 offset:256
	ds_read_b128 v[34:37], v23 offset:512
	;; [unrolled: 1-line block ×3, first 2 shown]
	ds_read2_b32 v[46:47], v22 offset0:64 offset1:80
	ds_read2_b32 v[48:49], v22 offset0:96 offset1:112
	;; [unrolled: 1-line block ×6, first 2 shown]
	s_waitcnt lgkmcnt(0)
	s_barrier
	buffer_gl0_inv
	v_fmac_f32_e32 v18, v42, v26
	v_fmac_f32_e32 v21, v43, v26
	;; [unrolled: 1-line block ×64, first 2 shown]
	s_cbranch_vccnz .LBB120_2
.LBB120_3:
	s_load_dword s8, s[4:5], 0x50
	s_lshl_b64 s[10:11], s[2:3], 2
	s_load_dword s2, s[4:5], 0x18
	v_add_co_u32 v4, s4, s30, v1
	v_add_co_ci_u32_e64 v7, null, s31, 0, s4
	v_add_co_u32 v0, s4, s6, v0
	v_add_co_ci_u32_e64 v1, null, s7, 0, s4
	v_mul_lo_u32 v5, v7, s0
	v_mul_lo_u32 v6, v4, s1
	s_waitcnt lgkmcnt(0)
	s_add_u32 s3, s18, s10
	v_lshlrev_b64 v[0:1], 2, v[0:1]
	s_addc_u32 s4, s19, s11
	v_cmp_neq_f32_e64 s5, s8, 0
	s_and_b32 vcc_lo, exec_lo, s5
	s_mov_b32 s5, 0
	s_cbranch_vccnz .LBB120_7
; %bb.4:
	v_mad_u64_u32 v[22:23], null, v4, s0, 0
	s_lshl_b64 s[6:7], s[0:1], 6
	v_mul_f32_e32 v26, s2, v18
	v_mul_f32_e32 v27, s2, v21
	v_mul_f32_e32 v28, s2, v20
	v_mul_f32_e32 v29, s2, v19
	v_mul_f32_e32 v30, s2, v17
	v_add3_u32 v23, v23, v6, v5
	v_mul_f32_e32 v31, s2, v16
	v_mul_f32_e32 v32, s2, v15
	;; [unrolled: 1-line block ×3, first 2 shown]
	v_lshlrev_b64 v[22:23], 2, v[22:23]
	v_add_co_u32 v22, vcc_lo, s3, v22
	v_add_co_ci_u32_e64 v23, null, s4, v23, vcc_lo
	v_add_co_u32 v34, vcc_lo, v22, s6
	v_add_co_ci_u32_e64 v35, null, s7, v23, vcc_lo
	;; [unrolled: 2-line block ×4, first 2 shown]
	flat_store_dword v[22:23], v26
	flat_store_dword v[22:23], v27 offset:64
	flat_store_dword v[22:23], v28 offset:128
	;; [unrolled: 1-line block ×3, first 2 shown]
	flat_store_dword v[24:25], v30
	flat_store_dword v[24:25], v31 offset:64
	v_add_co_u32 v26, vcc_lo, v34, s6
	v_add_co_ci_u32_e64 v27, null, s7, v35, vcc_lo
	v_mul_f32_e32 v28, s2, v13
	v_add_co_u32 v22, vcc_lo, v26, v0
	v_add_co_ci_u32_e64 v23, null, v27, v1, vcc_lo
	v_mul_f32_e32 v29, s2, v12
	v_mul_f32_e32 v30, s2, v11
	flat_store_dword v[24:25], v32 offset:128
	flat_store_dword v[24:25], v33 offset:192
	flat_store_dword v[22:23], v28
	flat_store_dword v[22:23], v29 offset:64
	flat_store_dword v[22:23], v30 offset:128
	v_add_co_u32 v24, vcc_lo, v26, s6
	v_add_co_ci_u32_e64 v25, null, s7, v27, vcc_lo
	v_mul_f32_e32 v28, s2, v10
	v_add_co_u32 v24, vcc_lo, v24, v0
	v_mul_f32_e32 v26, s2, v9
	v_add_co_ci_u32_e64 v25, null, v25, v1, vcc_lo
	v_mul_f32_e32 v27, s2, v8
	v_mul_f32_e32 v29, s2, v2
	v_mul_f32_e32 v30, s2, v3
	flat_store_dword v[22:23], v28 offset:192
	flat_store_dword v[24:25], v26
	flat_store_dword v[24:25], v27 offset:64
	flat_store_dword v[24:25], v29 offset:128
	flat_store_dword v[24:25], v30 offset:192
	s_andn2_b32 vcc_lo, exec_lo, s5
	s_cbranch_vccnz .LBB120_6
.LBB120_5:
	v_mul_lo_u32 v7, v7, s14
	v_mul_lo_u32 v24, v4, s15
	v_mad_u64_u32 v[22:23], null, v4, s14, 0
	s_lshl_b64 s[6:7], s[16:17], 2
	s_add_u32 s5, s12, s6
	s_addc_u32 s6, s13, s7
	v_add3_u32 v23, v23, v24, v7
	v_mad_u64_u32 v[24:25], null, v4, s0, 0
	s_lshl_b64 s[0:1], s[0:1], 6
	v_lshlrev_b64 v[22:23], 2, v[22:23]
	v_add3_u32 v25, v25, v6, v5
	v_add_co_u32 v7, vcc_lo, s5, v22
	v_add_co_ci_u32_e64 v26, null, s6, v23, vcc_lo
	v_lshlrev_b64 v[4:5], 2, v[24:25]
	v_add_co_u32 v22, vcc_lo, v7, v0
	v_add_co_ci_u32_e64 v23, null, v26, v1, vcc_lo
	v_add_co_u32 v24, vcc_lo, s3, v4
	flat_load_dword v27, v[22:23]
	v_add_co_ci_u32_e64 v25, null, s4, v5, vcc_lo
	v_add_co_u32 v4, vcc_lo, v24, v0
	s_lshl_b64 s[4:5], s[14:15], 6
	v_add_co_ci_u32_e64 v5, null, v25, v1, vcc_lo
	s_waitcnt vmcnt(0) lgkmcnt(0)
	v_mul_f32_e32 v6, s8, v27
	v_fmac_f32_e32 v6, s2, v18
	flat_store_dword v[4:5], v6
	flat_load_dword v6, v[22:23] offset:64
	s_waitcnt vmcnt(0) lgkmcnt(0)
	v_mul_f32_e32 v6, s8, v6
	v_fmac_f32_e32 v6, s2, v21
	flat_store_dword v[4:5], v6 offset:64
	flat_load_dword v6, v[22:23] offset:128
	s_waitcnt vmcnt(0) lgkmcnt(0)
	v_mul_f32_e32 v6, s8, v6
	v_fmac_f32_e32 v6, s2, v20
	v_add_co_u32 v20, vcc_lo, v7, s4
	v_add_co_ci_u32_e64 v21, null, s5, v26, vcc_lo
	flat_store_dword v[4:5], v6 offset:128
	flat_load_dword v6, v[22:23] offset:192
	s_waitcnt vmcnt(0) lgkmcnt(0)
	v_mul_f32_e32 v18, s8, v6
	v_add_co_u32 v6, vcc_lo, v20, v0
	v_add_co_ci_u32_e64 v7, null, v21, v1, vcc_lo
	v_fmac_f32_e32 v18, s2, v19
	flat_store_dword v[4:5], v18 offset:192
	flat_load_dword v4, v[6:7]
	v_add_co_u32 v18, vcc_lo, v24, s0
	v_add_co_ci_u32_e64 v19, null, s1, v25, vcc_lo
	s_waitcnt vmcnt(0) lgkmcnt(0)
	v_mul_f32_e32 v22, s8, v4
	v_add_co_u32 v4, vcc_lo, v18, v0
	v_add_co_ci_u32_e64 v5, null, v19, v1, vcc_lo
	v_fmac_f32_e32 v22, s2, v17
	flat_store_dword v[4:5], v22
	flat_load_dword v17, v[6:7] offset:64
	s_waitcnt vmcnt(0) lgkmcnt(0)
	v_mul_f32_e32 v17, s8, v17
	v_fmac_f32_e32 v17, s2, v16
	flat_store_dword v[4:5], v17 offset:64
	flat_load_dword v16, v[6:7] offset:128
	s_waitcnt vmcnt(0) lgkmcnt(0)
	v_mul_f32_e32 v16, s8, v16
	v_fmac_f32_e32 v16, s2, v15
	flat_store_dword v[4:5], v16 offset:128
	flat_load_dword v6, v[6:7] offset:192
	v_add_co_u32 v16, vcc_lo, v20, s4
	v_add_co_ci_u32_e64 v17, null, s5, v21, vcc_lo
	s_waitcnt vmcnt(0) lgkmcnt(0)
	v_mul_f32_e32 v15, s8, v6
	v_add_co_u32 v6, vcc_lo, v16, v0
	v_add_co_ci_u32_e64 v7, null, v17, v1, vcc_lo
	v_fmac_f32_e32 v15, s2, v14
	v_add_co_u32 v14, vcc_lo, v18, s0
	flat_store_dword v[4:5], v15 offset:192
	flat_load_dword v4, v[6:7]
	v_add_co_ci_u32_e64 v15, null, s1, v19, vcc_lo
	s_waitcnt vmcnt(0) lgkmcnt(0)
	v_mul_f32_e32 v18, s8, v4
	v_add_co_u32 v4, vcc_lo, v14, v0
	v_add_co_ci_u32_e64 v5, null, v15, v1, vcc_lo
	v_fmac_f32_e32 v18, s2, v13
	flat_store_dword v[4:5], v18
	flat_load_dword v13, v[6:7] offset:64
	s_waitcnt vmcnt(0) lgkmcnt(0)
	v_mul_f32_e32 v13, s8, v13
	v_fmac_f32_e32 v13, s2, v12
	flat_store_dword v[4:5], v13 offset:64
	flat_load_dword v12, v[6:7] offset:128
	s_waitcnt vmcnt(0) lgkmcnt(0)
	v_mul_f32_e32 v12, s8, v12
	v_fmac_f32_e32 v12, s2, v11
	flat_store_dword v[4:5], v12 offset:128
	flat_load_dword v6, v[6:7] offset:192
	s_waitcnt vmcnt(0) lgkmcnt(0)
	v_mul_f32_e32 v11, s8, v6
	v_add_co_u32 v6, vcc_lo, v16, s4
	v_add_co_ci_u32_e64 v7, null, s5, v17, vcc_lo
	v_fmac_f32_e32 v11, s2, v10
	v_add_co_u32 v6, vcc_lo, v6, v0
	v_add_co_ci_u32_e64 v7, null, v7, v1, vcc_lo
	flat_store_dword v[4:5], v11 offset:192
	v_add_co_u32 v5, vcc_lo, v14, s0
	flat_load_dword v4, v[6:7]
	v_add_co_ci_u32_e64 v10, null, s1, v15, vcc_lo
	v_add_co_u32 v0, vcc_lo, v5, v0
	v_add_co_ci_u32_e64 v1, null, v10, v1, vcc_lo
	s_waitcnt vmcnt(0) lgkmcnt(0)
	v_mul_f32_e32 v4, s8, v4
	v_fmac_f32_e32 v4, s2, v9
	flat_store_dword v[0:1], v4
	flat_load_dword v4, v[6:7] offset:64
	s_waitcnt vmcnt(0) lgkmcnt(0)
	v_mul_f32_e32 v4, s8, v4
	v_fmac_f32_e32 v4, s2, v8
	flat_store_dword v[0:1], v4 offset:64
	flat_load_dword v4, v[6:7] offset:128
	s_waitcnt vmcnt(0) lgkmcnt(0)
	v_mul_f32_e32 v4, s8, v4
	v_fmac_f32_e32 v4, s2, v2
	flat_store_dword v[0:1], v4 offset:128
	flat_load_dword v2, v[6:7] offset:192
	s_waitcnt vmcnt(0) lgkmcnt(0)
	v_mul_f32_e32 v2, s8, v2
	v_fmac_f32_e32 v2, s2, v3
	flat_store_dword v[0:1], v2 offset:192
.LBB120_6:
	s_endpgm
.LBB120_7:
	s_branch .LBB120_5
	.section	.rodata,"a",@progbits
	.p2align	6, 0x0
	.amdhsa_kernel _ZN12_GLOBAL__N_127rocblas_gemm_batched_kernelIfLi16ELi16ELi64ELi64ELi4ELi64ELi4ELi4ELi64ELc84ELc67EKPKDF16_KPKfKPfEEvlllT_PT11_llSB_llS9_PT12_llPT13_lli
		.amdhsa_group_segment_fixed_size 2048
		.amdhsa_private_segment_fixed_size 0
		.amdhsa_kernarg_size 140
		.amdhsa_user_sgpr_count 6
		.amdhsa_user_sgpr_private_segment_buffer 1
		.amdhsa_user_sgpr_dispatch_ptr 0
		.amdhsa_user_sgpr_queue_ptr 0
		.amdhsa_user_sgpr_kernarg_segment_ptr 1
		.amdhsa_user_sgpr_dispatch_id 0
		.amdhsa_user_sgpr_flat_scratch_init 0
		.amdhsa_user_sgpr_private_segment_size 0
		.amdhsa_wavefront_size32 1
		.amdhsa_uses_dynamic_stack 0
		.amdhsa_system_sgpr_private_segment_wavefront_offset 0
		.amdhsa_system_sgpr_workgroup_id_x 1
		.amdhsa_system_sgpr_workgroup_id_y 1
		.amdhsa_system_sgpr_workgroup_id_z 1
		.amdhsa_system_sgpr_workgroup_info 0
		.amdhsa_system_vgpr_workitem_id 1
		.amdhsa_next_free_vgpr 58
		.amdhsa_next_free_sgpr 36
		.amdhsa_reserve_vcc 1
		.amdhsa_reserve_flat_scratch 0
		.amdhsa_float_round_mode_32 0
		.amdhsa_float_round_mode_16_64 0
		.amdhsa_float_denorm_mode_32 3
		.amdhsa_float_denorm_mode_16_64 3
		.amdhsa_dx10_clamp 1
		.amdhsa_ieee_mode 1
		.amdhsa_fp16_overflow 0
		.amdhsa_workgroup_processor_mode 1
		.amdhsa_memory_ordered 1
		.amdhsa_forward_progress 1
		.amdhsa_shared_vgpr_count 0
		.amdhsa_exception_fp_ieee_invalid_op 0
		.amdhsa_exception_fp_denorm_src 0
		.amdhsa_exception_fp_ieee_div_zero 0
		.amdhsa_exception_fp_ieee_overflow 0
		.amdhsa_exception_fp_ieee_underflow 0
		.amdhsa_exception_fp_ieee_inexact 0
		.amdhsa_exception_int_div_zero 0
	.end_amdhsa_kernel
	.section	.text._ZN12_GLOBAL__N_127rocblas_gemm_batched_kernelIfLi16ELi16ELi64ELi64ELi4ELi64ELi4ELi4ELi64ELc84ELc67EKPKDF16_KPKfKPfEEvlllT_PT11_llSB_llS9_PT12_llPT13_lli,"axG",@progbits,_ZN12_GLOBAL__N_127rocblas_gemm_batched_kernelIfLi16ELi16ELi64ELi64ELi4ELi64ELi4ELi4ELi64ELc84ELc67EKPKDF16_KPKfKPfEEvlllT_PT11_llSB_llS9_PT12_llPT13_lli,comdat
.Lfunc_end120:
	.size	_ZN12_GLOBAL__N_127rocblas_gemm_batched_kernelIfLi16ELi16ELi64ELi64ELi4ELi64ELi4ELi4ELi64ELc84ELc67EKPKDF16_KPKfKPfEEvlllT_PT11_llSB_llS9_PT12_llPT13_lli, .Lfunc_end120-_ZN12_GLOBAL__N_127rocblas_gemm_batched_kernelIfLi16ELi16ELi64ELi64ELi4ELi64ELi4ELi4ELi64ELc84ELc67EKPKDF16_KPKfKPfEEvlllT_PT11_llSB_llS9_PT12_llPT13_lli
                                        ; -- End function
	.set _ZN12_GLOBAL__N_127rocblas_gemm_batched_kernelIfLi16ELi16ELi64ELi64ELi4ELi64ELi4ELi4ELi64ELc84ELc67EKPKDF16_KPKfKPfEEvlllT_PT11_llSB_llS9_PT12_llPT13_lli.num_vgpr, 58
	.set _ZN12_GLOBAL__N_127rocblas_gemm_batched_kernelIfLi16ELi16ELi64ELi64ELi4ELi64ELi4ELi4ELi64ELc84ELc67EKPKDF16_KPKfKPfEEvlllT_PT11_llSB_llS9_PT12_llPT13_lli.num_agpr, 0
	.set _ZN12_GLOBAL__N_127rocblas_gemm_batched_kernelIfLi16ELi16ELi64ELi64ELi4ELi64ELi4ELi4ELi64ELc84ELc67EKPKDF16_KPKfKPfEEvlllT_PT11_llSB_llS9_PT12_llPT13_lli.numbered_sgpr, 36
	.set _ZN12_GLOBAL__N_127rocblas_gemm_batched_kernelIfLi16ELi16ELi64ELi64ELi4ELi64ELi4ELi4ELi64ELc84ELc67EKPKDF16_KPKfKPfEEvlllT_PT11_llSB_llS9_PT12_llPT13_lli.num_named_barrier, 0
	.set _ZN12_GLOBAL__N_127rocblas_gemm_batched_kernelIfLi16ELi16ELi64ELi64ELi4ELi64ELi4ELi4ELi64ELc84ELc67EKPKDF16_KPKfKPfEEvlllT_PT11_llSB_llS9_PT12_llPT13_lli.private_seg_size, 0
	.set _ZN12_GLOBAL__N_127rocblas_gemm_batched_kernelIfLi16ELi16ELi64ELi64ELi4ELi64ELi4ELi4ELi64ELc84ELc67EKPKDF16_KPKfKPfEEvlllT_PT11_llSB_llS9_PT12_llPT13_lli.uses_vcc, 1
	.set _ZN12_GLOBAL__N_127rocblas_gemm_batched_kernelIfLi16ELi16ELi64ELi64ELi4ELi64ELi4ELi4ELi64ELc84ELc67EKPKDF16_KPKfKPfEEvlllT_PT11_llSB_llS9_PT12_llPT13_lli.uses_flat_scratch, 0
	.set _ZN12_GLOBAL__N_127rocblas_gemm_batched_kernelIfLi16ELi16ELi64ELi64ELi4ELi64ELi4ELi4ELi64ELc84ELc67EKPKDF16_KPKfKPfEEvlllT_PT11_llSB_llS9_PT12_llPT13_lli.has_dyn_sized_stack, 0
	.set _ZN12_GLOBAL__N_127rocblas_gemm_batched_kernelIfLi16ELi16ELi64ELi64ELi4ELi64ELi4ELi4ELi64ELc84ELc67EKPKDF16_KPKfKPfEEvlllT_PT11_llSB_llS9_PT12_llPT13_lli.has_recursion, 0
	.set _ZN12_GLOBAL__N_127rocblas_gemm_batched_kernelIfLi16ELi16ELi64ELi64ELi4ELi64ELi4ELi4ELi64ELc84ELc67EKPKDF16_KPKfKPfEEvlllT_PT11_llSB_llS9_PT12_llPT13_lli.has_indirect_call, 0
	.section	.AMDGPU.csdata,"",@progbits
; Kernel info:
; codeLenInByte = 2304
; TotalNumSgprs: 38
; NumVgprs: 58
; ScratchSize: 0
; MemoryBound: 0
; FloatMode: 240
; IeeeMode: 1
; LDSByteSize: 2048 bytes/workgroup (compile time only)
; SGPRBlocks: 0
; VGPRBlocks: 7
; NumSGPRsForWavesPerEU: 38
; NumVGPRsForWavesPerEU: 58
; Occupancy: 16
; WaveLimiterHint : 1
; COMPUTE_PGM_RSRC2:SCRATCH_EN: 0
; COMPUTE_PGM_RSRC2:USER_SGPR: 6
; COMPUTE_PGM_RSRC2:TRAP_HANDLER: 0
; COMPUTE_PGM_RSRC2:TGID_X_EN: 1
; COMPUTE_PGM_RSRC2:TGID_Y_EN: 1
; COMPUTE_PGM_RSRC2:TGID_Z_EN: 1
; COMPUTE_PGM_RSRC2:TIDIG_COMP_CNT: 1
	.section	.text._ZN12_GLOBAL__N_127rocblas_gemm_batched_kernelIfLi16ELi16ELi32ELi32ELi8ELi32ELi8ELi8ELi32ELc78ELc78EKPKDF16_KPKfKPfEEvlllT_PT11_llSB_llS9_PT12_llPT13_lli,"axG",@progbits,_ZN12_GLOBAL__N_127rocblas_gemm_batched_kernelIfLi16ELi16ELi32ELi32ELi8ELi32ELi8ELi8ELi32ELc78ELc78EKPKDF16_KPKfKPfEEvlllT_PT11_llSB_llS9_PT12_llPT13_lli,comdat
	.globl	_ZN12_GLOBAL__N_127rocblas_gemm_batched_kernelIfLi16ELi16ELi32ELi32ELi8ELi32ELi8ELi8ELi32ELc78ELc78EKPKDF16_KPKfKPfEEvlllT_PT11_llSB_llS9_PT12_llPT13_lli ; -- Begin function _ZN12_GLOBAL__N_127rocblas_gemm_batched_kernelIfLi16ELi16ELi32ELi32ELi8ELi32ELi8ELi8ELi32ELc78ELc78EKPKDF16_KPKfKPfEEvlllT_PT11_llSB_llS9_PT12_llPT13_lli
	.p2align	8
	.type	_ZN12_GLOBAL__N_127rocblas_gemm_batched_kernelIfLi16ELi16ELi32ELi32ELi8ELi32ELi8ELi8ELi32ELc78ELc78EKPKDF16_KPKfKPfEEvlllT_PT11_llSB_llS9_PT12_llPT13_lli,@function
_ZN12_GLOBAL__N_127rocblas_gemm_batched_kernelIfLi16ELi16ELi32ELi32ELi8ELi32ELi8ELi8ELi32ELc78ELc78EKPKDF16_KPKfKPfEEvlllT_PT11_llSB_llS9_PT12_llPT13_lli: ; @_ZN12_GLOBAL__N_127rocblas_gemm_batched_kernelIfLi16ELi16ELi32ELi32ELi8ELi32ELi8ELi8ELi32ELc78ELc78EKPKDF16_KPKfKPfEEvlllT_PT11_llSB_llS9_PT12_llPT13_lli
; %bb.0:
	s_clause 0x1
	s_load_dwordx8 s[12:19], s[4:5], 0x58
	s_load_dwordx2 s[28:29], s[4:5], 0x10
	s_mov_b32 s9, 0
	s_load_dwordx4 s[0:3], s[4:5], 0x78
	s_lshl_b64 s[34:35], s[8:9], 3
	s_mov_b32 s10, s7
	v_mov_b32_e32 v9, 0
	v_mov_b32_e32 v8, 0
	;; [unrolled: 1-line block ×4, first 2 shown]
	s_waitcnt lgkmcnt(0)
	s_add_u32 s8, s12, s34
	s_addc_u32 s9, s13, s35
	s_add_u32 s18, s18, s34
	s_addc_u32 s19, s19, s35
	s_load_dwordx2 s[12:13], s[8:9], 0x0
	s_load_dwordx2 s[18:19], s[18:19], 0x0
	v_cmp_lt_i64_e64 s8, s[28:29], 1
	s_ashr_i32 s7, s6, 31
	s_ashr_i32 s11, s10, 31
	s_lshl_b64 s[6:7], s[6:7], 5
	s_lshl_b64 s[30:31], s[10:11], 5
	s_and_b32 vcc_lo, exec_lo, s8
	s_cbranch_vccnz .LBB121_3
; %bb.1:
	s_load_dwordx4 s[8:11], s[4:5], 0x40
	v_lshl_add_u32 v2, v1, 4, v0
	s_load_dwordx8 s[20:27], s[4:5], 0x20
	v_and_b32_e32 v9, 7, v0
	v_mov_b32_e32 v6, 0
	v_lshlrev_b32_e32 v10, 2, v0
	v_lshrrev_b32_e32 v3, 3, v2
	v_and_b32_e32 v14, 31, v2
	v_lshlrev_b32_e32 v4, 2, v9
	v_lshrrev_b32_e32 v8, 5, v2
	v_lshlrev_b32_e32 v9, 1, v9
	v_add_co_u32 v5, s33, v3, s30
	v_add_co_ci_u32_e64 v7, null, 0, s31, s33
	v_lshl_or_b32 v13, v3, 5, v4
	v_lshlrev_b32_e32 v12, 2, v14
	v_lshl_add_u32 v11, v1, 5, 0x400
	v_add_nc_u32_e32 v13, 0x400, v13
	s_waitcnt lgkmcnt(0)
	v_mul_lo_u32 v15, s9, v5
	v_mul_lo_u32 v7, s8, v7
	v_mad_u64_u32 v[2:3], null, s8, v5, 0
	v_mad_u64_u32 v[4:5], null, s22, v8, s[6:7]
	s_add_u32 s8, s20, s34
	s_addc_u32 s9, s21, s35
	s_add_u32 s20, s26, s34
	s_addc_u32 s21, s27, s35
	v_add3_u32 v3, v3, v7, v15
	s_load_dwordx2 s[8:9], s[8:9], 0x0
	s_load_dwordx2 s[20:21], s[20:21], 0x0
	v_lshl_or_b32 v12, v8, 7, v12
	v_mad_u64_u32 v[7:8], null, s23, v8, v[5:6]
	v_lshlrev_b64 v[2:3], 1, v[2:3]
	s_lshl_b64 s[10:11], s[10:11], 1
	v_add_co_u32 v5, vcc_lo, v2, s10
	v_add_co_ci_u32_e64 v8, null, s11, v3, vcc_lo
	v_add_co_u32 v2, vcc_lo, v4, v14
	v_add_co_ci_u32_e64 v3, null, 0, v7, vcc_lo
	;; [unrolled: 2-line block ×3, first 2 shown]
	v_lshlrev_b64 v[4:5], 1, v[2:3]
	s_lshl_b64 s[10:11], s[24:25], 1
	s_waitcnt lgkmcnt(0)
	v_add_co_u32 v2, vcc_lo, s20, v7
	s_add_u32 s8, s8, s10
	v_add_co_ci_u32_e64 v3, null, s21, v8, vcc_lo
	s_addc_u32 s9, s9, s11
	v_add_co_u32 v4, vcc_lo, s8, v4
	v_add_co_ci_u32_e64 v5, null, s9, v5, vcc_lo
	v_mov_b32_e32 v7, 0
	v_mov_b32_e32 v8, 0
	;; [unrolled: 1-line block ×3, first 2 shown]
	s_lshl_b64 s[8:9], s[22:23], 4
	s_mov_b64 s[10:11], 0
.LBB121_2:                              ; =>This Inner Loop Header: Depth=1
	flat_load_ushort v14, v[4:5]
	flat_load_ushort v15, v[2:3]
	s_add_u32 s10, s10, 8
	s_addc_u32 s11, s11, 0
	v_add_co_u32 v2, vcc_lo, v2, 16
	v_cmp_lt_i64_e64 s20, s[10:11], s[28:29]
	v_add_co_ci_u32_e64 v3, null, 0, v3, vcc_lo
	v_add_co_u32 v4, vcc_lo, v4, s8
	v_add_co_ci_u32_e64 v5, null, s9, v5, vcc_lo
	s_and_b32 vcc_lo, exec_lo, s20
	s_waitcnt vmcnt(1) lgkmcnt(1)
	v_cvt_f32_f16_e32 v14, v14
	s_waitcnt vmcnt(0) lgkmcnt(0)
	v_cvt_f32_f16_e32 v15, v15
	ds_write_b32 v12, v14
	ds_write_b32 v13, v15
	s_waitcnt lgkmcnt(0)
	s_barrier
	buffer_gl0_inv
	ds_read_b128 v[14:17], v11
	ds_read2_b32 v[30:31], v10 offset1:16
	ds_read_b128 v[18:21], v11 offset:512
	ds_read2_b32 v[32:33], v10 offset0:32 offset1:48
	ds_read2_b32 v[34:35], v10 offset0:64 offset1:80
	ds_read_b128 v[22:25], v11 offset:16
	ds_read2_b32 v[36:37], v10 offset0:96 offset1:112
	ds_read2_b32 v[38:39], v10 offset0:128 offset1:144
	;; [unrolled: 3-line block ×3, first 2 shown]
	ds_read2_b32 v[44:45], v10 offset0:224 offset1:240
	s_waitcnt lgkmcnt(0)
	s_barrier
	buffer_gl0_inv
	v_fmac_f32_e32 v9, v30, v14
	v_fmac_f32_e32 v8, v31, v14
	;; [unrolled: 1-line block ×32, first 2 shown]
	s_cbranch_vccnz .LBB121_2
.LBB121_3:
	s_load_dword s8, s[4:5], 0x50
	s_lshl_b64 s[10:11], s[2:3], 2
	s_load_dword s2, s[4:5], 0x18
	v_add_co_u32 v2, s4, s30, v1
	v_add_co_ci_u32_e64 v5, null, s31, 0, s4
	v_add_co_u32 v0, s4, s6, v0
	v_add_co_ci_u32_e64 v1, null, s7, 0, s4
	v_mul_lo_u32 v3, v5, s0
	v_mul_lo_u32 v4, v2, s1
	s_waitcnt lgkmcnt(0)
	s_add_u32 s3, s18, s10
	v_lshlrev_b64 v[0:1], 2, v[0:1]
	s_addc_u32 s4, s19, s11
	v_cmp_neq_f32_e64 s5, s8, 0
	s_and_b32 vcc_lo, exec_lo, s5
	s_mov_b32 s5, 0
	s_cbranch_vccnz .LBB121_7
; %bb.4:
	v_mad_u64_u32 v[10:11], null, v2, s0, 0
	s_lshl_b64 s[6:7], s[0:1], 6
	v_mul_f32_e32 v14, s2, v9
	v_mul_f32_e32 v15, s2, v8
	v_mul_f32_e32 v16, s2, v7
	v_mul_f32_e32 v17, s2, v6
	v_add3_u32 v11, v11, v4, v3
	v_lshlrev_b64 v[10:11], 2, v[10:11]
	v_add_co_u32 v10, vcc_lo, s3, v10
	v_add_co_ci_u32_e64 v11, null, s4, v11, vcc_lo
	v_add_co_u32 v12, vcc_lo, v10, s6
	v_add_co_ci_u32_e64 v13, null, s7, v11, vcc_lo
	;; [unrolled: 2-line block ×4, first 2 shown]
	flat_store_dword v[10:11], v14
	flat_store_dword v[10:11], v15 offset:64
	flat_store_dword v[12:13], v16
	flat_store_dword v[12:13], v17 offset:64
	s_andn2_b32 vcc_lo, exec_lo, s5
	s_cbranch_vccnz .LBB121_6
.LBB121_5:
	v_mul_lo_u32 v5, v5, s14
	v_mul_lo_u32 v12, v2, s15
	v_mad_u64_u32 v[10:11], null, v2, s14, 0
	s_lshl_b64 s[6:7], s[16:17], 2
	s_add_u32 s5, s12, s6
	s_addc_u32 s6, s13, s7
	v_add3_u32 v11, v11, v12, v5
	v_mad_u64_u32 v[12:13], null, v2, s0, 0
	s_lshl_b64 s[0:1], s[0:1], 6
	v_lshlrev_b64 v[10:11], 2, v[10:11]
	v_add3_u32 v13, v13, v4, v3
	v_add_co_u32 v5, vcc_lo, s5, v10
	v_add_co_ci_u32_e64 v14, null, s6, v11, vcc_lo
	v_lshlrev_b64 v[2:3], 2, v[12:13]
	v_add_co_u32 v10, vcc_lo, v5, v0
	v_add_co_ci_u32_e64 v11, null, v14, v1, vcc_lo
	v_add_co_u32 v12, vcc_lo, s3, v2
	flat_load_dword v15, v[10:11]
	v_add_co_ci_u32_e64 v13, null, s4, v3, vcc_lo
	v_add_co_u32 v2, vcc_lo, v12, v0
	s_lshl_b64 s[4:5], s[14:15], 6
	v_add_co_ci_u32_e64 v3, null, v13, v1, vcc_lo
	s_waitcnt vmcnt(0) lgkmcnt(0)
	v_mul_f32_e32 v4, s8, v15
	v_fmac_f32_e32 v4, s2, v9
	flat_store_dword v[2:3], v4
	flat_load_dword v4, v[10:11] offset:64
	s_waitcnt vmcnt(0) lgkmcnt(0)
	v_mul_f32_e32 v9, s8, v4
	v_add_co_u32 v4, vcc_lo, v5, s4
	v_add_co_ci_u32_e64 v5, null, s5, v14, vcc_lo
	v_fmac_f32_e32 v9, s2, v8
	v_add_co_u32 v4, vcc_lo, v4, v0
	v_add_co_ci_u32_e64 v5, null, v5, v1, vcc_lo
	flat_store_dword v[2:3], v9 offset:64
	v_add_co_u32 v3, vcc_lo, v12, s0
	flat_load_dword v2, v[4:5]
	v_add_co_ci_u32_e64 v8, null, s1, v13, vcc_lo
	v_add_co_u32 v0, vcc_lo, v3, v0
	v_add_co_ci_u32_e64 v1, null, v8, v1, vcc_lo
	s_waitcnt vmcnt(0) lgkmcnt(0)
	v_mul_f32_e32 v2, s8, v2
	v_fmac_f32_e32 v2, s2, v7
	flat_store_dword v[0:1], v2
	flat_load_dword v2, v[4:5] offset:64
	s_waitcnt vmcnt(0) lgkmcnt(0)
	v_mul_f32_e32 v2, s8, v2
	v_fmac_f32_e32 v2, s2, v6
	flat_store_dword v[0:1], v2 offset:64
.LBB121_6:
	s_endpgm
.LBB121_7:
	s_branch .LBB121_5
	.section	.rodata,"a",@progbits
	.p2align	6, 0x0
	.amdhsa_kernel _ZN12_GLOBAL__N_127rocblas_gemm_batched_kernelIfLi16ELi16ELi32ELi32ELi8ELi32ELi8ELi8ELi32ELc78ELc78EKPKDF16_KPKfKPfEEvlllT_PT11_llSB_llS9_PT12_llPT13_lli
		.amdhsa_group_segment_fixed_size 2048
		.amdhsa_private_segment_fixed_size 0
		.amdhsa_kernarg_size 140
		.amdhsa_user_sgpr_count 6
		.amdhsa_user_sgpr_private_segment_buffer 1
		.amdhsa_user_sgpr_dispatch_ptr 0
		.amdhsa_user_sgpr_queue_ptr 0
		.amdhsa_user_sgpr_kernarg_segment_ptr 1
		.amdhsa_user_sgpr_dispatch_id 0
		.amdhsa_user_sgpr_flat_scratch_init 0
		.amdhsa_user_sgpr_private_segment_size 0
		.amdhsa_wavefront_size32 1
		.amdhsa_uses_dynamic_stack 0
		.amdhsa_system_sgpr_private_segment_wavefront_offset 0
		.amdhsa_system_sgpr_workgroup_id_x 1
		.amdhsa_system_sgpr_workgroup_id_y 1
		.amdhsa_system_sgpr_workgroup_id_z 1
		.amdhsa_system_sgpr_workgroup_info 0
		.amdhsa_system_vgpr_workitem_id 1
		.amdhsa_next_free_vgpr 46
		.amdhsa_next_free_sgpr 36
		.amdhsa_reserve_vcc 1
		.amdhsa_reserve_flat_scratch 0
		.amdhsa_float_round_mode_32 0
		.amdhsa_float_round_mode_16_64 0
		.amdhsa_float_denorm_mode_32 3
		.amdhsa_float_denorm_mode_16_64 3
		.amdhsa_dx10_clamp 1
		.amdhsa_ieee_mode 1
		.amdhsa_fp16_overflow 0
		.amdhsa_workgroup_processor_mode 1
		.amdhsa_memory_ordered 1
		.amdhsa_forward_progress 1
		.amdhsa_shared_vgpr_count 0
		.amdhsa_exception_fp_ieee_invalid_op 0
		.amdhsa_exception_fp_denorm_src 0
		.amdhsa_exception_fp_ieee_div_zero 0
		.amdhsa_exception_fp_ieee_overflow 0
		.amdhsa_exception_fp_ieee_underflow 0
		.amdhsa_exception_fp_ieee_inexact 0
		.amdhsa_exception_int_div_zero 0
	.end_amdhsa_kernel
	.section	.text._ZN12_GLOBAL__N_127rocblas_gemm_batched_kernelIfLi16ELi16ELi32ELi32ELi8ELi32ELi8ELi8ELi32ELc78ELc78EKPKDF16_KPKfKPfEEvlllT_PT11_llSB_llS9_PT12_llPT13_lli,"axG",@progbits,_ZN12_GLOBAL__N_127rocblas_gemm_batched_kernelIfLi16ELi16ELi32ELi32ELi8ELi32ELi8ELi8ELi32ELc78ELc78EKPKDF16_KPKfKPfEEvlllT_PT11_llSB_llS9_PT12_llPT13_lli,comdat
.Lfunc_end121:
	.size	_ZN12_GLOBAL__N_127rocblas_gemm_batched_kernelIfLi16ELi16ELi32ELi32ELi8ELi32ELi8ELi8ELi32ELc78ELc78EKPKDF16_KPKfKPfEEvlllT_PT11_llSB_llS9_PT12_llPT13_lli, .Lfunc_end121-_ZN12_GLOBAL__N_127rocblas_gemm_batched_kernelIfLi16ELi16ELi32ELi32ELi8ELi32ELi8ELi8ELi32ELc78ELc78EKPKDF16_KPKfKPfEEvlllT_PT11_llSB_llS9_PT12_llPT13_lli
                                        ; -- End function
	.set _ZN12_GLOBAL__N_127rocblas_gemm_batched_kernelIfLi16ELi16ELi32ELi32ELi8ELi32ELi8ELi8ELi32ELc78ELc78EKPKDF16_KPKfKPfEEvlllT_PT11_llSB_llS9_PT12_llPT13_lli.num_vgpr, 46
	.set _ZN12_GLOBAL__N_127rocblas_gemm_batched_kernelIfLi16ELi16ELi32ELi32ELi8ELi32ELi8ELi8ELi32ELc78ELc78EKPKDF16_KPKfKPfEEvlllT_PT11_llSB_llS9_PT12_llPT13_lli.num_agpr, 0
	.set _ZN12_GLOBAL__N_127rocblas_gemm_batched_kernelIfLi16ELi16ELi32ELi32ELi8ELi32ELi8ELi8ELi32ELc78ELc78EKPKDF16_KPKfKPfEEvlllT_PT11_llSB_llS9_PT12_llPT13_lli.numbered_sgpr, 36
	.set _ZN12_GLOBAL__N_127rocblas_gemm_batched_kernelIfLi16ELi16ELi32ELi32ELi8ELi32ELi8ELi8ELi32ELc78ELc78EKPKDF16_KPKfKPfEEvlllT_PT11_llSB_llS9_PT12_llPT13_lli.num_named_barrier, 0
	.set _ZN12_GLOBAL__N_127rocblas_gemm_batched_kernelIfLi16ELi16ELi32ELi32ELi8ELi32ELi8ELi8ELi32ELc78ELc78EKPKDF16_KPKfKPfEEvlllT_PT11_llSB_llS9_PT12_llPT13_lli.private_seg_size, 0
	.set _ZN12_GLOBAL__N_127rocblas_gemm_batched_kernelIfLi16ELi16ELi32ELi32ELi8ELi32ELi8ELi8ELi32ELc78ELc78EKPKDF16_KPKfKPfEEvlllT_PT11_llSB_llS9_PT12_llPT13_lli.uses_vcc, 1
	.set _ZN12_GLOBAL__N_127rocblas_gemm_batched_kernelIfLi16ELi16ELi32ELi32ELi8ELi32ELi8ELi8ELi32ELc78ELc78EKPKDF16_KPKfKPfEEvlllT_PT11_llSB_llS9_PT12_llPT13_lli.uses_flat_scratch, 0
	.set _ZN12_GLOBAL__N_127rocblas_gemm_batched_kernelIfLi16ELi16ELi32ELi32ELi8ELi32ELi8ELi8ELi32ELc78ELc78EKPKDF16_KPKfKPfEEvlllT_PT11_llSB_llS9_PT12_llPT13_lli.has_dyn_sized_stack, 0
	.set _ZN12_GLOBAL__N_127rocblas_gemm_batched_kernelIfLi16ELi16ELi32ELi32ELi8ELi32ELi8ELi8ELi32ELc78ELc78EKPKDF16_KPKfKPfEEvlllT_PT11_llSB_llS9_PT12_llPT13_lli.has_recursion, 0
	.set _ZN12_GLOBAL__N_127rocblas_gemm_batched_kernelIfLi16ELi16ELi32ELi32ELi8ELi32ELi8ELi8ELi32ELc78ELc78EKPKDF16_KPKfKPfEEvlllT_PT11_llSB_llS9_PT12_llPT13_lli.has_indirect_call, 0
	.section	.AMDGPU.csdata,"",@progbits
; Kernel info:
; codeLenInByte = 1404
; TotalNumSgprs: 38
; NumVgprs: 46
; ScratchSize: 0
; MemoryBound: 0
; FloatMode: 240
; IeeeMode: 1
; LDSByteSize: 2048 bytes/workgroup (compile time only)
; SGPRBlocks: 0
; VGPRBlocks: 5
; NumSGPRsForWavesPerEU: 38
; NumVGPRsForWavesPerEU: 46
; Occupancy: 16
; WaveLimiterHint : 1
; COMPUTE_PGM_RSRC2:SCRATCH_EN: 0
; COMPUTE_PGM_RSRC2:USER_SGPR: 6
; COMPUTE_PGM_RSRC2:TRAP_HANDLER: 0
; COMPUTE_PGM_RSRC2:TGID_X_EN: 1
; COMPUTE_PGM_RSRC2:TGID_Y_EN: 1
; COMPUTE_PGM_RSRC2:TGID_Z_EN: 1
; COMPUTE_PGM_RSRC2:TIDIG_COMP_CNT: 1
	.section	.text._ZN12_GLOBAL__N_127rocblas_gemm_batched_kernelIfLi16ELi16ELi32ELi32ELi8ELi32ELi8ELi8ELi32ELc84ELc78EKPKDF16_KPKfKPfEEvlllT_PT11_llSB_llS9_PT12_llPT13_lli,"axG",@progbits,_ZN12_GLOBAL__N_127rocblas_gemm_batched_kernelIfLi16ELi16ELi32ELi32ELi8ELi32ELi8ELi8ELi32ELc84ELc78EKPKDF16_KPKfKPfEEvlllT_PT11_llSB_llS9_PT12_llPT13_lli,comdat
	.globl	_ZN12_GLOBAL__N_127rocblas_gemm_batched_kernelIfLi16ELi16ELi32ELi32ELi8ELi32ELi8ELi8ELi32ELc84ELc78EKPKDF16_KPKfKPfEEvlllT_PT11_llSB_llS9_PT12_llPT13_lli ; -- Begin function _ZN12_GLOBAL__N_127rocblas_gemm_batched_kernelIfLi16ELi16ELi32ELi32ELi8ELi32ELi8ELi8ELi32ELc84ELc78EKPKDF16_KPKfKPfEEvlllT_PT11_llSB_llS9_PT12_llPT13_lli
	.p2align	8
	.type	_ZN12_GLOBAL__N_127rocblas_gemm_batched_kernelIfLi16ELi16ELi32ELi32ELi8ELi32ELi8ELi8ELi32ELc84ELc78EKPKDF16_KPKfKPfEEvlllT_PT11_llSB_llS9_PT12_llPT13_lli,@function
_ZN12_GLOBAL__N_127rocblas_gemm_batched_kernelIfLi16ELi16ELi32ELi32ELi8ELi32ELi8ELi8ELi32ELc84ELc78EKPKDF16_KPKfKPfEEvlllT_PT11_llSB_llS9_PT12_llPT13_lli: ; @_ZN12_GLOBAL__N_127rocblas_gemm_batched_kernelIfLi16ELi16ELi32ELi32ELi8ELi32ELi8ELi8ELi32ELc84ELc78EKPKDF16_KPKfKPfEEvlllT_PT11_llSB_llS9_PT12_llPT13_lli
; %bb.0:
	s_clause 0x1
	s_load_dwordx8 s[12:19], s[4:5], 0x58
	s_load_dwordx2 s[28:29], s[4:5], 0x10
	s_mov_b32 s9, 0
	s_load_dwordx4 s[0:3], s[4:5], 0x78
	s_lshl_b64 s[34:35], s[8:9], 3
	s_mov_b32 s10, s7
	v_mov_b32_e32 v9, 0
	v_mov_b32_e32 v8, 0
	;; [unrolled: 1-line block ×4, first 2 shown]
	s_waitcnt lgkmcnt(0)
	s_add_u32 s8, s12, s34
	s_addc_u32 s9, s13, s35
	s_add_u32 s18, s18, s34
	s_addc_u32 s19, s19, s35
	s_load_dwordx2 s[12:13], s[8:9], 0x0
	s_load_dwordx2 s[18:19], s[18:19], 0x0
	v_cmp_lt_i64_e64 s8, s[28:29], 1
	s_ashr_i32 s7, s6, 31
	s_ashr_i32 s11, s10, 31
	s_lshl_b64 s[6:7], s[6:7], 5
	s_lshl_b64 s[30:31], s[10:11], 5
	s_and_b32 vcc_lo, exec_lo, s8
	s_cbranch_vccnz .LBB122_3
; %bb.1:
	s_clause 0x1
	s_load_dwordx8 s[20:27], s[4:5], 0x20
	s_load_dwordx4 s[8:11], s[4:5], 0x40
	v_lshl_add_u32 v2, v1, 4, v0
	v_and_b32_e32 v7, 7, v0
	v_lshrrev_b32_e32 v6, 3, v2
	v_and_b32_e32 v8, 31, v2
	v_lshrrev_b32_e32 v9, 5, v2
	v_lshlrev_b32_e32 v10, 2, v7
	v_lshlrev_b32_e32 v7, 1, v7
	v_add_co_u32 v2, s33, v6, s30
	v_add_co_ci_u32_e64 v3, null, 0, s31, s33
	v_add_co_u32 v4, s33, s6, v8
	v_add_co_ci_u32_e64 v5, null, s7, 0, s33
	s_waitcnt lgkmcnt(0)
	s_add_u32 s20, s20, s34
	v_mul_lo_u32 v11, s9, v2
	v_mul_lo_u32 v12, s8, v3
	v_mad_u64_u32 v[2:3], null, s8, v2, 0
	v_mul_lo_u32 v13, s23, v4
	v_mul_lo_u32 v14, s22, v5
	v_mad_u64_u32 v[4:5], null, s22, v4, 0
	s_addc_u32 s21, s21, s35
	s_add_u32 s26, s26, s34
	v_add3_u32 v3, v3, v12, v11
	s_addc_u32 s27, s27, s35
	s_load_dwordx2 s[20:21], s[20:21], 0x0
	s_load_dwordx2 s[8:9], s[26:27], 0x0
	v_add3_u32 v5, v5, v14, v13
	v_lshlrev_b64 v[2:3], 1, v[2:3]
	s_lshl_b64 s[10:11], s[10:11], 1
	v_lshlrev_b32_e32 v8, 2, v8
	v_lshl_or_b32 v15, v6, 5, v10
	v_lshlrev_b64 v[4:5], 1, v[4:5]
	v_mov_b32_e32 v6, 0
	v_add_co_u32 v2, vcc_lo, v2, s10
	v_add_co_ci_u32_e64 v3, null, s11, v3, vcc_lo
	s_lshl_b64 s[10:11], s[24:25], 1
	v_lshl_or_b32 v10, v9, 7, v8
	v_add_co_u32 v4, vcc_lo, v4, s10
	v_lshlrev_b32_e32 v8, 1, v9
	v_add_co_ci_u32_e64 v5, null, s11, v5, vcc_lo
	v_add_co_u32 v2, vcc_lo, v2, v7
	v_add_co_ci_u32_e64 v3, null, 0, v3, vcc_lo
	v_add_co_u32 v4, vcc_lo, v4, v8
	v_add_co_ci_u32_e64 v5, null, 0, v5, vcc_lo
	s_waitcnt lgkmcnt(0)
	v_add_co_u32 v2, vcc_lo, s8, v2
	v_add_co_ci_u32_e64 v3, null, s9, v3, vcc_lo
	v_add_co_u32 v4, vcc_lo, s20, v4
	v_add_nc_u32_e32 v11, 0x400, v15
	v_lshlrev_b32_e32 v12, 2, v0
	v_lshl_add_u32 v13, v1, 5, 0x400
	v_add_co_ci_u32_e64 v5, null, s21, v5, vcc_lo
	v_mov_b32_e32 v7, 0
	v_mov_b32_e32 v8, 0
	v_mov_b32_e32 v9, 0
	s_mov_b64 s[8:9], 0
.LBB122_2:                              ; =>This Inner Loop Header: Depth=1
	flat_load_ushort v14, v[4:5]
	flat_load_ushort v15, v[2:3]
	s_add_u32 s8, s8, 8
	s_addc_u32 s9, s9, 0
	v_add_co_u32 v2, vcc_lo, v2, 16
	v_cmp_lt_i64_e64 s10, s[8:9], s[28:29]
	v_add_co_ci_u32_e64 v3, null, 0, v3, vcc_lo
	v_add_co_u32 v4, vcc_lo, v4, 16
	v_add_co_ci_u32_e64 v5, null, 0, v5, vcc_lo
	s_and_b32 vcc_lo, exec_lo, s10
	s_waitcnt vmcnt(1) lgkmcnt(1)
	v_cvt_f32_f16_e32 v14, v14
	s_waitcnt vmcnt(0) lgkmcnt(0)
	v_cvt_f32_f16_e32 v15, v15
	ds_write_b32 v10, v14
	ds_write_b32 v11, v15
	s_waitcnt lgkmcnt(0)
	s_barrier
	buffer_gl0_inv
	ds_read_b128 v[14:17], v13
	ds_read2_b32 v[30:31], v12 offset1:16
	ds_read_b128 v[18:21], v13 offset:512
	ds_read2_b32 v[32:33], v12 offset0:32 offset1:48
	ds_read2_b32 v[34:35], v12 offset0:64 offset1:80
	ds_read_b128 v[22:25], v13 offset:16
	ds_read2_b32 v[36:37], v12 offset0:96 offset1:112
	ds_read2_b32 v[38:39], v12 offset0:128 offset1:144
	;; [unrolled: 3-line block ×3, first 2 shown]
	ds_read2_b32 v[44:45], v12 offset0:224 offset1:240
	s_waitcnt lgkmcnt(0)
	s_barrier
	buffer_gl0_inv
	v_fmac_f32_e32 v9, v30, v14
	v_fmac_f32_e32 v8, v31, v14
	;; [unrolled: 1-line block ×32, first 2 shown]
	s_cbranch_vccnz .LBB122_2
.LBB122_3:
	s_load_dword s8, s[4:5], 0x50
	s_lshl_b64 s[10:11], s[2:3], 2
	s_load_dword s2, s[4:5], 0x18
	v_add_co_u32 v2, s4, s30, v1
	v_add_co_ci_u32_e64 v5, null, s31, 0, s4
	v_add_co_u32 v0, s4, s6, v0
	v_add_co_ci_u32_e64 v1, null, s7, 0, s4
	v_mul_lo_u32 v3, v5, s0
	v_mul_lo_u32 v4, v2, s1
	s_waitcnt lgkmcnt(0)
	s_add_u32 s3, s18, s10
	v_lshlrev_b64 v[0:1], 2, v[0:1]
	s_addc_u32 s4, s19, s11
	v_cmp_neq_f32_e64 s5, s8, 0
	s_and_b32 vcc_lo, exec_lo, s5
	s_mov_b32 s5, 0
	s_cbranch_vccnz .LBB122_7
; %bb.4:
	v_mad_u64_u32 v[10:11], null, v2, s0, 0
	s_lshl_b64 s[6:7], s[0:1], 6
	v_mul_f32_e32 v14, s2, v9
	v_mul_f32_e32 v15, s2, v8
	;; [unrolled: 1-line block ×4, first 2 shown]
	v_add3_u32 v11, v11, v4, v3
	v_lshlrev_b64 v[10:11], 2, v[10:11]
	v_add_co_u32 v10, vcc_lo, s3, v10
	v_add_co_ci_u32_e64 v11, null, s4, v11, vcc_lo
	v_add_co_u32 v12, vcc_lo, v10, s6
	v_add_co_ci_u32_e64 v13, null, s7, v11, vcc_lo
	;; [unrolled: 2-line block ×4, first 2 shown]
	flat_store_dword v[10:11], v14
	flat_store_dword v[10:11], v15 offset:64
	flat_store_dword v[12:13], v16
	flat_store_dword v[12:13], v17 offset:64
	s_andn2_b32 vcc_lo, exec_lo, s5
	s_cbranch_vccnz .LBB122_6
.LBB122_5:
	v_mul_lo_u32 v5, v5, s14
	v_mul_lo_u32 v12, v2, s15
	v_mad_u64_u32 v[10:11], null, v2, s14, 0
	s_lshl_b64 s[6:7], s[16:17], 2
	s_add_u32 s5, s12, s6
	s_addc_u32 s6, s13, s7
	v_add3_u32 v11, v11, v12, v5
	v_mad_u64_u32 v[12:13], null, v2, s0, 0
	s_lshl_b64 s[0:1], s[0:1], 6
	v_lshlrev_b64 v[10:11], 2, v[10:11]
	v_add3_u32 v13, v13, v4, v3
	v_add_co_u32 v5, vcc_lo, s5, v10
	v_add_co_ci_u32_e64 v14, null, s6, v11, vcc_lo
	v_lshlrev_b64 v[2:3], 2, v[12:13]
	v_add_co_u32 v10, vcc_lo, v5, v0
	v_add_co_ci_u32_e64 v11, null, v14, v1, vcc_lo
	v_add_co_u32 v12, vcc_lo, s3, v2
	flat_load_dword v15, v[10:11]
	v_add_co_ci_u32_e64 v13, null, s4, v3, vcc_lo
	v_add_co_u32 v2, vcc_lo, v12, v0
	s_lshl_b64 s[4:5], s[14:15], 6
	v_add_co_ci_u32_e64 v3, null, v13, v1, vcc_lo
	s_waitcnt vmcnt(0) lgkmcnt(0)
	v_mul_f32_e32 v4, s8, v15
	v_fmac_f32_e32 v4, s2, v9
	flat_store_dword v[2:3], v4
	flat_load_dword v4, v[10:11] offset:64
	s_waitcnt vmcnt(0) lgkmcnt(0)
	v_mul_f32_e32 v9, s8, v4
	v_add_co_u32 v4, vcc_lo, v5, s4
	v_add_co_ci_u32_e64 v5, null, s5, v14, vcc_lo
	v_fmac_f32_e32 v9, s2, v8
	v_add_co_u32 v4, vcc_lo, v4, v0
	v_add_co_ci_u32_e64 v5, null, v5, v1, vcc_lo
	flat_store_dword v[2:3], v9 offset:64
	v_add_co_u32 v3, vcc_lo, v12, s0
	flat_load_dword v2, v[4:5]
	v_add_co_ci_u32_e64 v8, null, s1, v13, vcc_lo
	v_add_co_u32 v0, vcc_lo, v3, v0
	v_add_co_ci_u32_e64 v1, null, v8, v1, vcc_lo
	s_waitcnt vmcnt(0) lgkmcnt(0)
	v_mul_f32_e32 v2, s8, v2
	v_fmac_f32_e32 v2, s2, v7
	flat_store_dword v[0:1], v2
	flat_load_dword v2, v[4:5] offset:64
	s_waitcnt vmcnt(0) lgkmcnt(0)
	v_mul_f32_e32 v2, s8, v2
	v_fmac_f32_e32 v2, s2, v6
	flat_store_dword v[0:1], v2 offset:64
.LBB122_6:
	s_endpgm
.LBB122_7:
	s_branch .LBB122_5
	.section	.rodata,"a",@progbits
	.p2align	6, 0x0
	.amdhsa_kernel _ZN12_GLOBAL__N_127rocblas_gemm_batched_kernelIfLi16ELi16ELi32ELi32ELi8ELi32ELi8ELi8ELi32ELc84ELc78EKPKDF16_KPKfKPfEEvlllT_PT11_llSB_llS9_PT12_llPT13_lli
		.amdhsa_group_segment_fixed_size 2048
		.amdhsa_private_segment_fixed_size 0
		.amdhsa_kernarg_size 140
		.amdhsa_user_sgpr_count 6
		.amdhsa_user_sgpr_private_segment_buffer 1
		.amdhsa_user_sgpr_dispatch_ptr 0
		.amdhsa_user_sgpr_queue_ptr 0
		.amdhsa_user_sgpr_kernarg_segment_ptr 1
		.amdhsa_user_sgpr_dispatch_id 0
		.amdhsa_user_sgpr_flat_scratch_init 0
		.amdhsa_user_sgpr_private_segment_size 0
		.amdhsa_wavefront_size32 1
		.amdhsa_uses_dynamic_stack 0
		.amdhsa_system_sgpr_private_segment_wavefront_offset 0
		.amdhsa_system_sgpr_workgroup_id_x 1
		.amdhsa_system_sgpr_workgroup_id_y 1
		.amdhsa_system_sgpr_workgroup_id_z 1
		.amdhsa_system_sgpr_workgroup_info 0
		.amdhsa_system_vgpr_workitem_id 1
		.amdhsa_next_free_vgpr 46
		.amdhsa_next_free_sgpr 36
		.amdhsa_reserve_vcc 1
		.amdhsa_reserve_flat_scratch 0
		.amdhsa_float_round_mode_32 0
		.amdhsa_float_round_mode_16_64 0
		.amdhsa_float_denorm_mode_32 3
		.amdhsa_float_denorm_mode_16_64 3
		.amdhsa_dx10_clamp 1
		.amdhsa_ieee_mode 1
		.amdhsa_fp16_overflow 0
		.amdhsa_workgroup_processor_mode 1
		.amdhsa_memory_ordered 1
		.amdhsa_forward_progress 1
		.amdhsa_shared_vgpr_count 0
		.amdhsa_exception_fp_ieee_invalid_op 0
		.amdhsa_exception_fp_denorm_src 0
		.amdhsa_exception_fp_ieee_div_zero 0
		.amdhsa_exception_fp_ieee_overflow 0
		.amdhsa_exception_fp_ieee_underflow 0
		.amdhsa_exception_fp_ieee_inexact 0
		.amdhsa_exception_int_div_zero 0
	.end_amdhsa_kernel
	.section	.text._ZN12_GLOBAL__N_127rocblas_gemm_batched_kernelIfLi16ELi16ELi32ELi32ELi8ELi32ELi8ELi8ELi32ELc84ELc78EKPKDF16_KPKfKPfEEvlllT_PT11_llSB_llS9_PT12_llPT13_lli,"axG",@progbits,_ZN12_GLOBAL__N_127rocblas_gemm_batched_kernelIfLi16ELi16ELi32ELi32ELi8ELi32ELi8ELi8ELi32ELc84ELc78EKPKDF16_KPKfKPfEEvlllT_PT11_llSB_llS9_PT12_llPT13_lli,comdat
.Lfunc_end122:
	.size	_ZN12_GLOBAL__N_127rocblas_gemm_batched_kernelIfLi16ELi16ELi32ELi32ELi8ELi32ELi8ELi8ELi32ELc84ELc78EKPKDF16_KPKfKPfEEvlllT_PT11_llSB_llS9_PT12_llPT13_lli, .Lfunc_end122-_ZN12_GLOBAL__N_127rocblas_gemm_batched_kernelIfLi16ELi16ELi32ELi32ELi8ELi32ELi8ELi8ELi32ELc84ELc78EKPKDF16_KPKfKPfEEvlllT_PT11_llSB_llS9_PT12_llPT13_lli
                                        ; -- End function
	.set _ZN12_GLOBAL__N_127rocblas_gemm_batched_kernelIfLi16ELi16ELi32ELi32ELi8ELi32ELi8ELi8ELi32ELc84ELc78EKPKDF16_KPKfKPfEEvlllT_PT11_llSB_llS9_PT12_llPT13_lli.num_vgpr, 46
	.set _ZN12_GLOBAL__N_127rocblas_gemm_batched_kernelIfLi16ELi16ELi32ELi32ELi8ELi32ELi8ELi8ELi32ELc84ELc78EKPKDF16_KPKfKPfEEvlllT_PT11_llSB_llS9_PT12_llPT13_lli.num_agpr, 0
	.set _ZN12_GLOBAL__N_127rocblas_gemm_batched_kernelIfLi16ELi16ELi32ELi32ELi8ELi32ELi8ELi8ELi32ELc84ELc78EKPKDF16_KPKfKPfEEvlllT_PT11_llSB_llS9_PT12_llPT13_lli.numbered_sgpr, 36
	.set _ZN12_GLOBAL__N_127rocblas_gemm_batched_kernelIfLi16ELi16ELi32ELi32ELi8ELi32ELi8ELi8ELi32ELc84ELc78EKPKDF16_KPKfKPfEEvlllT_PT11_llSB_llS9_PT12_llPT13_lli.num_named_barrier, 0
	.set _ZN12_GLOBAL__N_127rocblas_gemm_batched_kernelIfLi16ELi16ELi32ELi32ELi8ELi32ELi8ELi8ELi32ELc84ELc78EKPKDF16_KPKfKPfEEvlllT_PT11_llSB_llS9_PT12_llPT13_lli.private_seg_size, 0
	.set _ZN12_GLOBAL__N_127rocblas_gemm_batched_kernelIfLi16ELi16ELi32ELi32ELi8ELi32ELi8ELi8ELi32ELc84ELc78EKPKDF16_KPKfKPfEEvlllT_PT11_llSB_llS9_PT12_llPT13_lli.uses_vcc, 1
	.set _ZN12_GLOBAL__N_127rocblas_gemm_batched_kernelIfLi16ELi16ELi32ELi32ELi8ELi32ELi8ELi8ELi32ELc84ELc78EKPKDF16_KPKfKPfEEvlllT_PT11_llSB_llS9_PT12_llPT13_lli.uses_flat_scratch, 0
	.set _ZN12_GLOBAL__N_127rocblas_gemm_batched_kernelIfLi16ELi16ELi32ELi32ELi8ELi32ELi8ELi8ELi32ELc84ELc78EKPKDF16_KPKfKPfEEvlllT_PT11_llSB_llS9_PT12_llPT13_lli.has_dyn_sized_stack, 0
	.set _ZN12_GLOBAL__N_127rocblas_gemm_batched_kernelIfLi16ELi16ELi32ELi32ELi8ELi32ELi8ELi8ELi32ELc84ELc78EKPKDF16_KPKfKPfEEvlllT_PT11_llSB_llS9_PT12_llPT13_lli.has_recursion, 0
	.set _ZN12_GLOBAL__N_127rocblas_gemm_batched_kernelIfLi16ELi16ELi32ELi32ELi8ELi32ELi8ELi8ELi32ELc84ELc78EKPKDF16_KPKfKPfEEvlllT_PT11_llSB_llS9_PT12_llPT13_lli.has_indirect_call, 0
	.section	.AMDGPU.csdata,"",@progbits
; Kernel info:
; codeLenInByte = 1448
; TotalNumSgprs: 38
; NumVgprs: 46
; ScratchSize: 0
; MemoryBound: 0
; FloatMode: 240
; IeeeMode: 1
; LDSByteSize: 2048 bytes/workgroup (compile time only)
; SGPRBlocks: 0
; VGPRBlocks: 5
; NumSGPRsForWavesPerEU: 38
; NumVGPRsForWavesPerEU: 46
; Occupancy: 16
; WaveLimiterHint : 1
; COMPUTE_PGM_RSRC2:SCRATCH_EN: 0
; COMPUTE_PGM_RSRC2:USER_SGPR: 6
; COMPUTE_PGM_RSRC2:TRAP_HANDLER: 0
; COMPUTE_PGM_RSRC2:TGID_X_EN: 1
; COMPUTE_PGM_RSRC2:TGID_Y_EN: 1
; COMPUTE_PGM_RSRC2:TGID_Z_EN: 1
; COMPUTE_PGM_RSRC2:TIDIG_COMP_CNT: 1
	.section	.text._ZN12_GLOBAL__N_127rocblas_gemm_batched_kernelIfLi16ELi16ELi32ELi32ELi8ELi32ELi8ELi8ELi32ELc78ELc84EKPKDF16_KPKfKPfEEvlllT_PT11_llSB_llS9_PT12_llPT13_lli,"axG",@progbits,_ZN12_GLOBAL__N_127rocblas_gemm_batched_kernelIfLi16ELi16ELi32ELi32ELi8ELi32ELi8ELi8ELi32ELc78ELc84EKPKDF16_KPKfKPfEEvlllT_PT11_llSB_llS9_PT12_llPT13_lli,comdat
	.globl	_ZN12_GLOBAL__N_127rocblas_gemm_batched_kernelIfLi16ELi16ELi32ELi32ELi8ELi32ELi8ELi8ELi32ELc78ELc84EKPKDF16_KPKfKPfEEvlllT_PT11_llSB_llS9_PT12_llPT13_lli ; -- Begin function _ZN12_GLOBAL__N_127rocblas_gemm_batched_kernelIfLi16ELi16ELi32ELi32ELi8ELi32ELi8ELi8ELi32ELc78ELc84EKPKDF16_KPKfKPfEEvlllT_PT11_llSB_llS9_PT12_llPT13_lli
	.p2align	8
	.type	_ZN12_GLOBAL__N_127rocblas_gemm_batched_kernelIfLi16ELi16ELi32ELi32ELi8ELi32ELi8ELi8ELi32ELc78ELc84EKPKDF16_KPKfKPfEEvlllT_PT11_llSB_llS9_PT12_llPT13_lli,@function
_ZN12_GLOBAL__N_127rocblas_gemm_batched_kernelIfLi16ELi16ELi32ELi32ELi8ELi32ELi8ELi8ELi32ELc78ELc84EKPKDF16_KPKfKPfEEvlllT_PT11_llSB_llS9_PT12_llPT13_lli: ; @_ZN12_GLOBAL__N_127rocblas_gemm_batched_kernelIfLi16ELi16ELi32ELi32ELi8ELi32ELi8ELi8ELi32ELc78ELc84EKPKDF16_KPKfKPfEEvlllT_PT11_llSB_llS9_PT12_llPT13_lli
; %bb.0:
	s_clause 0x1
	s_load_dwordx8 s[12:19], s[4:5], 0x58
	s_load_dwordx2 s[28:29], s[4:5], 0x10
	s_mov_b32 s9, 0
	s_load_dwordx4 s[0:3], s[4:5], 0x78
	s_lshl_b64 s[34:35], s[8:9], 3
	s_mov_b32 s10, s7
	v_mov_b32_e32 v9, 0
	v_mov_b32_e32 v8, 0
	v_mov_b32_e32 v2, 0
	v_mov_b32_e32 v3, 0
	s_waitcnt lgkmcnt(0)
	s_add_u32 s8, s12, s34
	s_addc_u32 s9, s13, s35
	s_add_u32 s18, s18, s34
	s_addc_u32 s19, s19, s35
	s_load_dwordx2 s[12:13], s[8:9], 0x0
	s_load_dwordx2 s[18:19], s[18:19], 0x0
	v_cmp_lt_i64_e64 s8, s[28:29], 1
	s_ashr_i32 s7, s6, 31
	s_ashr_i32 s11, s10, 31
	s_lshl_b64 s[6:7], s[6:7], 5
	s_lshl_b64 s[30:31], s[10:11], 5
	s_and_b32 vcc_lo, exec_lo, s8
	s_cbranch_vccnz .LBB123_3
; %bb.1:
	s_clause 0x1
	s_load_dwordx8 s[20:27], s[4:5], 0x20
	s_load_dwordx4 s[8:11], s[4:5], 0x40
	v_lshl_add_u32 v4, v1, 4, v0
	v_mov_b32_e32 v3, 0
	v_and_b32_e32 v8, 7, v0
	v_lshlrev_b32_e32 v10, 2, v0
	v_lshl_add_u32 v11, v1, 5, 0x400
	v_lshrrev_b32_e32 v2, 3, v4
	v_lshrrev_b32_e32 v9, 5, v4
	v_and_b32_e32 v14, 31, v4
	v_lshlrev_b32_e32 v12, 2, v8
	v_lshlrev_b32_e32 v13, 2, v14
	v_lshl_or_b32 v15, v2, 5, v12
	v_lshl_or_b32 v12, v9, 7, v13
	s_waitcnt lgkmcnt(0)
	v_mad_u64_u32 v[6:7], null, s22, v9, s[6:7]
	v_mad_u64_u32 v[4:5], null, s8, v8, v[2:3]
	s_add_u32 s20, s20, s34
	s_addc_u32 s21, s21, s35
	s_add_u32 s26, s26, s34
	s_addc_u32 s27, s27, s35
	s_load_dwordx2 s[20:21], s[20:21], 0x0
	s_load_dwordx2 s[26:27], s[26:27], 0x0
	v_mov_b32_e32 v2, v5
	v_mov_b32_e32 v5, v7
	v_add_co_u32 v4, vcc_lo, v4, s30
	s_lshl_b64 s[10:11], s[10:11], 1
	v_mad_u64_u32 v[7:8], null, s9, v8, v[2:3]
	v_mad_u64_u32 v[8:9], null, s23, v9, v[5:6]
	v_add_nc_u32_e32 v13, 0x400, v15
	v_mov_b32_e32 v2, v3
	v_mov_b32_e32 v9, v3
	v_add_co_ci_u32_e64 v5, null, s31, v7, vcc_lo
	v_add_co_u32 v6, vcc_lo, v6, v14
	v_add_co_ci_u32_e64 v7, null, 0, v8, vcc_lo
	v_lshlrev_b64 v[4:5], 1, v[4:5]
	s_waitcnt lgkmcnt(0)
	s_add_u32 s26, s26, s10
	s_addc_u32 s27, s27, s11
	v_lshlrev_b64 v[6:7], 1, v[6:7]
	s_lshl_b64 s[10:11], s[24:25], 1
	s_lshl_b64 s[8:9], s[8:9], 4
	s_add_u32 s10, s20, s10
	v_add_co_u32 v4, vcc_lo, s26, v4
	s_addc_u32 s11, s21, s11
	v_add_co_ci_u32_e64 v5, null, s27, v5, vcc_lo
	v_add_co_u32 v6, vcc_lo, s10, v6
	v_add_co_ci_u32_e64 v7, null, s11, v7, vcc_lo
	v_mov_b32_e32 v8, v3
	s_lshl_b64 s[10:11], s[22:23], 4
	s_mov_b64 s[20:21], 0
.LBB123_2:                              ; =>This Inner Loop Header: Depth=1
	flat_load_ushort v14, v[6:7]
	flat_load_ushort v15, v[4:5]
	s_add_u32 s20, s20, 8
	s_addc_u32 s21, s21, 0
	v_add_co_u32 v4, vcc_lo, v4, s8
	v_cmp_lt_i64_e64 s22, s[20:21], s[28:29]
	v_add_co_ci_u32_e64 v5, null, s9, v5, vcc_lo
	v_add_co_u32 v6, vcc_lo, v6, s10
	v_add_co_ci_u32_e64 v7, null, s11, v7, vcc_lo
	s_and_b32 vcc_lo, exec_lo, s22
	s_waitcnt vmcnt(1) lgkmcnt(1)
	v_cvt_f32_f16_e32 v14, v14
	s_waitcnt vmcnt(0) lgkmcnt(0)
	v_cvt_f32_f16_e32 v15, v15
	ds_write_b32 v12, v14
	ds_write_b32 v13, v15
	s_waitcnt lgkmcnt(0)
	s_barrier
	buffer_gl0_inv
	ds_read_b128 v[14:17], v11
	ds_read2_b32 v[30:31], v10 offset1:16
	ds_read_b128 v[18:21], v11 offset:512
	ds_read2_b32 v[32:33], v10 offset0:32 offset1:48
	ds_read2_b32 v[34:35], v10 offset0:64 offset1:80
	ds_read_b128 v[22:25], v11 offset:16
	ds_read2_b32 v[36:37], v10 offset0:96 offset1:112
	ds_read2_b32 v[38:39], v10 offset0:128 offset1:144
	;; [unrolled: 3-line block ×3, first 2 shown]
	ds_read2_b32 v[44:45], v10 offset0:224 offset1:240
	s_waitcnt lgkmcnt(0)
	s_barrier
	buffer_gl0_inv
	v_fmac_f32_e32 v9, v30, v14
	v_fmac_f32_e32 v8, v31, v14
	;; [unrolled: 1-line block ×32, first 2 shown]
	s_cbranch_vccnz .LBB123_2
.LBB123_3:
	s_load_dword s8, s[4:5], 0x50
	s_lshl_b64 s[10:11], s[2:3], 2
	s_load_dword s2, s[4:5], 0x18
	v_add_co_u32 v4, s4, s30, v1
	v_add_co_ci_u32_e64 v7, null, s31, 0, s4
	v_add_co_u32 v0, s4, s6, v0
	v_add_co_ci_u32_e64 v1, null, s7, 0, s4
	v_mul_lo_u32 v5, v7, s0
	v_mul_lo_u32 v6, v4, s1
	s_waitcnt lgkmcnt(0)
	s_add_u32 s3, s18, s10
	v_lshlrev_b64 v[0:1], 2, v[0:1]
	s_addc_u32 s4, s19, s11
	v_cmp_neq_f32_e64 s5, s8, 0
	s_and_b32 vcc_lo, exec_lo, s5
	s_mov_b32 s5, 0
	s_cbranch_vccnz .LBB123_7
; %bb.4:
	v_mad_u64_u32 v[10:11], null, v4, s0, 0
	s_lshl_b64 s[6:7], s[0:1], 6
	v_mul_f32_e32 v14, s2, v9
	v_mul_f32_e32 v15, s2, v8
	;; [unrolled: 1-line block ×4, first 2 shown]
	v_add3_u32 v11, v11, v6, v5
	v_lshlrev_b64 v[10:11], 2, v[10:11]
	v_add_co_u32 v10, vcc_lo, s3, v10
	v_add_co_ci_u32_e64 v11, null, s4, v11, vcc_lo
	v_add_co_u32 v12, vcc_lo, v10, s6
	v_add_co_ci_u32_e64 v13, null, s7, v11, vcc_lo
	;; [unrolled: 2-line block ×4, first 2 shown]
	flat_store_dword v[10:11], v14
	flat_store_dword v[10:11], v15 offset:64
	flat_store_dword v[12:13], v16
	flat_store_dword v[12:13], v17 offset:64
	s_andn2_b32 vcc_lo, exec_lo, s5
	s_cbranch_vccnz .LBB123_6
.LBB123_5:
	v_mul_lo_u32 v7, v7, s14
	v_mul_lo_u32 v12, v4, s15
	v_mad_u64_u32 v[10:11], null, v4, s14, 0
	s_lshl_b64 s[6:7], s[16:17], 2
	s_add_u32 s5, s12, s6
	s_addc_u32 s6, s13, s7
	v_add3_u32 v11, v11, v12, v7
	v_mad_u64_u32 v[12:13], null, v4, s0, 0
	s_lshl_b64 s[0:1], s[0:1], 6
	v_lshlrev_b64 v[10:11], 2, v[10:11]
	v_add3_u32 v13, v13, v6, v5
	v_add_co_u32 v7, vcc_lo, s5, v10
	v_add_co_ci_u32_e64 v14, null, s6, v11, vcc_lo
	v_lshlrev_b64 v[4:5], 2, v[12:13]
	v_add_co_u32 v10, vcc_lo, v7, v0
	v_add_co_ci_u32_e64 v11, null, v14, v1, vcc_lo
	v_add_co_u32 v12, vcc_lo, s3, v4
	flat_load_dword v15, v[10:11]
	v_add_co_ci_u32_e64 v13, null, s4, v5, vcc_lo
	v_add_co_u32 v4, vcc_lo, v12, v0
	s_lshl_b64 s[4:5], s[14:15], 6
	v_add_co_ci_u32_e64 v5, null, v13, v1, vcc_lo
	s_waitcnt vmcnt(0) lgkmcnt(0)
	v_mul_f32_e32 v6, s8, v15
	v_fmac_f32_e32 v6, s2, v9
	flat_store_dword v[4:5], v6
	flat_load_dword v6, v[10:11] offset:64
	s_waitcnt vmcnt(0) lgkmcnt(0)
	v_mul_f32_e32 v9, s8, v6
	v_add_co_u32 v6, vcc_lo, v7, s4
	v_add_co_ci_u32_e64 v7, null, s5, v14, vcc_lo
	v_fmac_f32_e32 v9, s2, v8
	v_add_co_u32 v6, vcc_lo, v6, v0
	v_add_co_ci_u32_e64 v7, null, v7, v1, vcc_lo
	flat_store_dword v[4:5], v9 offset:64
	v_add_co_u32 v5, vcc_lo, v12, s0
	flat_load_dword v4, v[6:7]
	v_add_co_ci_u32_e64 v8, null, s1, v13, vcc_lo
	v_add_co_u32 v0, vcc_lo, v5, v0
	v_add_co_ci_u32_e64 v1, null, v8, v1, vcc_lo
	s_waitcnt vmcnt(0) lgkmcnt(0)
	v_mul_f32_e32 v4, s8, v4
	v_fmac_f32_e32 v4, s2, v2
	flat_store_dword v[0:1], v4
	flat_load_dword v2, v[6:7] offset:64
	s_waitcnt vmcnt(0) lgkmcnt(0)
	v_mul_f32_e32 v2, s8, v2
	v_fmac_f32_e32 v2, s2, v3
	flat_store_dword v[0:1], v2 offset:64
.LBB123_6:
	s_endpgm
.LBB123_7:
	s_branch .LBB123_5
	.section	.rodata,"a",@progbits
	.p2align	6, 0x0
	.amdhsa_kernel _ZN12_GLOBAL__N_127rocblas_gemm_batched_kernelIfLi16ELi16ELi32ELi32ELi8ELi32ELi8ELi8ELi32ELc78ELc84EKPKDF16_KPKfKPfEEvlllT_PT11_llSB_llS9_PT12_llPT13_lli
		.amdhsa_group_segment_fixed_size 2048
		.amdhsa_private_segment_fixed_size 0
		.amdhsa_kernarg_size 140
		.amdhsa_user_sgpr_count 6
		.amdhsa_user_sgpr_private_segment_buffer 1
		.amdhsa_user_sgpr_dispatch_ptr 0
		.amdhsa_user_sgpr_queue_ptr 0
		.amdhsa_user_sgpr_kernarg_segment_ptr 1
		.amdhsa_user_sgpr_dispatch_id 0
		.amdhsa_user_sgpr_flat_scratch_init 0
		.amdhsa_user_sgpr_private_segment_size 0
		.amdhsa_wavefront_size32 1
		.amdhsa_uses_dynamic_stack 0
		.amdhsa_system_sgpr_private_segment_wavefront_offset 0
		.amdhsa_system_sgpr_workgroup_id_x 1
		.amdhsa_system_sgpr_workgroup_id_y 1
		.amdhsa_system_sgpr_workgroup_id_z 1
		.amdhsa_system_sgpr_workgroup_info 0
		.amdhsa_system_vgpr_workitem_id 1
		.amdhsa_next_free_vgpr 46
		.amdhsa_next_free_sgpr 36
		.amdhsa_reserve_vcc 1
		.amdhsa_reserve_flat_scratch 0
		.amdhsa_float_round_mode_32 0
		.amdhsa_float_round_mode_16_64 0
		.amdhsa_float_denorm_mode_32 3
		.amdhsa_float_denorm_mode_16_64 3
		.amdhsa_dx10_clamp 1
		.amdhsa_ieee_mode 1
		.amdhsa_fp16_overflow 0
		.amdhsa_workgroup_processor_mode 1
		.amdhsa_memory_ordered 1
		.amdhsa_forward_progress 1
		.amdhsa_shared_vgpr_count 0
		.amdhsa_exception_fp_ieee_invalid_op 0
		.amdhsa_exception_fp_denorm_src 0
		.amdhsa_exception_fp_ieee_div_zero 0
		.amdhsa_exception_fp_ieee_overflow 0
		.amdhsa_exception_fp_ieee_underflow 0
		.amdhsa_exception_fp_ieee_inexact 0
		.amdhsa_exception_int_div_zero 0
	.end_amdhsa_kernel
	.section	.text._ZN12_GLOBAL__N_127rocblas_gemm_batched_kernelIfLi16ELi16ELi32ELi32ELi8ELi32ELi8ELi8ELi32ELc78ELc84EKPKDF16_KPKfKPfEEvlllT_PT11_llSB_llS9_PT12_llPT13_lli,"axG",@progbits,_ZN12_GLOBAL__N_127rocblas_gemm_batched_kernelIfLi16ELi16ELi32ELi32ELi8ELi32ELi8ELi8ELi32ELc78ELc84EKPKDF16_KPKfKPfEEvlllT_PT11_llSB_llS9_PT12_llPT13_lli,comdat
.Lfunc_end123:
	.size	_ZN12_GLOBAL__N_127rocblas_gemm_batched_kernelIfLi16ELi16ELi32ELi32ELi8ELi32ELi8ELi8ELi32ELc78ELc84EKPKDF16_KPKfKPfEEvlllT_PT11_llSB_llS9_PT12_llPT13_lli, .Lfunc_end123-_ZN12_GLOBAL__N_127rocblas_gemm_batched_kernelIfLi16ELi16ELi32ELi32ELi8ELi32ELi8ELi8ELi32ELc78ELc84EKPKDF16_KPKfKPfEEvlllT_PT11_llSB_llS9_PT12_llPT13_lli
                                        ; -- End function
	.set _ZN12_GLOBAL__N_127rocblas_gemm_batched_kernelIfLi16ELi16ELi32ELi32ELi8ELi32ELi8ELi8ELi32ELc78ELc84EKPKDF16_KPKfKPfEEvlllT_PT11_llSB_llS9_PT12_llPT13_lli.num_vgpr, 46
	.set _ZN12_GLOBAL__N_127rocblas_gemm_batched_kernelIfLi16ELi16ELi32ELi32ELi8ELi32ELi8ELi8ELi32ELc78ELc84EKPKDF16_KPKfKPfEEvlllT_PT11_llSB_llS9_PT12_llPT13_lli.num_agpr, 0
	.set _ZN12_GLOBAL__N_127rocblas_gemm_batched_kernelIfLi16ELi16ELi32ELi32ELi8ELi32ELi8ELi8ELi32ELc78ELc84EKPKDF16_KPKfKPfEEvlllT_PT11_llSB_llS9_PT12_llPT13_lli.numbered_sgpr, 36
	.set _ZN12_GLOBAL__N_127rocblas_gemm_batched_kernelIfLi16ELi16ELi32ELi32ELi8ELi32ELi8ELi8ELi32ELc78ELc84EKPKDF16_KPKfKPfEEvlllT_PT11_llSB_llS9_PT12_llPT13_lli.num_named_barrier, 0
	.set _ZN12_GLOBAL__N_127rocblas_gemm_batched_kernelIfLi16ELi16ELi32ELi32ELi8ELi32ELi8ELi8ELi32ELc78ELc84EKPKDF16_KPKfKPfEEvlllT_PT11_llSB_llS9_PT12_llPT13_lli.private_seg_size, 0
	.set _ZN12_GLOBAL__N_127rocblas_gemm_batched_kernelIfLi16ELi16ELi32ELi32ELi8ELi32ELi8ELi8ELi32ELc78ELc84EKPKDF16_KPKfKPfEEvlllT_PT11_llSB_llS9_PT12_llPT13_lli.uses_vcc, 1
	.set _ZN12_GLOBAL__N_127rocblas_gemm_batched_kernelIfLi16ELi16ELi32ELi32ELi8ELi32ELi8ELi8ELi32ELc78ELc84EKPKDF16_KPKfKPfEEvlllT_PT11_llSB_llS9_PT12_llPT13_lli.uses_flat_scratch, 0
	.set _ZN12_GLOBAL__N_127rocblas_gemm_batched_kernelIfLi16ELi16ELi32ELi32ELi8ELi32ELi8ELi8ELi32ELc78ELc84EKPKDF16_KPKfKPfEEvlllT_PT11_llSB_llS9_PT12_llPT13_lli.has_dyn_sized_stack, 0
	.set _ZN12_GLOBAL__N_127rocblas_gemm_batched_kernelIfLi16ELi16ELi32ELi32ELi8ELi32ELi8ELi8ELi32ELc78ELc84EKPKDF16_KPKfKPfEEvlllT_PT11_llSB_llS9_PT12_llPT13_lli.has_recursion, 0
	.set _ZN12_GLOBAL__N_127rocblas_gemm_batched_kernelIfLi16ELi16ELi32ELi32ELi8ELi32ELi8ELi8ELi32ELc78ELc84EKPKDF16_KPKfKPfEEvlllT_PT11_llSB_llS9_PT12_llPT13_lli.has_indirect_call, 0
	.section	.AMDGPU.csdata,"",@progbits
; Kernel info:
; codeLenInByte = 1376
; TotalNumSgprs: 38
; NumVgprs: 46
; ScratchSize: 0
; MemoryBound: 0
; FloatMode: 240
; IeeeMode: 1
; LDSByteSize: 2048 bytes/workgroup (compile time only)
; SGPRBlocks: 0
; VGPRBlocks: 5
; NumSGPRsForWavesPerEU: 38
; NumVGPRsForWavesPerEU: 46
; Occupancy: 16
; WaveLimiterHint : 1
; COMPUTE_PGM_RSRC2:SCRATCH_EN: 0
; COMPUTE_PGM_RSRC2:USER_SGPR: 6
; COMPUTE_PGM_RSRC2:TRAP_HANDLER: 0
; COMPUTE_PGM_RSRC2:TGID_X_EN: 1
; COMPUTE_PGM_RSRC2:TGID_Y_EN: 1
; COMPUTE_PGM_RSRC2:TGID_Z_EN: 1
; COMPUTE_PGM_RSRC2:TIDIG_COMP_CNT: 1
	.section	.text._ZN12_GLOBAL__N_127rocblas_gemm_batched_kernelIfLi16ELi16ELi32ELi32ELi8ELi32ELi8ELi8ELi32ELc84ELc84EKPKDF16_KPKfKPfEEvlllT_PT11_llSB_llS9_PT12_llPT13_lli,"axG",@progbits,_ZN12_GLOBAL__N_127rocblas_gemm_batched_kernelIfLi16ELi16ELi32ELi32ELi8ELi32ELi8ELi8ELi32ELc84ELc84EKPKDF16_KPKfKPfEEvlllT_PT11_llSB_llS9_PT12_llPT13_lli,comdat
	.globl	_ZN12_GLOBAL__N_127rocblas_gemm_batched_kernelIfLi16ELi16ELi32ELi32ELi8ELi32ELi8ELi8ELi32ELc84ELc84EKPKDF16_KPKfKPfEEvlllT_PT11_llSB_llS9_PT12_llPT13_lli ; -- Begin function _ZN12_GLOBAL__N_127rocblas_gemm_batched_kernelIfLi16ELi16ELi32ELi32ELi8ELi32ELi8ELi8ELi32ELc84ELc84EKPKDF16_KPKfKPfEEvlllT_PT11_llSB_llS9_PT12_llPT13_lli
	.p2align	8
	.type	_ZN12_GLOBAL__N_127rocblas_gemm_batched_kernelIfLi16ELi16ELi32ELi32ELi8ELi32ELi8ELi8ELi32ELc84ELc84EKPKDF16_KPKfKPfEEvlllT_PT11_llSB_llS9_PT12_llPT13_lli,@function
_ZN12_GLOBAL__N_127rocblas_gemm_batched_kernelIfLi16ELi16ELi32ELi32ELi8ELi32ELi8ELi8ELi32ELc84ELc84EKPKDF16_KPKfKPfEEvlllT_PT11_llSB_llS9_PT12_llPT13_lli: ; @_ZN12_GLOBAL__N_127rocblas_gemm_batched_kernelIfLi16ELi16ELi32ELi32ELi8ELi32ELi8ELi8ELi32ELc84ELc84EKPKDF16_KPKfKPfEEvlllT_PT11_llSB_llS9_PT12_llPT13_lli
; %bb.0:
	s_clause 0x1
	s_load_dwordx8 s[12:19], s[4:5], 0x58
	s_load_dwordx2 s[28:29], s[4:5], 0x10
	s_mov_b32 s9, 0
	s_load_dwordx4 s[0:3], s[4:5], 0x78
	s_lshl_b64 s[34:35], s[8:9], 3
	s_mov_b32 s10, s7
	v_mov_b32_e32 v9, 0
	v_mov_b32_e32 v8, 0
	;; [unrolled: 1-line block ×4, first 2 shown]
	s_waitcnt lgkmcnt(0)
	s_add_u32 s8, s12, s34
	s_addc_u32 s9, s13, s35
	s_add_u32 s18, s18, s34
	s_addc_u32 s19, s19, s35
	s_load_dwordx2 s[12:13], s[8:9], 0x0
	s_load_dwordx2 s[18:19], s[18:19], 0x0
	v_cmp_lt_i64_e64 s8, s[28:29], 1
	s_ashr_i32 s7, s6, 31
	s_ashr_i32 s11, s10, 31
	s_lshl_b64 s[6:7], s[6:7], 5
	s_lshl_b64 s[30:31], s[10:11], 5
	s_and_b32 vcc_lo, exec_lo, s8
	s_cbranch_vccnz .LBB124_3
; %bb.1:
	s_clause 0x1
	s_load_dwordx8 s[20:27], s[4:5], 0x20
	s_load_dwordx4 s[8:11], s[4:5], 0x40
	v_lshl_add_u32 v8, v1, 4, v0
	v_and_b32_e32 v9, 7, v0
	v_mov_b32_e32 v3, 0
	v_lshlrev_b32_e32 v10, 2, v0
	v_and_b32_e32 v11, 31, v8
	v_lshrrev_b32_e32 v2, 3, v8
	v_lshlrev_b32_e32 v12, 2, v9
	v_lshrrev_b32_e32 v8, 5, v8
	v_add_co_u32 v6, s33, s6, v11
	v_add_co_ci_u32_e64 v7, null, s7, 0, s33
	v_lshlrev_b32_e32 v15, 2, v11
	v_lshl_or_b32 v16, v2, 5, v12
	v_lshlrev_b32_e32 v17, 1, v8
	v_lshl_add_u32 v11, v1, 5, 0x400
	s_waitcnt lgkmcnt(0)
	s_add_u32 s20, s20, s34
	s_addc_u32 s21, s21, s35
	s_add_u32 s26, s26, s34
	s_addc_u32 s27, s27, s35
	v_mad_u64_u32 v[4:5], null, s8, v9, v[2:3]
	s_load_dwordx2 s[26:27], s[26:27], 0x0
	v_mul_lo_u32 v13, s23, v6
	v_mul_lo_u32 v14, s22, v7
	v_mad_u64_u32 v[6:7], null, s22, v6, 0
	v_lshl_or_b32 v12, v8, 7, v15
	v_mov_b32_e32 v2, v5
	s_load_dwordx2 s[20:21], s[20:21], 0x0
	s_lshl_b64 s[10:11], s[10:11], 1
	v_add3_u32 v7, v7, v14, v13
	v_mad_u64_u32 v[8:9], null, s9, v9, v[2:3]
	v_add_nc_u32_e32 v13, 0x400, v16
	v_mov_b32_e32 v9, v3
	v_lshlrev_b64 v[5:6], 1, v[6:7]
	v_add_co_u32 v7, vcc_lo, v4, s30
	v_add_co_ci_u32_e64 v8, null, s31, v8, vcc_lo
	s_waitcnt lgkmcnt(0)
	s_add_u32 s22, s26, s10
	s_addc_u32 s23, s27, s11
	s_lshl_b64 s[10:11], s[24:25], 1
	s_lshl_b64 s[8:9], s[8:9], 4
	v_add_co_u32 v2, vcc_lo, v5, s10
	v_add_co_ci_u32_e64 v6, null, s11, v6, vcc_lo
	v_lshlrev_b64 v[4:5], 1, v[7:8]
	v_add_co_u32 v2, vcc_lo, v2, v17
	v_add_co_ci_u32_e64 v7, null, 0, v6, vcc_lo
	v_mov_b32_e32 v8, v3
	v_add_co_u32 v4, vcc_lo, s22, v4
	v_add_co_ci_u32_e64 v5, null, s23, v5, vcc_lo
	v_add_co_u32 v6, vcc_lo, s20, v2
	v_add_co_ci_u32_e64 v7, null, s21, v7, vcc_lo
	v_mov_b32_e32 v2, v3
	s_mov_b64 s[10:11], 0
.LBB124_2:                              ; =>This Inner Loop Header: Depth=1
	flat_load_ushort v14, v[6:7]
	flat_load_ushort v15, v[4:5]
	s_add_u32 s10, s10, 8
	s_addc_u32 s11, s11, 0
	v_add_co_u32 v4, vcc_lo, v4, s8
	v_cmp_lt_i64_e64 s20, s[10:11], s[28:29]
	v_add_co_ci_u32_e64 v5, null, s9, v5, vcc_lo
	v_add_co_u32 v6, vcc_lo, v6, 16
	v_add_co_ci_u32_e64 v7, null, 0, v7, vcc_lo
	s_and_b32 vcc_lo, exec_lo, s20
	s_waitcnt vmcnt(1) lgkmcnt(1)
	v_cvt_f32_f16_e32 v14, v14
	s_waitcnt vmcnt(0) lgkmcnt(0)
	v_cvt_f32_f16_e32 v15, v15
	ds_write_b32 v12, v14
	ds_write_b32 v13, v15
	s_waitcnt lgkmcnt(0)
	s_barrier
	buffer_gl0_inv
	ds_read_b128 v[14:17], v11
	ds_read2_b32 v[30:31], v10 offset1:16
	ds_read_b128 v[18:21], v11 offset:512
	ds_read2_b32 v[32:33], v10 offset0:32 offset1:48
	ds_read2_b32 v[34:35], v10 offset0:64 offset1:80
	ds_read_b128 v[22:25], v11 offset:16
	ds_read2_b32 v[36:37], v10 offset0:96 offset1:112
	ds_read2_b32 v[38:39], v10 offset0:128 offset1:144
	;; [unrolled: 3-line block ×3, first 2 shown]
	ds_read2_b32 v[44:45], v10 offset0:224 offset1:240
	s_waitcnt lgkmcnt(0)
	s_barrier
	buffer_gl0_inv
	v_fmac_f32_e32 v9, v30, v14
	v_fmac_f32_e32 v8, v31, v14
	;; [unrolled: 1-line block ×32, first 2 shown]
	s_cbranch_vccnz .LBB124_2
.LBB124_3:
	s_load_dword s8, s[4:5], 0x50
	s_lshl_b64 s[10:11], s[2:3], 2
	s_load_dword s2, s[4:5], 0x18
	v_add_co_u32 v4, s4, s30, v1
	v_add_co_ci_u32_e64 v7, null, s31, 0, s4
	v_add_co_u32 v0, s4, s6, v0
	v_add_co_ci_u32_e64 v1, null, s7, 0, s4
	v_mul_lo_u32 v5, v7, s0
	v_mul_lo_u32 v6, v4, s1
	s_waitcnt lgkmcnt(0)
	s_add_u32 s3, s18, s10
	v_lshlrev_b64 v[0:1], 2, v[0:1]
	s_addc_u32 s4, s19, s11
	v_cmp_neq_f32_e64 s5, s8, 0
	s_and_b32 vcc_lo, exec_lo, s5
	s_mov_b32 s5, 0
	s_cbranch_vccnz .LBB124_7
; %bb.4:
	v_mad_u64_u32 v[10:11], null, v4, s0, 0
	s_lshl_b64 s[6:7], s[0:1], 6
	v_mul_f32_e32 v14, s2, v9
	v_mul_f32_e32 v15, s2, v8
	;; [unrolled: 1-line block ×4, first 2 shown]
	v_add3_u32 v11, v11, v6, v5
	v_lshlrev_b64 v[10:11], 2, v[10:11]
	v_add_co_u32 v10, vcc_lo, s3, v10
	v_add_co_ci_u32_e64 v11, null, s4, v11, vcc_lo
	v_add_co_u32 v12, vcc_lo, v10, s6
	v_add_co_ci_u32_e64 v13, null, s7, v11, vcc_lo
	;; [unrolled: 2-line block ×4, first 2 shown]
	flat_store_dword v[10:11], v14
	flat_store_dword v[10:11], v15 offset:64
	flat_store_dword v[12:13], v16
	flat_store_dword v[12:13], v17 offset:64
	s_andn2_b32 vcc_lo, exec_lo, s5
	s_cbranch_vccnz .LBB124_6
.LBB124_5:
	v_mul_lo_u32 v7, v7, s14
	v_mul_lo_u32 v12, v4, s15
	v_mad_u64_u32 v[10:11], null, v4, s14, 0
	s_lshl_b64 s[6:7], s[16:17], 2
	s_add_u32 s5, s12, s6
	s_addc_u32 s6, s13, s7
	v_add3_u32 v11, v11, v12, v7
	v_mad_u64_u32 v[12:13], null, v4, s0, 0
	s_lshl_b64 s[0:1], s[0:1], 6
	v_lshlrev_b64 v[10:11], 2, v[10:11]
	v_add3_u32 v13, v13, v6, v5
	v_add_co_u32 v7, vcc_lo, s5, v10
	v_add_co_ci_u32_e64 v14, null, s6, v11, vcc_lo
	v_lshlrev_b64 v[4:5], 2, v[12:13]
	v_add_co_u32 v10, vcc_lo, v7, v0
	v_add_co_ci_u32_e64 v11, null, v14, v1, vcc_lo
	v_add_co_u32 v12, vcc_lo, s3, v4
	flat_load_dword v15, v[10:11]
	v_add_co_ci_u32_e64 v13, null, s4, v5, vcc_lo
	v_add_co_u32 v4, vcc_lo, v12, v0
	s_lshl_b64 s[4:5], s[14:15], 6
	v_add_co_ci_u32_e64 v5, null, v13, v1, vcc_lo
	s_waitcnt vmcnt(0) lgkmcnt(0)
	v_mul_f32_e32 v6, s8, v15
	v_fmac_f32_e32 v6, s2, v9
	flat_store_dword v[4:5], v6
	flat_load_dword v6, v[10:11] offset:64
	s_waitcnt vmcnt(0) lgkmcnt(0)
	v_mul_f32_e32 v9, s8, v6
	v_add_co_u32 v6, vcc_lo, v7, s4
	v_add_co_ci_u32_e64 v7, null, s5, v14, vcc_lo
	v_fmac_f32_e32 v9, s2, v8
	v_add_co_u32 v6, vcc_lo, v6, v0
	v_add_co_ci_u32_e64 v7, null, v7, v1, vcc_lo
	flat_store_dword v[4:5], v9 offset:64
	v_add_co_u32 v5, vcc_lo, v12, s0
	flat_load_dword v4, v[6:7]
	v_add_co_ci_u32_e64 v8, null, s1, v13, vcc_lo
	v_add_co_u32 v0, vcc_lo, v5, v0
	v_add_co_ci_u32_e64 v1, null, v8, v1, vcc_lo
	s_waitcnt vmcnt(0) lgkmcnt(0)
	v_mul_f32_e32 v4, s8, v4
	v_fmac_f32_e32 v4, s2, v2
	flat_store_dword v[0:1], v4
	flat_load_dword v2, v[6:7] offset:64
	s_waitcnt vmcnt(0) lgkmcnt(0)
	v_mul_f32_e32 v2, s8, v2
	v_fmac_f32_e32 v2, s2, v3
	flat_store_dword v[0:1], v2 offset:64
.LBB124_6:
	s_endpgm
.LBB124_7:
	s_branch .LBB124_5
	.section	.rodata,"a",@progbits
	.p2align	6, 0x0
	.amdhsa_kernel _ZN12_GLOBAL__N_127rocblas_gemm_batched_kernelIfLi16ELi16ELi32ELi32ELi8ELi32ELi8ELi8ELi32ELc84ELc84EKPKDF16_KPKfKPfEEvlllT_PT11_llSB_llS9_PT12_llPT13_lli
		.amdhsa_group_segment_fixed_size 2048
		.amdhsa_private_segment_fixed_size 0
		.amdhsa_kernarg_size 140
		.amdhsa_user_sgpr_count 6
		.amdhsa_user_sgpr_private_segment_buffer 1
		.amdhsa_user_sgpr_dispatch_ptr 0
		.amdhsa_user_sgpr_queue_ptr 0
		.amdhsa_user_sgpr_kernarg_segment_ptr 1
		.amdhsa_user_sgpr_dispatch_id 0
		.amdhsa_user_sgpr_flat_scratch_init 0
		.amdhsa_user_sgpr_private_segment_size 0
		.amdhsa_wavefront_size32 1
		.amdhsa_uses_dynamic_stack 0
		.amdhsa_system_sgpr_private_segment_wavefront_offset 0
		.amdhsa_system_sgpr_workgroup_id_x 1
		.amdhsa_system_sgpr_workgroup_id_y 1
		.amdhsa_system_sgpr_workgroup_id_z 1
		.amdhsa_system_sgpr_workgroup_info 0
		.amdhsa_system_vgpr_workitem_id 1
		.amdhsa_next_free_vgpr 46
		.amdhsa_next_free_sgpr 36
		.amdhsa_reserve_vcc 1
		.amdhsa_reserve_flat_scratch 0
		.amdhsa_float_round_mode_32 0
		.amdhsa_float_round_mode_16_64 0
		.amdhsa_float_denorm_mode_32 3
		.amdhsa_float_denorm_mode_16_64 3
		.amdhsa_dx10_clamp 1
		.amdhsa_ieee_mode 1
		.amdhsa_fp16_overflow 0
		.amdhsa_workgroup_processor_mode 1
		.amdhsa_memory_ordered 1
		.amdhsa_forward_progress 1
		.amdhsa_shared_vgpr_count 0
		.amdhsa_exception_fp_ieee_invalid_op 0
		.amdhsa_exception_fp_denorm_src 0
		.amdhsa_exception_fp_ieee_div_zero 0
		.amdhsa_exception_fp_ieee_overflow 0
		.amdhsa_exception_fp_ieee_underflow 0
		.amdhsa_exception_fp_ieee_inexact 0
		.amdhsa_exception_int_div_zero 0
	.end_amdhsa_kernel
	.section	.text._ZN12_GLOBAL__N_127rocblas_gemm_batched_kernelIfLi16ELi16ELi32ELi32ELi8ELi32ELi8ELi8ELi32ELc84ELc84EKPKDF16_KPKfKPfEEvlllT_PT11_llSB_llS9_PT12_llPT13_lli,"axG",@progbits,_ZN12_GLOBAL__N_127rocblas_gemm_batched_kernelIfLi16ELi16ELi32ELi32ELi8ELi32ELi8ELi8ELi32ELc84ELc84EKPKDF16_KPKfKPfEEvlllT_PT11_llSB_llS9_PT12_llPT13_lli,comdat
.Lfunc_end124:
	.size	_ZN12_GLOBAL__N_127rocblas_gemm_batched_kernelIfLi16ELi16ELi32ELi32ELi8ELi32ELi8ELi8ELi32ELc84ELc84EKPKDF16_KPKfKPfEEvlllT_PT11_llSB_llS9_PT12_llPT13_lli, .Lfunc_end124-_ZN12_GLOBAL__N_127rocblas_gemm_batched_kernelIfLi16ELi16ELi32ELi32ELi8ELi32ELi8ELi8ELi32ELc84ELc84EKPKDF16_KPKfKPfEEvlllT_PT11_llSB_llS9_PT12_llPT13_lli
                                        ; -- End function
	.set _ZN12_GLOBAL__N_127rocblas_gemm_batched_kernelIfLi16ELi16ELi32ELi32ELi8ELi32ELi8ELi8ELi32ELc84ELc84EKPKDF16_KPKfKPfEEvlllT_PT11_llSB_llS9_PT12_llPT13_lli.num_vgpr, 46
	.set _ZN12_GLOBAL__N_127rocblas_gemm_batched_kernelIfLi16ELi16ELi32ELi32ELi8ELi32ELi8ELi8ELi32ELc84ELc84EKPKDF16_KPKfKPfEEvlllT_PT11_llSB_llS9_PT12_llPT13_lli.num_agpr, 0
	.set _ZN12_GLOBAL__N_127rocblas_gemm_batched_kernelIfLi16ELi16ELi32ELi32ELi8ELi32ELi8ELi8ELi32ELc84ELc84EKPKDF16_KPKfKPfEEvlllT_PT11_llSB_llS9_PT12_llPT13_lli.numbered_sgpr, 36
	.set _ZN12_GLOBAL__N_127rocblas_gemm_batched_kernelIfLi16ELi16ELi32ELi32ELi8ELi32ELi8ELi8ELi32ELc84ELc84EKPKDF16_KPKfKPfEEvlllT_PT11_llSB_llS9_PT12_llPT13_lli.num_named_barrier, 0
	.set _ZN12_GLOBAL__N_127rocblas_gemm_batched_kernelIfLi16ELi16ELi32ELi32ELi8ELi32ELi8ELi8ELi32ELc84ELc84EKPKDF16_KPKfKPfEEvlllT_PT11_llSB_llS9_PT12_llPT13_lli.private_seg_size, 0
	.set _ZN12_GLOBAL__N_127rocblas_gemm_batched_kernelIfLi16ELi16ELi32ELi32ELi8ELi32ELi8ELi8ELi32ELc84ELc84EKPKDF16_KPKfKPfEEvlllT_PT11_llSB_llS9_PT12_llPT13_lli.uses_vcc, 1
	.set _ZN12_GLOBAL__N_127rocblas_gemm_batched_kernelIfLi16ELi16ELi32ELi32ELi8ELi32ELi8ELi8ELi32ELc84ELc84EKPKDF16_KPKfKPfEEvlllT_PT11_llSB_llS9_PT12_llPT13_lli.uses_flat_scratch, 0
	.set _ZN12_GLOBAL__N_127rocblas_gemm_batched_kernelIfLi16ELi16ELi32ELi32ELi8ELi32ELi8ELi8ELi32ELc84ELc84EKPKDF16_KPKfKPfEEvlllT_PT11_llSB_llS9_PT12_llPT13_lli.has_dyn_sized_stack, 0
	.set _ZN12_GLOBAL__N_127rocblas_gemm_batched_kernelIfLi16ELi16ELi32ELi32ELi8ELi32ELi8ELi8ELi32ELc84ELc84EKPKDF16_KPKfKPfEEvlllT_PT11_llSB_llS9_PT12_llPT13_lli.has_recursion, 0
	.set _ZN12_GLOBAL__N_127rocblas_gemm_batched_kernelIfLi16ELi16ELi32ELi32ELi8ELi32ELi8ELi8ELi32ELc84ELc84EKPKDF16_KPKfKPfEEvlllT_PT11_llSB_llS9_PT12_llPT13_lli.has_indirect_call, 0
	.section	.AMDGPU.csdata,"",@progbits
; Kernel info:
; codeLenInByte = 1412
; TotalNumSgprs: 38
; NumVgprs: 46
; ScratchSize: 0
; MemoryBound: 0
; FloatMode: 240
; IeeeMode: 1
; LDSByteSize: 2048 bytes/workgroup (compile time only)
; SGPRBlocks: 0
; VGPRBlocks: 5
; NumSGPRsForWavesPerEU: 38
; NumVGPRsForWavesPerEU: 46
; Occupancy: 16
; WaveLimiterHint : 1
; COMPUTE_PGM_RSRC2:SCRATCH_EN: 0
; COMPUTE_PGM_RSRC2:USER_SGPR: 6
; COMPUTE_PGM_RSRC2:TRAP_HANDLER: 0
; COMPUTE_PGM_RSRC2:TGID_X_EN: 1
; COMPUTE_PGM_RSRC2:TGID_Y_EN: 1
; COMPUTE_PGM_RSRC2:TGID_Z_EN: 1
; COMPUTE_PGM_RSRC2:TIDIG_COMP_CNT: 1
	.section	.text._ZN12_GLOBAL__N_127rocblas_gemm_batched_kernelIfLi16ELi16ELi32ELi32ELi8ELi32ELi8ELi8ELi32ELc67ELc67EKPKDF16_KPKfKPfEEvlllT_PT11_llSB_llS9_PT12_llPT13_lli,"axG",@progbits,_ZN12_GLOBAL__N_127rocblas_gemm_batched_kernelIfLi16ELi16ELi32ELi32ELi8ELi32ELi8ELi8ELi32ELc67ELc67EKPKDF16_KPKfKPfEEvlllT_PT11_llSB_llS9_PT12_llPT13_lli,comdat
	.globl	_ZN12_GLOBAL__N_127rocblas_gemm_batched_kernelIfLi16ELi16ELi32ELi32ELi8ELi32ELi8ELi8ELi32ELc67ELc67EKPKDF16_KPKfKPfEEvlllT_PT11_llSB_llS9_PT12_llPT13_lli ; -- Begin function _ZN12_GLOBAL__N_127rocblas_gemm_batched_kernelIfLi16ELi16ELi32ELi32ELi8ELi32ELi8ELi8ELi32ELc67ELc67EKPKDF16_KPKfKPfEEvlllT_PT11_llSB_llS9_PT12_llPT13_lli
	.p2align	8
	.type	_ZN12_GLOBAL__N_127rocblas_gemm_batched_kernelIfLi16ELi16ELi32ELi32ELi8ELi32ELi8ELi8ELi32ELc67ELc67EKPKDF16_KPKfKPfEEvlllT_PT11_llSB_llS9_PT12_llPT13_lli,@function
_ZN12_GLOBAL__N_127rocblas_gemm_batched_kernelIfLi16ELi16ELi32ELi32ELi8ELi32ELi8ELi8ELi32ELc67ELc67EKPKDF16_KPKfKPfEEvlllT_PT11_llSB_llS9_PT12_llPT13_lli: ; @_ZN12_GLOBAL__N_127rocblas_gemm_batched_kernelIfLi16ELi16ELi32ELi32ELi8ELi32ELi8ELi8ELi32ELc67ELc67EKPKDF16_KPKfKPfEEvlllT_PT11_llSB_llS9_PT12_llPT13_lli
; %bb.0:
	s_clause 0x1
	s_load_dwordx8 s[12:19], s[4:5], 0x58
	s_load_dwordx2 s[28:29], s[4:5], 0x10
	s_mov_b32 s9, 0
	s_load_dwordx4 s[0:3], s[4:5], 0x78
	s_lshl_b64 s[34:35], s[8:9], 3
	s_mov_b32 s10, s7
	v_mov_b32_e32 v9, 0
	v_mov_b32_e32 v8, 0
	;; [unrolled: 1-line block ×4, first 2 shown]
	s_waitcnt lgkmcnt(0)
	s_add_u32 s8, s12, s34
	s_addc_u32 s9, s13, s35
	s_add_u32 s18, s18, s34
	s_addc_u32 s19, s19, s35
	s_load_dwordx2 s[12:13], s[8:9], 0x0
	s_load_dwordx2 s[18:19], s[18:19], 0x0
	v_cmp_lt_i64_e64 s8, s[28:29], 1
	s_ashr_i32 s7, s6, 31
	s_ashr_i32 s11, s10, 31
	s_lshl_b64 s[6:7], s[6:7], 5
	s_lshl_b64 s[30:31], s[10:11], 5
	s_and_b32 vcc_lo, exec_lo, s8
	s_cbranch_vccnz .LBB125_3
; %bb.1:
	s_clause 0x1
	s_load_dwordx8 s[20:27], s[4:5], 0x20
	s_load_dwordx4 s[8:11], s[4:5], 0x40
	v_lshl_add_u32 v8, v1, 4, v0
	v_and_b32_e32 v9, 7, v0
	v_mov_b32_e32 v3, 0
	v_lshlrev_b32_e32 v10, 2, v0
	v_and_b32_e32 v11, 31, v8
	v_lshrrev_b32_e32 v2, 3, v8
	v_lshlrev_b32_e32 v12, 2, v9
	v_lshrrev_b32_e32 v8, 5, v8
	v_add_co_u32 v6, s33, s6, v11
	v_add_co_ci_u32_e64 v7, null, s7, 0, s33
	v_lshlrev_b32_e32 v15, 2, v11
	v_lshl_or_b32 v16, v2, 5, v12
	v_lshlrev_b32_e32 v17, 1, v8
	v_lshl_add_u32 v11, v1, 5, 0x400
	s_waitcnt lgkmcnt(0)
	s_add_u32 s20, s20, s34
	s_addc_u32 s21, s21, s35
	s_add_u32 s26, s26, s34
	s_addc_u32 s27, s27, s35
	v_mad_u64_u32 v[4:5], null, s8, v9, v[2:3]
	s_load_dwordx2 s[26:27], s[26:27], 0x0
	v_mul_lo_u32 v13, s23, v6
	v_mul_lo_u32 v14, s22, v7
	v_mad_u64_u32 v[6:7], null, s22, v6, 0
	v_lshl_or_b32 v12, v8, 7, v15
	v_mov_b32_e32 v2, v5
	s_load_dwordx2 s[20:21], s[20:21], 0x0
	s_lshl_b64 s[10:11], s[10:11], 1
	v_add3_u32 v7, v7, v14, v13
	v_mad_u64_u32 v[8:9], null, s9, v9, v[2:3]
	v_add_nc_u32_e32 v13, 0x400, v16
	v_mov_b32_e32 v9, v3
	v_lshlrev_b64 v[5:6], 1, v[6:7]
	v_add_co_u32 v7, vcc_lo, v4, s30
	v_add_co_ci_u32_e64 v8, null, s31, v8, vcc_lo
	s_waitcnt lgkmcnt(0)
	s_add_u32 s22, s26, s10
	s_addc_u32 s23, s27, s11
	s_lshl_b64 s[10:11], s[24:25], 1
	s_lshl_b64 s[8:9], s[8:9], 4
	v_add_co_u32 v2, vcc_lo, v5, s10
	v_add_co_ci_u32_e64 v6, null, s11, v6, vcc_lo
	v_lshlrev_b64 v[4:5], 1, v[7:8]
	v_add_co_u32 v2, vcc_lo, v2, v17
	v_add_co_ci_u32_e64 v7, null, 0, v6, vcc_lo
	v_mov_b32_e32 v8, v3
	v_add_co_u32 v4, vcc_lo, s22, v4
	v_add_co_ci_u32_e64 v5, null, s23, v5, vcc_lo
	v_add_co_u32 v6, vcc_lo, s20, v2
	v_add_co_ci_u32_e64 v7, null, s21, v7, vcc_lo
	v_mov_b32_e32 v2, v3
	s_mov_b64 s[10:11], 0
.LBB125_2:                              ; =>This Inner Loop Header: Depth=1
	flat_load_ushort v14, v[6:7]
	flat_load_ushort v15, v[4:5]
	s_add_u32 s10, s10, 8
	s_addc_u32 s11, s11, 0
	v_add_co_u32 v4, vcc_lo, v4, s8
	v_cmp_lt_i64_e64 s20, s[10:11], s[28:29]
	v_add_co_ci_u32_e64 v5, null, s9, v5, vcc_lo
	v_add_co_u32 v6, vcc_lo, v6, 16
	v_add_co_ci_u32_e64 v7, null, 0, v7, vcc_lo
	s_and_b32 vcc_lo, exec_lo, s20
	s_waitcnt vmcnt(1) lgkmcnt(1)
	v_cvt_f32_f16_e32 v14, v14
	s_waitcnt vmcnt(0) lgkmcnt(0)
	v_cvt_f32_f16_e32 v15, v15
	ds_write_b32 v12, v14
	ds_write_b32 v13, v15
	s_waitcnt lgkmcnt(0)
	s_barrier
	buffer_gl0_inv
	ds_read_b128 v[14:17], v11
	ds_read2_b32 v[30:31], v10 offset1:16
	ds_read_b128 v[18:21], v11 offset:512
	ds_read2_b32 v[32:33], v10 offset0:32 offset1:48
	ds_read2_b32 v[34:35], v10 offset0:64 offset1:80
	ds_read_b128 v[22:25], v11 offset:16
	ds_read2_b32 v[36:37], v10 offset0:96 offset1:112
	ds_read2_b32 v[38:39], v10 offset0:128 offset1:144
	;; [unrolled: 3-line block ×3, first 2 shown]
	ds_read2_b32 v[44:45], v10 offset0:224 offset1:240
	s_waitcnt lgkmcnt(0)
	s_barrier
	buffer_gl0_inv
	v_fmac_f32_e32 v9, v30, v14
	v_fmac_f32_e32 v8, v31, v14
	;; [unrolled: 1-line block ×32, first 2 shown]
	s_cbranch_vccnz .LBB125_2
.LBB125_3:
	s_load_dword s8, s[4:5], 0x50
	s_lshl_b64 s[10:11], s[2:3], 2
	s_load_dword s2, s[4:5], 0x18
	v_add_co_u32 v4, s4, s30, v1
	v_add_co_ci_u32_e64 v7, null, s31, 0, s4
	v_add_co_u32 v0, s4, s6, v0
	v_add_co_ci_u32_e64 v1, null, s7, 0, s4
	v_mul_lo_u32 v5, v7, s0
	v_mul_lo_u32 v6, v4, s1
	s_waitcnt lgkmcnt(0)
	s_add_u32 s3, s18, s10
	v_lshlrev_b64 v[0:1], 2, v[0:1]
	s_addc_u32 s4, s19, s11
	v_cmp_neq_f32_e64 s5, s8, 0
	s_and_b32 vcc_lo, exec_lo, s5
	s_mov_b32 s5, 0
	s_cbranch_vccnz .LBB125_7
; %bb.4:
	v_mad_u64_u32 v[10:11], null, v4, s0, 0
	s_lshl_b64 s[6:7], s[0:1], 6
	v_mul_f32_e32 v14, s2, v9
	v_mul_f32_e32 v15, s2, v8
	;; [unrolled: 1-line block ×4, first 2 shown]
	v_add3_u32 v11, v11, v6, v5
	v_lshlrev_b64 v[10:11], 2, v[10:11]
	v_add_co_u32 v10, vcc_lo, s3, v10
	v_add_co_ci_u32_e64 v11, null, s4, v11, vcc_lo
	v_add_co_u32 v12, vcc_lo, v10, s6
	v_add_co_ci_u32_e64 v13, null, s7, v11, vcc_lo
	;; [unrolled: 2-line block ×4, first 2 shown]
	flat_store_dword v[10:11], v14
	flat_store_dword v[10:11], v15 offset:64
	flat_store_dword v[12:13], v16
	flat_store_dword v[12:13], v17 offset:64
	s_andn2_b32 vcc_lo, exec_lo, s5
	s_cbranch_vccnz .LBB125_6
.LBB125_5:
	v_mul_lo_u32 v7, v7, s14
	v_mul_lo_u32 v12, v4, s15
	v_mad_u64_u32 v[10:11], null, v4, s14, 0
	s_lshl_b64 s[6:7], s[16:17], 2
	s_add_u32 s5, s12, s6
	s_addc_u32 s6, s13, s7
	v_add3_u32 v11, v11, v12, v7
	v_mad_u64_u32 v[12:13], null, v4, s0, 0
	s_lshl_b64 s[0:1], s[0:1], 6
	v_lshlrev_b64 v[10:11], 2, v[10:11]
	v_add3_u32 v13, v13, v6, v5
	v_add_co_u32 v7, vcc_lo, s5, v10
	v_add_co_ci_u32_e64 v14, null, s6, v11, vcc_lo
	v_lshlrev_b64 v[4:5], 2, v[12:13]
	v_add_co_u32 v10, vcc_lo, v7, v0
	v_add_co_ci_u32_e64 v11, null, v14, v1, vcc_lo
	v_add_co_u32 v12, vcc_lo, s3, v4
	flat_load_dword v15, v[10:11]
	v_add_co_ci_u32_e64 v13, null, s4, v5, vcc_lo
	v_add_co_u32 v4, vcc_lo, v12, v0
	s_lshl_b64 s[4:5], s[14:15], 6
	v_add_co_ci_u32_e64 v5, null, v13, v1, vcc_lo
	s_waitcnt vmcnt(0) lgkmcnt(0)
	v_mul_f32_e32 v6, s8, v15
	v_fmac_f32_e32 v6, s2, v9
	flat_store_dword v[4:5], v6
	flat_load_dword v6, v[10:11] offset:64
	s_waitcnt vmcnt(0) lgkmcnt(0)
	v_mul_f32_e32 v9, s8, v6
	v_add_co_u32 v6, vcc_lo, v7, s4
	v_add_co_ci_u32_e64 v7, null, s5, v14, vcc_lo
	v_fmac_f32_e32 v9, s2, v8
	v_add_co_u32 v6, vcc_lo, v6, v0
	v_add_co_ci_u32_e64 v7, null, v7, v1, vcc_lo
	flat_store_dword v[4:5], v9 offset:64
	v_add_co_u32 v5, vcc_lo, v12, s0
	flat_load_dword v4, v[6:7]
	v_add_co_ci_u32_e64 v8, null, s1, v13, vcc_lo
	v_add_co_u32 v0, vcc_lo, v5, v0
	v_add_co_ci_u32_e64 v1, null, v8, v1, vcc_lo
	s_waitcnt vmcnt(0) lgkmcnt(0)
	v_mul_f32_e32 v4, s8, v4
	v_fmac_f32_e32 v4, s2, v2
	flat_store_dword v[0:1], v4
	flat_load_dword v2, v[6:7] offset:64
	s_waitcnt vmcnt(0) lgkmcnt(0)
	v_mul_f32_e32 v2, s8, v2
	v_fmac_f32_e32 v2, s2, v3
	flat_store_dword v[0:1], v2 offset:64
.LBB125_6:
	s_endpgm
.LBB125_7:
	s_branch .LBB125_5
	.section	.rodata,"a",@progbits
	.p2align	6, 0x0
	.amdhsa_kernel _ZN12_GLOBAL__N_127rocblas_gemm_batched_kernelIfLi16ELi16ELi32ELi32ELi8ELi32ELi8ELi8ELi32ELc67ELc67EKPKDF16_KPKfKPfEEvlllT_PT11_llSB_llS9_PT12_llPT13_lli
		.amdhsa_group_segment_fixed_size 2048
		.amdhsa_private_segment_fixed_size 0
		.amdhsa_kernarg_size 140
		.amdhsa_user_sgpr_count 6
		.amdhsa_user_sgpr_private_segment_buffer 1
		.amdhsa_user_sgpr_dispatch_ptr 0
		.amdhsa_user_sgpr_queue_ptr 0
		.amdhsa_user_sgpr_kernarg_segment_ptr 1
		.amdhsa_user_sgpr_dispatch_id 0
		.amdhsa_user_sgpr_flat_scratch_init 0
		.amdhsa_user_sgpr_private_segment_size 0
		.amdhsa_wavefront_size32 1
		.amdhsa_uses_dynamic_stack 0
		.amdhsa_system_sgpr_private_segment_wavefront_offset 0
		.amdhsa_system_sgpr_workgroup_id_x 1
		.amdhsa_system_sgpr_workgroup_id_y 1
		.amdhsa_system_sgpr_workgroup_id_z 1
		.amdhsa_system_sgpr_workgroup_info 0
		.amdhsa_system_vgpr_workitem_id 1
		.amdhsa_next_free_vgpr 46
		.amdhsa_next_free_sgpr 36
		.amdhsa_reserve_vcc 1
		.amdhsa_reserve_flat_scratch 0
		.amdhsa_float_round_mode_32 0
		.amdhsa_float_round_mode_16_64 0
		.amdhsa_float_denorm_mode_32 3
		.amdhsa_float_denorm_mode_16_64 3
		.amdhsa_dx10_clamp 1
		.amdhsa_ieee_mode 1
		.amdhsa_fp16_overflow 0
		.amdhsa_workgroup_processor_mode 1
		.amdhsa_memory_ordered 1
		.amdhsa_forward_progress 1
		.amdhsa_shared_vgpr_count 0
		.amdhsa_exception_fp_ieee_invalid_op 0
		.amdhsa_exception_fp_denorm_src 0
		.amdhsa_exception_fp_ieee_div_zero 0
		.amdhsa_exception_fp_ieee_overflow 0
		.amdhsa_exception_fp_ieee_underflow 0
		.amdhsa_exception_fp_ieee_inexact 0
		.amdhsa_exception_int_div_zero 0
	.end_amdhsa_kernel
	.section	.text._ZN12_GLOBAL__N_127rocblas_gemm_batched_kernelIfLi16ELi16ELi32ELi32ELi8ELi32ELi8ELi8ELi32ELc67ELc67EKPKDF16_KPKfKPfEEvlllT_PT11_llSB_llS9_PT12_llPT13_lli,"axG",@progbits,_ZN12_GLOBAL__N_127rocblas_gemm_batched_kernelIfLi16ELi16ELi32ELi32ELi8ELi32ELi8ELi8ELi32ELc67ELc67EKPKDF16_KPKfKPfEEvlllT_PT11_llSB_llS9_PT12_llPT13_lli,comdat
.Lfunc_end125:
	.size	_ZN12_GLOBAL__N_127rocblas_gemm_batched_kernelIfLi16ELi16ELi32ELi32ELi8ELi32ELi8ELi8ELi32ELc67ELc67EKPKDF16_KPKfKPfEEvlllT_PT11_llSB_llS9_PT12_llPT13_lli, .Lfunc_end125-_ZN12_GLOBAL__N_127rocblas_gemm_batched_kernelIfLi16ELi16ELi32ELi32ELi8ELi32ELi8ELi8ELi32ELc67ELc67EKPKDF16_KPKfKPfEEvlllT_PT11_llSB_llS9_PT12_llPT13_lli
                                        ; -- End function
	.set _ZN12_GLOBAL__N_127rocblas_gemm_batched_kernelIfLi16ELi16ELi32ELi32ELi8ELi32ELi8ELi8ELi32ELc67ELc67EKPKDF16_KPKfKPfEEvlllT_PT11_llSB_llS9_PT12_llPT13_lli.num_vgpr, 46
	.set _ZN12_GLOBAL__N_127rocblas_gemm_batched_kernelIfLi16ELi16ELi32ELi32ELi8ELi32ELi8ELi8ELi32ELc67ELc67EKPKDF16_KPKfKPfEEvlllT_PT11_llSB_llS9_PT12_llPT13_lli.num_agpr, 0
	.set _ZN12_GLOBAL__N_127rocblas_gemm_batched_kernelIfLi16ELi16ELi32ELi32ELi8ELi32ELi8ELi8ELi32ELc67ELc67EKPKDF16_KPKfKPfEEvlllT_PT11_llSB_llS9_PT12_llPT13_lli.numbered_sgpr, 36
	.set _ZN12_GLOBAL__N_127rocblas_gemm_batched_kernelIfLi16ELi16ELi32ELi32ELi8ELi32ELi8ELi8ELi32ELc67ELc67EKPKDF16_KPKfKPfEEvlllT_PT11_llSB_llS9_PT12_llPT13_lli.num_named_barrier, 0
	.set _ZN12_GLOBAL__N_127rocblas_gemm_batched_kernelIfLi16ELi16ELi32ELi32ELi8ELi32ELi8ELi8ELi32ELc67ELc67EKPKDF16_KPKfKPfEEvlllT_PT11_llSB_llS9_PT12_llPT13_lli.private_seg_size, 0
	.set _ZN12_GLOBAL__N_127rocblas_gemm_batched_kernelIfLi16ELi16ELi32ELi32ELi8ELi32ELi8ELi8ELi32ELc67ELc67EKPKDF16_KPKfKPfEEvlllT_PT11_llSB_llS9_PT12_llPT13_lli.uses_vcc, 1
	.set _ZN12_GLOBAL__N_127rocblas_gemm_batched_kernelIfLi16ELi16ELi32ELi32ELi8ELi32ELi8ELi8ELi32ELc67ELc67EKPKDF16_KPKfKPfEEvlllT_PT11_llSB_llS9_PT12_llPT13_lli.uses_flat_scratch, 0
	.set _ZN12_GLOBAL__N_127rocblas_gemm_batched_kernelIfLi16ELi16ELi32ELi32ELi8ELi32ELi8ELi8ELi32ELc67ELc67EKPKDF16_KPKfKPfEEvlllT_PT11_llSB_llS9_PT12_llPT13_lli.has_dyn_sized_stack, 0
	.set _ZN12_GLOBAL__N_127rocblas_gemm_batched_kernelIfLi16ELi16ELi32ELi32ELi8ELi32ELi8ELi8ELi32ELc67ELc67EKPKDF16_KPKfKPfEEvlllT_PT11_llSB_llS9_PT12_llPT13_lli.has_recursion, 0
	.set _ZN12_GLOBAL__N_127rocblas_gemm_batched_kernelIfLi16ELi16ELi32ELi32ELi8ELi32ELi8ELi8ELi32ELc67ELc67EKPKDF16_KPKfKPfEEvlllT_PT11_llSB_llS9_PT12_llPT13_lli.has_indirect_call, 0
	.section	.AMDGPU.csdata,"",@progbits
; Kernel info:
; codeLenInByte = 1412
; TotalNumSgprs: 38
; NumVgprs: 46
; ScratchSize: 0
; MemoryBound: 0
; FloatMode: 240
; IeeeMode: 1
; LDSByteSize: 2048 bytes/workgroup (compile time only)
; SGPRBlocks: 0
; VGPRBlocks: 5
; NumSGPRsForWavesPerEU: 38
; NumVGPRsForWavesPerEU: 46
; Occupancy: 16
; WaveLimiterHint : 1
; COMPUTE_PGM_RSRC2:SCRATCH_EN: 0
; COMPUTE_PGM_RSRC2:USER_SGPR: 6
; COMPUTE_PGM_RSRC2:TRAP_HANDLER: 0
; COMPUTE_PGM_RSRC2:TGID_X_EN: 1
; COMPUTE_PGM_RSRC2:TGID_Y_EN: 1
; COMPUTE_PGM_RSRC2:TGID_Z_EN: 1
; COMPUTE_PGM_RSRC2:TIDIG_COMP_CNT: 1
	.section	.text._ZN12_GLOBAL__N_127rocblas_gemm_batched_kernelIfLi16ELi16ELi32ELi32ELi8ELi32ELi8ELi8ELi32ELc67ELc78EKPKDF16_KPKfKPfEEvlllT_PT11_llSB_llS9_PT12_llPT13_lli,"axG",@progbits,_ZN12_GLOBAL__N_127rocblas_gemm_batched_kernelIfLi16ELi16ELi32ELi32ELi8ELi32ELi8ELi8ELi32ELc67ELc78EKPKDF16_KPKfKPfEEvlllT_PT11_llSB_llS9_PT12_llPT13_lli,comdat
	.globl	_ZN12_GLOBAL__N_127rocblas_gemm_batched_kernelIfLi16ELi16ELi32ELi32ELi8ELi32ELi8ELi8ELi32ELc67ELc78EKPKDF16_KPKfKPfEEvlllT_PT11_llSB_llS9_PT12_llPT13_lli ; -- Begin function _ZN12_GLOBAL__N_127rocblas_gemm_batched_kernelIfLi16ELi16ELi32ELi32ELi8ELi32ELi8ELi8ELi32ELc67ELc78EKPKDF16_KPKfKPfEEvlllT_PT11_llSB_llS9_PT12_llPT13_lli
	.p2align	8
	.type	_ZN12_GLOBAL__N_127rocblas_gemm_batched_kernelIfLi16ELi16ELi32ELi32ELi8ELi32ELi8ELi8ELi32ELc67ELc78EKPKDF16_KPKfKPfEEvlllT_PT11_llSB_llS9_PT12_llPT13_lli,@function
_ZN12_GLOBAL__N_127rocblas_gemm_batched_kernelIfLi16ELi16ELi32ELi32ELi8ELi32ELi8ELi8ELi32ELc67ELc78EKPKDF16_KPKfKPfEEvlllT_PT11_llSB_llS9_PT12_llPT13_lli: ; @_ZN12_GLOBAL__N_127rocblas_gemm_batched_kernelIfLi16ELi16ELi32ELi32ELi8ELi32ELi8ELi8ELi32ELc67ELc78EKPKDF16_KPKfKPfEEvlllT_PT11_llSB_llS9_PT12_llPT13_lli
; %bb.0:
	s_clause 0x1
	s_load_dwordx8 s[12:19], s[4:5], 0x58
	s_load_dwordx2 s[28:29], s[4:5], 0x10
	s_mov_b32 s9, 0
	s_load_dwordx4 s[0:3], s[4:5], 0x78
	s_lshl_b64 s[34:35], s[8:9], 3
	s_mov_b32 s10, s7
	v_mov_b32_e32 v9, 0
	v_mov_b32_e32 v8, 0
	;; [unrolled: 1-line block ×4, first 2 shown]
	s_waitcnt lgkmcnt(0)
	s_add_u32 s8, s12, s34
	s_addc_u32 s9, s13, s35
	s_add_u32 s18, s18, s34
	s_addc_u32 s19, s19, s35
	s_load_dwordx2 s[12:13], s[8:9], 0x0
	s_load_dwordx2 s[18:19], s[18:19], 0x0
	v_cmp_lt_i64_e64 s8, s[28:29], 1
	s_ashr_i32 s7, s6, 31
	s_ashr_i32 s11, s10, 31
	s_lshl_b64 s[6:7], s[6:7], 5
	s_lshl_b64 s[30:31], s[10:11], 5
	s_and_b32 vcc_lo, exec_lo, s8
	s_cbranch_vccnz .LBB126_3
; %bb.1:
	s_clause 0x1
	s_load_dwordx8 s[20:27], s[4:5], 0x20
	s_load_dwordx4 s[8:11], s[4:5], 0x40
	v_lshl_add_u32 v2, v1, 4, v0
	v_and_b32_e32 v7, 7, v0
	v_lshrrev_b32_e32 v6, 3, v2
	v_and_b32_e32 v8, 31, v2
	v_lshrrev_b32_e32 v9, 5, v2
	v_lshlrev_b32_e32 v10, 2, v7
	v_lshlrev_b32_e32 v7, 1, v7
	v_add_co_u32 v2, s33, v6, s30
	v_add_co_ci_u32_e64 v3, null, 0, s31, s33
	v_add_co_u32 v4, s33, s6, v8
	v_add_co_ci_u32_e64 v5, null, s7, 0, s33
	s_waitcnt lgkmcnt(0)
	s_add_u32 s20, s20, s34
	v_mul_lo_u32 v11, s9, v2
	v_mul_lo_u32 v12, s8, v3
	v_mad_u64_u32 v[2:3], null, s8, v2, 0
	v_mul_lo_u32 v13, s23, v4
	v_mul_lo_u32 v14, s22, v5
	v_mad_u64_u32 v[4:5], null, s22, v4, 0
	s_addc_u32 s21, s21, s35
	s_add_u32 s26, s26, s34
	v_add3_u32 v3, v3, v12, v11
	s_addc_u32 s27, s27, s35
	s_load_dwordx2 s[20:21], s[20:21], 0x0
	s_load_dwordx2 s[8:9], s[26:27], 0x0
	v_add3_u32 v5, v5, v14, v13
	v_lshlrev_b64 v[2:3], 1, v[2:3]
	s_lshl_b64 s[10:11], s[10:11], 1
	v_lshlrev_b32_e32 v8, 2, v8
	v_lshl_or_b32 v15, v6, 5, v10
	v_lshlrev_b64 v[4:5], 1, v[4:5]
	v_mov_b32_e32 v6, 0
	v_add_co_u32 v2, vcc_lo, v2, s10
	v_add_co_ci_u32_e64 v3, null, s11, v3, vcc_lo
	s_lshl_b64 s[10:11], s[24:25], 1
	v_lshl_or_b32 v10, v9, 7, v8
	v_add_co_u32 v4, vcc_lo, v4, s10
	v_lshlrev_b32_e32 v8, 1, v9
	v_add_co_ci_u32_e64 v5, null, s11, v5, vcc_lo
	v_add_co_u32 v2, vcc_lo, v2, v7
	v_add_co_ci_u32_e64 v3, null, 0, v3, vcc_lo
	v_add_co_u32 v4, vcc_lo, v4, v8
	v_add_co_ci_u32_e64 v5, null, 0, v5, vcc_lo
	s_waitcnt lgkmcnt(0)
	v_add_co_u32 v2, vcc_lo, s8, v2
	v_add_co_ci_u32_e64 v3, null, s9, v3, vcc_lo
	v_add_co_u32 v4, vcc_lo, s20, v4
	v_add_nc_u32_e32 v11, 0x400, v15
	v_lshlrev_b32_e32 v12, 2, v0
	v_lshl_add_u32 v13, v1, 5, 0x400
	v_add_co_ci_u32_e64 v5, null, s21, v5, vcc_lo
	v_mov_b32_e32 v7, 0
	v_mov_b32_e32 v8, 0
	;; [unrolled: 1-line block ×3, first 2 shown]
	s_mov_b64 s[8:9], 0
.LBB126_2:                              ; =>This Inner Loop Header: Depth=1
	flat_load_ushort v14, v[4:5]
	flat_load_ushort v15, v[2:3]
	s_add_u32 s8, s8, 8
	s_addc_u32 s9, s9, 0
	v_add_co_u32 v2, vcc_lo, v2, 16
	v_cmp_lt_i64_e64 s10, s[8:9], s[28:29]
	v_add_co_ci_u32_e64 v3, null, 0, v3, vcc_lo
	v_add_co_u32 v4, vcc_lo, v4, 16
	v_add_co_ci_u32_e64 v5, null, 0, v5, vcc_lo
	s_and_b32 vcc_lo, exec_lo, s10
	s_waitcnt vmcnt(1) lgkmcnt(1)
	v_cvt_f32_f16_e32 v14, v14
	s_waitcnt vmcnt(0) lgkmcnt(0)
	v_cvt_f32_f16_e32 v15, v15
	ds_write_b32 v10, v14
	ds_write_b32 v11, v15
	s_waitcnt lgkmcnt(0)
	s_barrier
	buffer_gl0_inv
	ds_read_b128 v[14:17], v13
	ds_read2_b32 v[30:31], v12 offset1:16
	ds_read_b128 v[18:21], v13 offset:512
	ds_read2_b32 v[32:33], v12 offset0:32 offset1:48
	ds_read2_b32 v[34:35], v12 offset0:64 offset1:80
	ds_read_b128 v[22:25], v13 offset:16
	ds_read2_b32 v[36:37], v12 offset0:96 offset1:112
	ds_read2_b32 v[38:39], v12 offset0:128 offset1:144
	;; [unrolled: 3-line block ×3, first 2 shown]
	ds_read2_b32 v[44:45], v12 offset0:224 offset1:240
	s_waitcnt lgkmcnt(0)
	s_barrier
	buffer_gl0_inv
	v_fmac_f32_e32 v9, v30, v14
	v_fmac_f32_e32 v8, v31, v14
	;; [unrolled: 1-line block ×32, first 2 shown]
	s_cbranch_vccnz .LBB126_2
.LBB126_3:
	s_load_dword s8, s[4:5], 0x50
	s_lshl_b64 s[10:11], s[2:3], 2
	s_load_dword s2, s[4:5], 0x18
	v_add_co_u32 v2, s4, s30, v1
	v_add_co_ci_u32_e64 v5, null, s31, 0, s4
	v_add_co_u32 v0, s4, s6, v0
	v_add_co_ci_u32_e64 v1, null, s7, 0, s4
	v_mul_lo_u32 v3, v5, s0
	v_mul_lo_u32 v4, v2, s1
	s_waitcnt lgkmcnt(0)
	s_add_u32 s3, s18, s10
	v_lshlrev_b64 v[0:1], 2, v[0:1]
	s_addc_u32 s4, s19, s11
	v_cmp_neq_f32_e64 s5, s8, 0
	s_and_b32 vcc_lo, exec_lo, s5
	s_mov_b32 s5, 0
	s_cbranch_vccnz .LBB126_7
; %bb.4:
	v_mad_u64_u32 v[10:11], null, v2, s0, 0
	s_lshl_b64 s[6:7], s[0:1], 6
	v_mul_f32_e32 v14, s2, v9
	v_mul_f32_e32 v15, s2, v8
	;; [unrolled: 1-line block ×4, first 2 shown]
	v_add3_u32 v11, v11, v4, v3
	v_lshlrev_b64 v[10:11], 2, v[10:11]
	v_add_co_u32 v10, vcc_lo, s3, v10
	v_add_co_ci_u32_e64 v11, null, s4, v11, vcc_lo
	v_add_co_u32 v12, vcc_lo, v10, s6
	v_add_co_ci_u32_e64 v13, null, s7, v11, vcc_lo
	;; [unrolled: 2-line block ×4, first 2 shown]
	flat_store_dword v[10:11], v14
	flat_store_dword v[10:11], v15 offset:64
	flat_store_dword v[12:13], v16
	flat_store_dword v[12:13], v17 offset:64
	s_andn2_b32 vcc_lo, exec_lo, s5
	s_cbranch_vccnz .LBB126_6
.LBB126_5:
	v_mul_lo_u32 v5, v5, s14
	v_mul_lo_u32 v12, v2, s15
	v_mad_u64_u32 v[10:11], null, v2, s14, 0
	s_lshl_b64 s[6:7], s[16:17], 2
	s_add_u32 s5, s12, s6
	s_addc_u32 s6, s13, s7
	v_add3_u32 v11, v11, v12, v5
	v_mad_u64_u32 v[12:13], null, v2, s0, 0
	s_lshl_b64 s[0:1], s[0:1], 6
	v_lshlrev_b64 v[10:11], 2, v[10:11]
	v_add3_u32 v13, v13, v4, v3
	v_add_co_u32 v5, vcc_lo, s5, v10
	v_add_co_ci_u32_e64 v14, null, s6, v11, vcc_lo
	v_lshlrev_b64 v[2:3], 2, v[12:13]
	v_add_co_u32 v10, vcc_lo, v5, v0
	v_add_co_ci_u32_e64 v11, null, v14, v1, vcc_lo
	v_add_co_u32 v12, vcc_lo, s3, v2
	flat_load_dword v15, v[10:11]
	v_add_co_ci_u32_e64 v13, null, s4, v3, vcc_lo
	v_add_co_u32 v2, vcc_lo, v12, v0
	s_lshl_b64 s[4:5], s[14:15], 6
	v_add_co_ci_u32_e64 v3, null, v13, v1, vcc_lo
	s_waitcnt vmcnt(0) lgkmcnt(0)
	v_mul_f32_e32 v4, s8, v15
	v_fmac_f32_e32 v4, s2, v9
	flat_store_dword v[2:3], v4
	flat_load_dword v4, v[10:11] offset:64
	s_waitcnt vmcnt(0) lgkmcnt(0)
	v_mul_f32_e32 v9, s8, v4
	v_add_co_u32 v4, vcc_lo, v5, s4
	v_add_co_ci_u32_e64 v5, null, s5, v14, vcc_lo
	v_fmac_f32_e32 v9, s2, v8
	v_add_co_u32 v4, vcc_lo, v4, v0
	v_add_co_ci_u32_e64 v5, null, v5, v1, vcc_lo
	flat_store_dword v[2:3], v9 offset:64
	v_add_co_u32 v3, vcc_lo, v12, s0
	flat_load_dword v2, v[4:5]
	v_add_co_ci_u32_e64 v8, null, s1, v13, vcc_lo
	v_add_co_u32 v0, vcc_lo, v3, v0
	v_add_co_ci_u32_e64 v1, null, v8, v1, vcc_lo
	s_waitcnt vmcnt(0) lgkmcnt(0)
	v_mul_f32_e32 v2, s8, v2
	v_fmac_f32_e32 v2, s2, v7
	flat_store_dword v[0:1], v2
	flat_load_dword v2, v[4:5] offset:64
	s_waitcnt vmcnt(0) lgkmcnt(0)
	v_mul_f32_e32 v2, s8, v2
	v_fmac_f32_e32 v2, s2, v6
	flat_store_dword v[0:1], v2 offset:64
.LBB126_6:
	s_endpgm
.LBB126_7:
	s_branch .LBB126_5
	.section	.rodata,"a",@progbits
	.p2align	6, 0x0
	.amdhsa_kernel _ZN12_GLOBAL__N_127rocblas_gemm_batched_kernelIfLi16ELi16ELi32ELi32ELi8ELi32ELi8ELi8ELi32ELc67ELc78EKPKDF16_KPKfKPfEEvlllT_PT11_llSB_llS9_PT12_llPT13_lli
		.amdhsa_group_segment_fixed_size 2048
		.amdhsa_private_segment_fixed_size 0
		.amdhsa_kernarg_size 140
		.amdhsa_user_sgpr_count 6
		.amdhsa_user_sgpr_private_segment_buffer 1
		.amdhsa_user_sgpr_dispatch_ptr 0
		.amdhsa_user_sgpr_queue_ptr 0
		.amdhsa_user_sgpr_kernarg_segment_ptr 1
		.amdhsa_user_sgpr_dispatch_id 0
		.amdhsa_user_sgpr_flat_scratch_init 0
		.amdhsa_user_sgpr_private_segment_size 0
		.amdhsa_wavefront_size32 1
		.amdhsa_uses_dynamic_stack 0
		.amdhsa_system_sgpr_private_segment_wavefront_offset 0
		.amdhsa_system_sgpr_workgroup_id_x 1
		.amdhsa_system_sgpr_workgroup_id_y 1
		.amdhsa_system_sgpr_workgroup_id_z 1
		.amdhsa_system_sgpr_workgroup_info 0
		.amdhsa_system_vgpr_workitem_id 1
		.amdhsa_next_free_vgpr 46
		.amdhsa_next_free_sgpr 36
		.amdhsa_reserve_vcc 1
		.amdhsa_reserve_flat_scratch 0
		.amdhsa_float_round_mode_32 0
		.amdhsa_float_round_mode_16_64 0
		.amdhsa_float_denorm_mode_32 3
		.amdhsa_float_denorm_mode_16_64 3
		.amdhsa_dx10_clamp 1
		.amdhsa_ieee_mode 1
		.amdhsa_fp16_overflow 0
		.amdhsa_workgroup_processor_mode 1
		.amdhsa_memory_ordered 1
		.amdhsa_forward_progress 1
		.amdhsa_shared_vgpr_count 0
		.amdhsa_exception_fp_ieee_invalid_op 0
		.amdhsa_exception_fp_denorm_src 0
		.amdhsa_exception_fp_ieee_div_zero 0
		.amdhsa_exception_fp_ieee_overflow 0
		.amdhsa_exception_fp_ieee_underflow 0
		.amdhsa_exception_fp_ieee_inexact 0
		.amdhsa_exception_int_div_zero 0
	.end_amdhsa_kernel
	.section	.text._ZN12_GLOBAL__N_127rocblas_gemm_batched_kernelIfLi16ELi16ELi32ELi32ELi8ELi32ELi8ELi8ELi32ELc67ELc78EKPKDF16_KPKfKPfEEvlllT_PT11_llSB_llS9_PT12_llPT13_lli,"axG",@progbits,_ZN12_GLOBAL__N_127rocblas_gemm_batched_kernelIfLi16ELi16ELi32ELi32ELi8ELi32ELi8ELi8ELi32ELc67ELc78EKPKDF16_KPKfKPfEEvlllT_PT11_llSB_llS9_PT12_llPT13_lli,comdat
.Lfunc_end126:
	.size	_ZN12_GLOBAL__N_127rocblas_gemm_batched_kernelIfLi16ELi16ELi32ELi32ELi8ELi32ELi8ELi8ELi32ELc67ELc78EKPKDF16_KPKfKPfEEvlllT_PT11_llSB_llS9_PT12_llPT13_lli, .Lfunc_end126-_ZN12_GLOBAL__N_127rocblas_gemm_batched_kernelIfLi16ELi16ELi32ELi32ELi8ELi32ELi8ELi8ELi32ELc67ELc78EKPKDF16_KPKfKPfEEvlllT_PT11_llSB_llS9_PT12_llPT13_lli
                                        ; -- End function
	.set _ZN12_GLOBAL__N_127rocblas_gemm_batched_kernelIfLi16ELi16ELi32ELi32ELi8ELi32ELi8ELi8ELi32ELc67ELc78EKPKDF16_KPKfKPfEEvlllT_PT11_llSB_llS9_PT12_llPT13_lli.num_vgpr, 46
	.set _ZN12_GLOBAL__N_127rocblas_gemm_batched_kernelIfLi16ELi16ELi32ELi32ELi8ELi32ELi8ELi8ELi32ELc67ELc78EKPKDF16_KPKfKPfEEvlllT_PT11_llSB_llS9_PT12_llPT13_lli.num_agpr, 0
	.set _ZN12_GLOBAL__N_127rocblas_gemm_batched_kernelIfLi16ELi16ELi32ELi32ELi8ELi32ELi8ELi8ELi32ELc67ELc78EKPKDF16_KPKfKPfEEvlllT_PT11_llSB_llS9_PT12_llPT13_lli.numbered_sgpr, 36
	.set _ZN12_GLOBAL__N_127rocblas_gemm_batched_kernelIfLi16ELi16ELi32ELi32ELi8ELi32ELi8ELi8ELi32ELc67ELc78EKPKDF16_KPKfKPfEEvlllT_PT11_llSB_llS9_PT12_llPT13_lli.num_named_barrier, 0
	.set _ZN12_GLOBAL__N_127rocblas_gemm_batched_kernelIfLi16ELi16ELi32ELi32ELi8ELi32ELi8ELi8ELi32ELc67ELc78EKPKDF16_KPKfKPfEEvlllT_PT11_llSB_llS9_PT12_llPT13_lli.private_seg_size, 0
	.set _ZN12_GLOBAL__N_127rocblas_gemm_batched_kernelIfLi16ELi16ELi32ELi32ELi8ELi32ELi8ELi8ELi32ELc67ELc78EKPKDF16_KPKfKPfEEvlllT_PT11_llSB_llS9_PT12_llPT13_lli.uses_vcc, 1
	.set _ZN12_GLOBAL__N_127rocblas_gemm_batched_kernelIfLi16ELi16ELi32ELi32ELi8ELi32ELi8ELi8ELi32ELc67ELc78EKPKDF16_KPKfKPfEEvlllT_PT11_llSB_llS9_PT12_llPT13_lli.uses_flat_scratch, 0
	.set _ZN12_GLOBAL__N_127rocblas_gemm_batched_kernelIfLi16ELi16ELi32ELi32ELi8ELi32ELi8ELi8ELi32ELc67ELc78EKPKDF16_KPKfKPfEEvlllT_PT11_llSB_llS9_PT12_llPT13_lli.has_dyn_sized_stack, 0
	.set _ZN12_GLOBAL__N_127rocblas_gemm_batched_kernelIfLi16ELi16ELi32ELi32ELi8ELi32ELi8ELi8ELi32ELc67ELc78EKPKDF16_KPKfKPfEEvlllT_PT11_llSB_llS9_PT12_llPT13_lli.has_recursion, 0
	.set _ZN12_GLOBAL__N_127rocblas_gemm_batched_kernelIfLi16ELi16ELi32ELi32ELi8ELi32ELi8ELi8ELi32ELc67ELc78EKPKDF16_KPKfKPfEEvlllT_PT11_llSB_llS9_PT12_llPT13_lli.has_indirect_call, 0
	.section	.AMDGPU.csdata,"",@progbits
; Kernel info:
; codeLenInByte = 1448
; TotalNumSgprs: 38
; NumVgprs: 46
; ScratchSize: 0
; MemoryBound: 0
; FloatMode: 240
; IeeeMode: 1
; LDSByteSize: 2048 bytes/workgroup (compile time only)
; SGPRBlocks: 0
; VGPRBlocks: 5
; NumSGPRsForWavesPerEU: 38
; NumVGPRsForWavesPerEU: 46
; Occupancy: 16
; WaveLimiterHint : 1
; COMPUTE_PGM_RSRC2:SCRATCH_EN: 0
; COMPUTE_PGM_RSRC2:USER_SGPR: 6
; COMPUTE_PGM_RSRC2:TRAP_HANDLER: 0
; COMPUTE_PGM_RSRC2:TGID_X_EN: 1
; COMPUTE_PGM_RSRC2:TGID_Y_EN: 1
; COMPUTE_PGM_RSRC2:TGID_Z_EN: 1
; COMPUTE_PGM_RSRC2:TIDIG_COMP_CNT: 1
	.section	.text._ZN12_GLOBAL__N_127rocblas_gemm_batched_kernelIfLi16ELi16ELi32ELi32ELi8ELi32ELi8ELi8ELi32ELc67ELc84EKPKDF16_KPKfKPfEEvlllT_PT11_llSB_llS9_PT12_llPT13_lli,"axG",@progbits,_ZN12_GLOBAL__N_127rocblas_gemm_batched_kernelIfLi16ELi16ELi32ELi32ELi8ELi32ELi8ELi8ELi32ELc67ELc84EKPKDF16_KPKfKPfEEvlllT_PT11_llSB_llS9_PT12_llPT13_lli,comdat
	.globl	_ZN12_GLOBAL__N_127rocblas_gemm_batched_kernelIfLi16ELi16ELi32ELi32ELi8ELi32ELi8ELi8ELi32ELc67ELc84EKPKDF16_KPKfKPfEEvlllT_PT11_llSB_llS9_PT12_llPT13_lli ; -- Begin function _ZN12_GLOBAL__N_127rocblas_gemm_batched_kernelIfLi16ELi16ELi32ELi32ELi8ELi32ELi8ELi8ELi32ELc67ELc84EKPKDF16_KPKfKPfEEvlllT_PT11_llSB_llS9_PT12_llPT13_lli
	.p2align	8
	.type	_ZN12_GLOBAL__N_127rocblas_gemm_batched_kernelIfLi16ELi16ELi32ELi32ELi8ELi32ELi8ELi8ELi32ELc67ELc84EKPKDF16_KPKfKPfEEvlllT_PT11_llSB_llS9_PT12_llPT13_lli,@function
_ZN12_GLOBAL__N_127rocblas_gemm_batched_kernelIfLi16ELi16ELi32ELi32ELi8ELi32ELi8ELi8ELi32ELc67ELc84EKPKDF16_KPKfKPfEEvlllT_PT11_llSB_llS9_PT12_llPT13_lli: ; @_ZN12_GLOBAL__N_127rocblas_gemm_batched_kernelIfLi16ELi16ELi32ELi32ELi8ELi32ELi8ELi8ELi32ELc67ELc84EKPKDF16_KPKfKPfEEvlllT_PT11_llSB_llS9_PT12_llPT13_lli
; %bb.0:
	s_clause 0x1
	s_load_dwordx8 s[12:19], s[4:5], 0x58
	s_load_dwordx2 s[28:29], s[4:5], 0x10
	s_mov_b32 s9, 0
	s_load_dwordx4 s[0:3], s[4:5], 0x78
	s_lshl_b64 s[34:35], s[8:9], 3
	s_mov_b32 s10, s7
	v_mov_b32_e32 v9, 0
	v_mov_b32_e32 v8, 0
	v_mov_b32_e32 v2, 0
	v_mov_b32_e32 v3, 0
	s_waitcnt lgkmcnt(0)
	s_add_u32 s8, s12, s34
	s_addc_u32 s9, s13, s35
	s_add_u32 s18, s18, s34
	s_addc_u32 s19, s19, s35
	s_load_dwordx2 s[12:13], s[8:9], 0x0
	s_load_dwordx2 s[18:19], s[18:19], 0x0
	v_cmp_lt_i64_e64 s8, s[28:29], 1
	s_ashr_i32 s7, s6, 31
	s_ashr_i32 s11, s10, 31
	s_lshl_b64 s[6:7], s[6:7], 5
	s_lshl_b64 s[30:31], s[10:11], 5
	s_and_b32 vcc_lo, exec_lo, s8
	s_cbranch_vccnz .LBB127_3
; %bb.1:
	s_clause 0x1
	s_load_dwordx8 s[20:27], s[4:5], 0x20
	s_load_dwordx4 s[8:11], s[4:5], 0x40
	v_lshl_add_u32 v8, v1, 4, v0
	v_and_b32_e32 v9, 7, v0
	v_mov_b32_e32 v3, 0
	v_lshlrev_b32_e32 v10, 2, v0
	v_and_b32_e32 v11, 31, v8
	v_lshrrev_b32_e32 v2, 3, v8
	v_lshlrev_b32_e32 v12, 2, v9
	v_lshrrev_b32_e32 v8, 5, v8
	v_add_co_u32 v6, s33, s6, v11
	v_add_co_ci_u32_e64 v7, null, s7, 0, s33
	v_lshlrev_b32_e32 v15, 2, v11
	v_lshl_or_b32 v16, v2, 5, v12
	v_lshlrev_b32_e32 v17, 1, v8
	v_lshl_add_u32 v11, v1, 5, 0x400
	s_waitcnt lgkmcnt(0)
	s_add_u32 s20, s20, s34
	s_addc_u32 s21, s21, s35
	s_add_u32 s26, s26, s34
	s_addc_u32 s27, s27, s35
	v_mad_u64_u32 v[4:5], null, s8, v9, v[2:3]
	s_load_dwordx2 s[26:27], s[26:27], 0x0
	v_mul_lo_u32 v13, s23, v6
	v_mul_lo_u32 v14, s22, v7
	v_mad_u64_u32 v[6:7], null, s22, v6, 0
	v_lshl_or_b32 v12, v8, 7, v15
	v_mov_b32_e32 v2, v5
	s_load_dwordx2 s[20:21], s[20:21], 0x0
	s_lshl_b64 s[10:11], s[10:11], 1
	v_add3_u32 v7, v7, v14, v13
	v_mad_u64_u32 v[8:9], null, s9, v9, v[2:3]
	v_add_nc_u32_e32 v13, 0x400, v16
	v_mov_b32_e32 v9, v3
	v_lshlrev_b64 v[5:6], 1, v[6:7]
	v_add_co_u32 v7, vcc_lo, v4, s30
	v_add_co_ci_u32_e64 v8, null, s31, v8, vcc_lo
	s_waitcnt lgkmcnt(0)
	s_add_u32 s22, s26, s10
	s_addc_u32 s23, s27, s11
	s_lshl_b64 s[10:11], s[24:25], 1
	s_lshl_b64 s[8:9], s[8:9], 4
	v_add_co_u32 v2, vcc_lo, v5, s10
	v_add_co_ci_u32_e64 v6, null, s11, v6, vcc_lo
	v_lshlrev_b64 v[4:5], 1, v[7:8]
	v_add_co_u32 v2, vcc_lo, v2, v17
	v_add_co_ci_u32_e64 v7, null, 0, v6, vcc_lo
	v_mov_b32_e32 v8, v3
	v_add_co_u32 v4, vcc_lo, s22, v4
	v_add_co_ci_u32_e64 v5, null, s23, v5, vcc_lo
	v_add_co_u32 v6, vcc_lo, s20, v2
	v_add_co_ci_u32_e64 v7, null, s21, v7, vcc_lo
	v_mov_b32_e32 v2, v3
	s_mov_b64 s[10:11], 0
.LBB127_2:                              ; =>This Inner Loop Header: Depth=1
	flat_load_ushort v14, v[6:7]
	flat_load_ushort v15, v[4:5]
	s_add_u32 s10, s10, 8
	s_addc_u32 s11, s11, 0
	v_add_co_u32 v4, vcc_lo, v4, s8
	v_cmp_lt_i64_e64 s20, s[10:11], s[28:29]
	v_add_co_ci_u32_e64 v5, null, s9, v5, vcc_lo
	v_add_co_u32 v6, vcc_lo, v6, 16
	v_add_co_ci_u32_e64 v7, null, 0, v7, vcc_lo
	s_and_b32 vcc_lo, exec_lo, s20
	s_waitcnt vmcnt(1) lgkmcnt(1)
	v_cvt_f32_f16_e32 v14, v14
	s_waitcnt vmcnt(0) lgkmcnt(0)
	v_cvt_f32_f16_e32 v15, v15
	ds_write_b32 v12, v14
	ds_write_b32 v13, v15
	s_waitcnt lgkmcnt(0)
	s_barrier
	buffer_gl0_inv
	ds_read_b128 v[14:17], v11
	ds_read2_b32 v[30:31], v10 offset1:16
	ds_read_b128 v[18:21], v11 offset:512
	ds_read2_b32 v[32:33], v10 offset0:32 offset1:48
	ds_read2_b32 v[34:35], v10 offset0:64 offset1:80
	ds_read_b128 v[22:25], v11 offset:16
	ds_read2_b32 v[36:37], v10 offset0:96 offset1:112
	ds_read2_b32 v[38:39], v10 offset0:128 offset1:144
	;; [unrolled: 3-line block ×3, first 2 shown]
	ds_read2_b32 v[44:45], v10 offset0:224 offset1:240
	s_waitcnt lgkmcnt(0)
	s_barrier
	buffer_gl0_inv
	v_fmac_f32_e32 v9, v30, v14
	v_fmac_f32_e32 v8, v31, v14
	;; [unrolled: 1-line block ×32, first 2 shown]
	s_cbranch_vccnz .LBB127_2
.LBB127_3:
	s_load_dword s8, s[4:5], 0x50
	s_lshl_b64 s[10:11], s[2:3], 2
	s_load_dword s2, s[4:5], 0x18
	v_add_co_u32 v4, s4, s30, v1
	v_add_co_ci_u32_e64 v7, null, s31, 0, s4
	v_add_co_u32 v0, s4, s6, v0
	v_add_co_ci_u32_e64 v1, null, s7, 0, s4
	v_mul_lo_u32 v5, v7, s0
	v_mul_lo_u32 v6, v4, s1
	s_waitcnt lgkmcnt(0)
	s_add_u32 s3, s18, s10
	v_lshlrev_b64 v[0:1], 2, v[0:1]
	s_addc_u32 s4, s19, s11
	v_cmp_neq_f32_e64 s5, s8, 0
	s_and_b32 vcc_lo, exec_lo, s5
	s_mov_b32 s5, 0
	s_cbranch_vccnz .LBB127_7
; %bb.4:
	v_mad_u64_u32 v[10:11], null, v4, s0, 0
	s_lshl_b64 s[6:7], s[0:1], 6
	v_mul_f32_e32 v14, s2, v9
	v_mul_f32_e32 v15, s2, v8
	;; [unrolled: 1-line block ×4, first 2 shown]
	v_add3_u32 v11, v11, v6, v5
	v_lshlrev_b64 v[10:11], 2, v[10:11]
	v_add_co_u32 v10, vcc_lo, s3, v10
	v_add_co_ci_u32_e64 v11, null, s4, v11, vcc_lo
	v_add_co_u32 v12, vcc_lo, v10, s6
	v_add_co_ci_u32_e64 v13, null, s7, v11, vcc_lo
	v_add_co_u32 v10, vcc_lo, v10, v0
	v_add_co_ci_u32_e64 v11, null, v11, v1, vcc_lo
	v_add_co_u32 v12, vcc_lo, v12, v0
	v_add_co_ci_u32_e64 v13, null, v13, v1, vcc_lo
	flat_store_dword v[10:11], v14
	flat_store_dword v[10:11], v15 offset:64
	flat_store_dword v[12:13], v16
	flat_store_dword v[12:13], v17 offset:64
	s_andn2_b32 vcc_lo, exec_lo, s5
	s_cbranch_vccnz .LBB127_6
.LBB127_5:
	v_mul_lo_u32 v7, v7, s14
	v_mul_lo_u32 v12, v4, s15
	v_mad_u64_u32 v[10:11], null, v4, s14, 0
	s_lshl_b64 s[6:7], s[16:17], 2
	s_add_u32 s5, s12, s6
	s_addc_u32 s6, s13, s7
	v_add3_u32 v11, v11, v12, v7
	v_mad_u64_u32 v[12:13], null, v4, s0, 0
	s_lshl_b64 s[0:1], s[0:1], 6
	v_lshlrev_b64 v[10:11], 2, v[10:11]
	v_add3_u32 v13, v13, v6, v5
	v_add_co_u32 v7, vcc_lo, s5, v10
	v_add_co_ci_u32_e64 v14, null, s6, v11, vcc_lo
	v_lshlrev_b64 v[4:5], 2, v[12:13]
	v_add_co_u32 v10, vcc_lo, v7, v0
	v_add_co_ci_u32_e64 v11, null, v14, v1, vcc_lo
	v_add_co_u32 v12, vcc_lo, s3, v4
	flat_load_dword v15, v[10:11]
	v_add_co_ci_u32_e64 v13, null, s4, v5, vcc_lo
	v_add_co_u32 v4, vcc_lo, v12, v0
	s_lshl_b64 s[4:5], s[14:15], 6
	v_add_co_ci_u32_e64 v5, null, v13, v1, vcc_lo
	s_waitcnt vmcnt(0) lgkmcnt(0)
	v_mul_f32_e32 v6, s8, v15
	v_fmac_f32_e32 v6, s2, v9
	flat_store_dword v[4:5], v6
	flat_load_dword v6, v[10:11] offset:64
	s_waitcnt vmcnt(0) lgkmcnt(0)
	v_mul_f32_e32 v9, s8, v6
	v_add_co_u32 v6, vcc_lo, v7, s4
	v_add_co_ci_u32_e64 v7, null, s5, v14, vcc_lo
	v_fmac_f32_e32 v9, s2, v8
	v_add_co_u32 v6, vcc_lo, v6, v0
	v_add_co_ci_u32_e64 v7, null, v7, v1, vcc_lo
	flat_store_dword v[4:5], v9 offset:64
	v_add_co_u32 v5, vcc_lo, v12, s0
	flat_load_dword v4, v[6:7]
	v_add_co_ci_u32_e64 v8, null, s1, v13, vcc_lo
	v_add_co_u32 v0, vcc_lo, v5, v0
	v_add_co_ci_u32_e64 v1, null, v8, v1, vcc_lo
	s_waitcnt vmcnt(0) lgkmcnt(0)
	v_mul_f32_e32 v4, s8, v4
	v_fmac_f32_e32 v4, s2, v2
	flat_store_dword v[0:1], v4
	flat_load_dword v2, v[6:7] offset:64
	s_waitcnt vmcnt(0) lgkmcnt(0)
	v_mul_f32_e32 v2, s8, v2
	v_fmac_f32_e32 v2, s2, v3
	flat_store_dword v[0:1], v2 offset:64
.LBB127_6:
	s_endpgm
.LBB127_7:
	s_branch .LBB127_5
	.section	.rodata,"a",@progbits
	.p2align	6, 0x0
	.amdhsa_kernel _ZN12_GLOBAL__N_127rocblas_gemm_batched_kernelIfLi16ELi16ELi32ELi32ELi8ELi32ELi8ELi8ELi32ELc67ELc84EKPKDF16_KPKfKPfEEvlllT_PT11_llSB_llS9_PT12_llPT13_lli
		.amdhsa_group_segment_fixed_size 2048
		.amdhsa_private_segment_fixed_size 0
		.amdhsa_kernarg_size 140
		.amdhsa_user_sgpr_count 6
		.amdhsa_user_sgpr_private_segment_buffer 1
		.amdhsa_user_sgpr_dispatch_ptr 0
		.amdhsa_user_sgpr_queue_ptr 0
		.amdhsa_user_sgpr_kernarg_segment_ptr 1
		.amdhsa_user_sgpr_dispatch_id 0
		.amdhsa_user_sgpr_flat_scratch_init 0
		.amdhsa_user_sgpr_private_segment_size 0
		.amdhsa_wavefront_size32 1
		.amdhsa_uses_dynamic_stack 0
		.amdhsa_system_sgpr_private_segment_wavefront_offset 0
		.amdhsa_system_sgpr_workgroup_id_x 1
		.amdhsa_system_sgpr_workgroup_id_y 1
		.amdhsa_system_sgpr_workgroup_id_z 1
		.amdhsa_system_sgpr_workgroup_info 0
		.amdhsa_system_vgpr_workitem_id 1
		.amdhsa_next_free_vgpr 46
		.amdhsa_next_free_sgpr 36
		.amdhsa_reserve_vcc 1
		.amdhsa_reserve_flat_scratch 0
		.amdhsa_float_round_mode_32 0
		.amdhsa_float_round_mode_16_64 0
		.amdhsa_float_denorm_mode_32 3
		.amdhsa_float_denorm_mode_16_64 3
		.amdhsa_dx10_clamp 1
		.amdhsa_ieee_mode 1
		.amdhsa_fp16_overflow 0
		.amdhsa_workgroup_processor_mode 1
		.amdhsa_memory_ordered 1
		.amdhsa_forward_progress 1
		.amdhsa_shared_vgpr_count 0
		.amdhsa_exception_fp_ieee_invalid_op 0
		.amdhsa_exception_fp_denorm_src 0
		.amdhsa_exception_fp_ieee_div_zero 0
		.amdhsa_exception_fp_ieee_overflow 0
		.amdhsa_exception_fp_ieee_underflow 0
		.amdhsa_exception_fp_ieee_inexact 0
		.amdhsa_exception_int_div_zero 0
	.end_amdhsa_kernel
	.section	.text._ZN12_GLOBAL__N_127rocblas_gemm_batched_kernelIfLi16ELi16ELi32ELi32ELi8ELi32ELi8ELi8ELi32ELc67ELc84EKPKDF16_KPKfKPfEEvlllT_PT11_llSB_llS9_PT12_llPT13_lli,"axG",@progbits,_ZN12_GLOBAL__N_127rocblas_gemm_batched_kernelIfLi16ELi16ELi32ELi32ELi8ELi32ELi8ELi8ELi32ELc67ELc84EKPKDF16_KPKfKPfEEvlllT_PT11_llSB_llS9_PT12_llPT13_lli,comdat
.Lfunc_end127:
	.size	_ZN12_GLOBAL__N_127rocblas_gemm_batched_kernelIfLi16ELi16ELi32ELi32ELi8ELi32ELi8ELi8ELi32ELc67ELc84EKPKDF16_KPKfKPfEEvlllT_PT11_llSB_llS9_PT12_llPT13_lli, .Lfunc_end127-_ZN12_GLOBAL__N_127rocblas_gemm_batched_kernelIfLi16ELi16ELi32ELi32ELi8ELi32ELi8ELi8ELi32ELc67ELc84EKPKDF16_KPKfKPfEEvlllT_PT11_llSB_llS9_PT12_llPT13_lli
                                        ; -- End function
	.set _ZN12_GLOBAL__N_127rocblas_gemm_batched_kernelIfLi16ELi16ELi32ELi32ELi8ELi32ELi8ELi8ELi32ELc67ELc84EKPKDF16_KPKfKPfEEvlllT_PT11_llSB_llS9_PT12_llPT13_lli.num_vgpr, 46
	.set _ZN12_GLOBAL__N_127rocblas_gemm_batched_kernelIfLi16ELi16ELi32ELi32ELi8ELi32ELi8ELi8ELi32ELc67ELc84EKPKDF16_KPKfKPfEEvlllT_PT11_llSB_llS9_PT12_llPT13_lli.num_agpr, 0
	.set _ZN12_GLOBAL__N_127rocblas_gemm_batched_kernelIfLi16ELi16ELi32ELi32ELi8ELi32ELi8ELi8ELi32ELc67ELc84EKPKDF16_KPKfKPfEEvlllT_PT11_llSB_llS9_PT12_llPT13_lli.numbered_sgpr, 36
	.set _ZN12_GLOBAL__N_127rocblas_gemm_batched_kernelIfLi16ELi16ELi32ELi32ELi8ELi32ELi8ELi8ELi32ELc67ELc84EKPKDF16_KPKfKPfEEvlllT_PT11_llSB_llS9_PT12_llPT13_lli.num_named_barrier, 0
	.set _ZN12_GLOBAL__N_127rocblas_gemm_batched_kernelIfLi16ELi16ELi32ELi32ELi8ELi32ELi8ELi8ELi32ELc67ELc84EKPKDF16_KPKfKPfEEvlllT_PT11_llSB_llS9_PT12_llPT13_lli.private_seg_size, 0
	.set _ZN12_GLOBAL__N_127rocblas_gemm_batched_kernelIfLi16ELi16ELi32ELi32ELi8ELi32ELi8ELi8ELi32ELc67ELc84EKPKDF16_KPKfKPfEEvlllT_PT11_llSB_llS9_PT12_llPT13_lli.uses_vcc, 1
	.set _ZN12_GLOBAL__N_127rocblas_gemm_batched_kernelIfLi16ELi16ELi32ELi32ELi8ELi32ELi8ELi8ELi32ELc67ELc84EKPKDF16_KPKfKPfEEvlllT_PT11_llSB_llS9_PT12_llPT13_lli.uses_flat_scratch, 0
	.set _ZN12_GLOBAL__N_127rocblas_gemm_batched_kernelIfLi16ELi16ELi32ELi32ELi8ELi32ELi8ELi8ELi32ELc67ELc84EKPKDF16_KPKfKPfEEvlllT_PT11_llSB_llS9_PT12_llPT13_lli.has_dyn_sized_stack, 0
	.set _ZN12_GLOBAL__N_127rocblas_gemm_batched_kernelIfLi16ELi16ELi32ELi32ELi8ELi32ELi8ELi8ELi32ELc67ELc84EKPKDF16_KPKfKPfEEvlllT_PT11_llSB_llS9_PT12_llPT13_lli.has_recursion, 0
	.set _ZN12_GLOBAL__N_127rocblas_gemm_batched_kernelIfLi16ELi16ELi32ELi32ELi8ELi32ELi8ELi8ELi32ELc67ELc84EKPKDF16_KPKfKPfEEvlllT_PT11_llSB_llS9_PT12_llPT13_lli.has_indirect_call, 0
	.section	.AMDGPU.csdata,"",@progbits
; Kernel info:
; codeLenInByte = 1412
; TotalNumSgprs: 38
; NumVgprs: 46
; ScratchSize: 0
; MemoryBound: 0
; FloatMode: 240
; IeeeMode: 1
; LDSByteSize: 2048 bytes/workgroup (compile time only)
; SGPRBlocks: 0
; VGPRBlocks: 5
; NumSGPRsForWavesPerEU: 38
; NumVGPRsForWavesPerEU: 46
; Occupancy: 16
; WaveLimiterHint : 1
; COMPUTE_PGM_RSRC2:SCRATCH_EN: 0
; COMPUTE_PGM_RSRC2:USER_SGPR: 6
; COMPUTE_PGM_RSRC2:TRAP_HANDLER: 0
; COMPUTE_PGM_RSRC2:TGID_X_EN: 1
; COMPUTE_PGM_RSRC2:TGID_Y_EN: 1
; COMPUTE_PGM_RSRC2:TGID_Z_EN: 1
; COMPUTE_PGM_RSRC2:TIDIG_COMP_CNT: 1
	.section	.text._ZN12_GLOBAL__N_127rocblas_gemm_batched_kernelIfLi16ELi16ELi32ELi32ELi8ELi32ELi8ELi8ELi32ELc78ELc67EKPKDF16_KPKfKPfEEvlllT_PT11_llSB_llS9_PT12_llPT13_lli,"axG",@progbits,_ZN12_GLOBAL__N_127rocblas_gemm_batched_kernelIfLi16ELi16ELi32ELi32ELi8ELi32ELi8ELi8ELi32ELc78ELc67EKPKDF16_KPKfKPfEEvlllT_PT11_llSB_llS9_PT12_llPT13_lli,comdat
	.globl	_ZN12_GLOBAL__N_127rocblas_gemm_batched_kernelIfLi16ELi16ELi32ELi32ELi8ELi32ELi8ELi8ELi32ELc78ELc67EKPKDF16_KPKfKPfEEvlllT_PT11_llSB_llS9_PT12_llPT13_lli ; -- Begin function _ZN12_GLOBAL__N_127rocblas_gemm_batched_kernelIfLi16ELi16ELi32ELi32ELi8ELi32ELi8ELi8ELi32ELc78ELc67EKPKDF16_KPKfKPfEEvlllT_PT11_llSB_llS9_PT12_llPT13_lli
	.p2align	8
	.type	_ZN12_GLOBAL__N_127rocblas_gemm_batched_kernelIfLi16ELi16ELi32ELi32ELi8ELi32ELi8ELi8ELi32ELc78ELc67EKPKDF16_KPKfKPfEEvlllT_PT11_llSB_llS9_PT12_llPT13_lli,@function
_ZN12_GLOBAL__N_127rocblas_gemm_batched_kernelIfLi16ELi16ELi32ELi32ELi8ELi32ELi8ELi8ELi32ELc78ELc67EKPKDF16_KPKfKPfEEvlllT_PT11_llSB_llS9_PT12_llPT13_lli: ; @_ZN12_GLOBAL__N_127rocblas_gemm_batched_kernelIfLi16ELi16ELi32ELi32ELi8ELi32ELi8ELi8ELi32ELc78ELc67EKPKDF16_KPKfKPfEEvlllT_PT11_llSB_llS9_PT12_llPT13_lli
; %bb.0:
	s_clause 0x1
	s_load_dwordx8 s[12:19], s[4:5], 0x58
	s_load_dwordx2 s[28:29], s[4:5], 0x10
	s_mov_b32 s9, 0
	s_load_dwordx4 s[0:3], s[4:5], 0x78
	s_lshl_b64 s[34:35], s[8:9], 3
	s_mov_b32 s10, s7
	v_mov_b32_e32 v9, 0
	v_mov_b32_e32 v8, 0
	;; [unrolled: 1-line block ×4, first 2 shown]
	s_waitcnt lgkmcnt(0)
	s_add_u32 s8, s12, s34
	s_addc_u32 s9, s13, s35
	s_add_u32 s18, s18, s34
	s_addc_u32 s19, s19, s35
	s_load_dwordx2 s[12:13], s[8:9], 0x0
	s_load_dwordx2 s[18:19], s[18:19], 0x0
	v_cmp_lt_i64_e64 s8, s[28:29], 1
	s_ashr_i32 s7, s6, 31
	s_ashr_i32 s11, s10, 31
	s_lshl_b64 s[6:7], s[6:7], 5
	s_lshl_b64 s[30:31], s[10:11], 5
	s_and_b32 vcc_lo, exec_lo, s8
	s_cbranch_vccnz .LBB128_3
; %bb.1:
	s_clause 0x1
	s_load_dwordx8 s[20:27], s[4:5], 0x20
	s_load_dwordx4 s[8:11], s[4:5], 0x40
	v_lshl_add_u32 v4, v1, 4, v0
	v_mov_b32_e32 v3, 0
	v_and_b32_e32 v8, 7, v0
	v_lshlrev_b32_e32 v10, 2, v0
	v_lshl_add_u32 v11, v1, 5, 0x400
	v_lshrrev_b32_e32 v2, 3, v4
	v_lshrrev_b32_e32 v9, 5, v4
	v_and_b32_e32 v14, 31, v4
	v_lshlrev_b32_e32 v12, 2, v8
	v_lshlrev_b32_e32 v13, 2, v14
	v_lshl_or_b32 v15, v2, 5, v12
	v_lshl_or_b32 v12, v9, 7, v13
	s_waitcnt lgkmcnt(0)
	v_mad_u64_u32 v[6:7], null, s22, v9, s[6:7]
	v_mad_u64_u32 v[4:5], null, s8, v8, v[2:3]
	s_add_u32 s20, s20, s34
	s_addc_u32 s21, s21, s35
	s_add_u32 s26, s26, s34
	s_addc_u32 s27, s27, s35
	s_load_dwordx2 s[20:21], s[20:21], 0x0
	s_load_dwordx2 s[26:27], s[26:27], 0x0
	v_mov_b32_e32 v2, v5
	v_mov_b32_e32 v5, v7
	v_add_co_u32 v4, vcc_lo, v4, s30
	s_lshl_b64 s[10:11], s[10:11], 1
	v_mad_u64_u32 v[7:8], null, s9, v8, v[2:3]
	v_mad_u64_u32 v[8:9], null, s23, v9, v[5:6]
	v_add_nc_u32_e32 v13, 0x400, v15
	v_mov_b32_e32 v2, v3
	v_mov_b32_e32 v9, v3
	v_add_co_ci_u32_e64 v5, null, s31, v7, vcc_lo
	v_add_co_u32 v6, vcc_lo, v6, v14
	v_add_co_ci_u32_e64 v7, null, 0, v8, vcc_lo
	v_lshlrev_b64 v[4:5], 1, v[4:5]
	s_waitcnt lgkmcnt(0)
	s_add_u32 s26, s26, s10
	s_addc_u32 s27, s27, s11
	v_lshlrev_b64 v[6:7], 1, v[6:7]
	s_lshl_b64 s[10:11], s[24:25], 1
	s_lshl_b64 s[8:9], s[8:9], 4
	s_add_u32 s10, s20, s10
	v_add_co_u32 v4, vcc_lo, s26, v4
	s_addc_u32 s11, s21, s11
	v_add_co_ci_u32_e64 v5, null, s27, v5, vcc_lo
	v_add_co_u32 v6, vcc_lo, s10, v6
	v_add_co_ci_u32_e64 v7, null, s11, v7, vcc_lo
	v_mov_b32_e32 v8, v3
	s_lshl_b64 s[10:11], s[22:23], 4
	s_mov_b64 s[20:21], 0
.LBB128_2:                              ; =>This Inner Loop Header: Depth=1
	flat_load_ushort v14, v[6:7]
	flat_load_ushort v15, v[4:5]
	s_add_u32 s20, s20, 8
	s_addc_u32 s21, s21, 0
	v_add_co_u32 v4, vcc_lo, v4, s8
	v_cmp_lt_i64_e64 s22, s[20:21], s[28:29]
	v_add_co_ci_u32_e64 v5, null, s9, v5, vcc_lo
	v_add_co_u32 v6, vcc_lo, v6, s10
	v_add_co_ci_u32_e64 v7, null, s11, v7, vcc_lo
	s_and_b32 vcc_lo, exec_lo, s22
	s_waitcnt vmcnt(1) lgkmcnt(1)
	v_cvt_f32_f16_e32 v14, v14
	s_waitcnt vmcnt(0) lgkmcnt(0)
	v_cvt_f32_f16_e32 v15, v15
	ds_write_b32 v12, v14
	ds_write_b32 v13, v15
	s_waitcnt lgkmcnt(0)
	s_barrier
	buffer_gl0_inv
	ds_read_b128 v[14:17], v11
	ds_read2_b32 v[30:31], v10 offset1:16
	ds_read_b128 v[18:21], v11 offset:512
	ds_read2_b32 v[32:33], v10 offset0:32 offset1:48
	ds_read2_b32 v[34:35], v10 offset0:64 offset1:80
	ds_read_b128 v[22:25], v11 offset:16
	ds_read2_b32 v[36:37], v10 offset0:96 offset1:112
	ds_read2_b32 v[38:39], v10 offset0:128 offset1:144
	;; [unrolled: 3-line block ×3, first 2 shown]
	ds_read2_b32 v[44:45], v10 offset0:224 offset1:240
	s_waitcnt lgkmcnt(0)
	s_barrier
	buffer_gl0_inv
	v_fmac_f32_e32 v9, v30, v14
	v_fmac_f32_e32 v8, v31, v14
	v_fmac_f32_e32 v2, v30, v18
	v_fmac_f32_e32 v3, v31, v18
	v_fmac_f32_e32 v9, v32, v15
	v_fmac_f32_e32 v8, v33, v15
	v_fmac_f32_e32 v2, v32, v19
	v_fmac_f32_e32 v3, v33, v19
	v_fmac_f32_e32 v9, v34, v16
	v_fmac_f32_e32 v8, v35, v16
	v_fmac_f32_e32 v2, v34, v20
	v_fmac_f32_e32 v3, v35, v20
	v_fmac_f32_e32 v9, v36, v17
	v_fmac_f32_e32 v8, v37, v17
	v_fmac_f32_e32 v2, v36, v21
	v_fmac_f32_e32 v3, v37, v21
	v_fmac_f32_e32 v9, v38, v22
	v_fmac_f32_e32 v8, v39, v22
	v_fmac_f32_e32 v2, v38, v26
	v_fmac_f32_e32 v3, v39, v26
	v_fmac_f32_e32 v9, v40, v23
	v_fmac_f32_e32 v8, v41, v23
	v_fmac_f32_e32 v2, v40, v27
	v_fmac_f32_e32 v3, v41, v27
	v_fmac_f32_e32 v9, v42, v24
	v_fmac_f32_e32 v8, v43, v24
	v_fmac_f32_e32 v2, v42, v28
	v_fmac_f32_e32 v3, v43, v28
	v_fmac_f32_e32 v9, v44, v25
	v_fmac_f32_e32 v8, v45, v25
	v_fmac_f32_e32 v2, v44, v29
	v_fmac_f32_e32 v3, v45, v29
	s_cbranch_vccnz .LBB128_2
.LBB128_3:
	s_load_dword s8, s[4:5], 0x50
	s_lshl_b64 s[10:11], s[2:3], 2
	s_load_dword s2, s[4:5], 0x18
	v_add_co_u32 v4, s4, s30, v1
	v_add_co_ci_u32_e64 v7, null, s31, 0, s4
	v_add_co_u32 v0, s4, s6, v0
	v_add_co_ci_u32_e64 v1, null, s7, 0, s4
	v_mul_lo_u32 v5, v7, s0
	v_mul_lo_u32 v6, v4, s1
	s_waitcnt lgkmcnt(0)
	s_add_u32 s3, s18, s10
	v_lshlrev_b64 v[0:1], 2, v[0:1]
	s_addc_u32 s4, s19, s11
	v_cmp_neq_f32_e64 s5, s8, 0
	s_and_b32 vcc_lo, exec_lo, s5
	s_mov_b32 s5, 0
	s_cbranch_vccnz .LBB128_7
; %bb.4:
	v_mad_u64_u32 v[10:11], null, v4, s0, 0
	s_lshl_b64 s[6:7], s[0:1], 6
	v_mul_f32_e32 v14, s2, v9
	v_mul_f32_e32 v15, s2, v8
	;; [unrolled: 1-line block ×4, first 2 shown]
	v_add3_u32 v11, v11, v6, v5
	v_lshlrev_b64 v[10:11], 2, v[10:11]
	v_add_co_u32 v10, vcc_lo, s3, v10
	v_add_co_ci_u32_e64 v11, null, s4, v11, vcc_lo
	v_add_co_u32 v12, vcc_lo, v10, s6
	v_add_co_ci_u32_e64 v13, null, s7, v11, vcc_lo
	;; [unrolled: 2-line block ×4, first 2 shown]
	flat_store_dword v[10:11], v14
	flat_store_dword v[10:11], v15 offset:64
	flat_store_dword v[12:13], v16
	flat_store_dword v[12:13], v17 offset:64
	s_andn2_b32 vcc_lo, exec_lo, s5
	s_cbranch_vccnz .LBB128_6
.LBB128_5:
	v_mul_lo_u32 v7, v7, s14
	v_mul_lo_u32 v12, v4, s15
	v_mad_u64_u32 v[10:11], null, v4, s14, 0
	s_lshl_b64 s[6:7], s[16:17], 2
	s_add_u32 s5, s12, s6
	s_addc_u32 s6, s13, s7
	v_add3_u32 v11, v11, v12, v7
	v_mad_u64_u32 v[12:13], null, v4, s0, 0
	s_lshl_b64 s[0:1], s[0:1], 6
	v_lshlrev_b64 v[10:11], 2, v[10:11]
	v_add3_u32 v13, v13, v6, v5
	v_add_co_u32 v7, vcc_lo, s5, v10
	v_add_co_ci_u32_e64 v14, null, s6, v11, vcc_lo
	v_lshlrev_b64 v[4:5], 2, v[12:13]
	v_add_co_u32 v10, vcc_lo, v7, v0
	v_add_co_ci_u32_e64 v11, null, v14, v1, vcc_lo
	v_add_co_u32 v12, vcc_lo, s3, v4
	flat_load_dword v15, v[10:11]
	v_add_co_ci_u32_e64 v13, null, s4, v5, vcc_lo
	v_add_co_u32 v4, vcc_lo, v12, v0
	s_lshl_b64 s[4:5], s[14:15], 6
	v_add_co_ci_u32_e64 v5, null, v13, v1, vcc_lo
	s_waitcnt vmcnt(0) lgkmcnt(0)
	v_mul_f32_e32 v6, s8, v15
	v_fmac_f32_e32 v6, s2, v9
	flat_store_dword v[4:5], v6
	flat_load_dword v6, v[10:11] offset:64
	s_waitcnt vmcnt(0) lgkmcnt(0)
	v_mul_f32_e32 v9, s8, v6
	v_add_co_u32 v6, vcc_lo, v7, s4
	v_add_co_ci_u32_e64 v7, null, s5, v14, vcc_lo
	v_fmac_f32_e32 v9, s2, v8
	v_add_co_u32 v6, vcc_lo, v6, v0
	v_add_co_ci_u32_e64 v7, null, v7, v1, vcc_lo
	flat_store_dword v[4:5], v9 offset:64
	v_add_co_u32 v5, vcc_lo, v12, s0
	flat_load_dword v4, v[6:7]
	v_add_co_ci_u32_e64 v8, null, s1, v13, vcc_lo
	v_add_co_u32 v0, vcc_lo, v5, v0
	v_add_co_ci_u32_e64 v1, null, v8, v1, vcc_lo
	s_waitcnt vmcnt(0) lgkmcnt(0)
	v_mul_f32_e32 v4, s8, v4
	v_fmac_f32_e32 v4, s2, v2
	flat_store_dword v[0:1], v4
	flat_load_dword v2, v[6:7] offset:64
	s_waitcnt vmcnt(0) lgkmcnt(0)
	v_mul_f32_e32 v2, s8, v2
	v_fmac_f32_e32 v2, s2, v3
	flat_store_dword v[0:1], v2 offset:64
.LBB128_6:
	s_endpgm
.LBB128_7:
	s_branch .LBB128_5
	.section	.rodata,"a",@progbits
	.p2align	6, 0x0
	.amdhsa_kernel _ZN12_GLOBAL__N_127rocblas_gemm_batched_kernelIfLi16ELi16ELi32ELi32ELi8ELi32ELi8ELi8ELi32ELc78ELc67EKPKDF16_KPKfKPfEEvlllT_PT11_llSB_llS9_PT12_llPT13_lli
		.amdhsa_group_segment_fixed_size 2048
		.amdhsa_private_segment_fixed_size 0
		.amdhsa_kernarg_size 140
		.amdhsa_user_sgpr_count 6
		.amdhsa_user_sgpr_private_segment_buffer 1
		.amdhsa_user_sgpr_dispatch_ptr 0
		.amdhsa_user_sgpr_queue_ptr 0
		.amdhsa_user_sgpr_kernarg_segment_ptr 1
		.amdhsa_user_sgpr_dispatch_id 0
		.amdhsa_user_sgpr_flat_scratch_init 0
		.amdhsa_user_sgpr_private_segment_size 0
		.amdhsa_wavefront_size32 1
		.amdhsa_uses_dynamic_stack 0
		.amdhsa_system_sgpr_private_segment_wavefront_offset 0
		.amdhsa_system_sgpr_workgroup_id_x 1
		.amdhsa_system_sgpr_workgroup_id_y 1
		.amdhsa_system_sgpr_workgroup_id_z 1
		.amdhsa_system_sgpr_workgroup_info 0
		.amdhsa_system_vgpr_workitem_id 1
		.amdhsa_next_free_vgpr 46
		.amdhsa_next_free_sgpr 36
		.amdhsa_reserve_vcc 1
		.amdhsa_reserve_flat_scratch 0
		.amdhsa_float_round_mode_32 0
		.amdhsa_float_round_mode_16_64 0
		.amdhsa_float_denorm_mode_32 3
		.amdhsa_float_denorm_mode_16_64 3
		.amdhsa_dx10_clamp 1
		.amdhsa_ieee_mode 1
		.amdhsa_fp16_overflow 0
		.amdhsa_workgroup_processor_mode 1
		.amdhsa_memory_ordered 1
		.amdhsa_forward_progress 1
		.amdhsa_shared_vgpr_count 0
		.amdhsa_exception_fp_ieee_invalid_op 0
		.amdhsa_exception_fp_denorm_src 0
		.amdhsa_exception_fp_ieee_div_zero 0
		.amdhsa_exception_fp_ieee_overflow 0
		.amdhsa_exception_fp_ieee_underflow 0
		.amdhsa_exception_fp_ieee_inexact 0
		.amdhsa_exception_int_div_zero 0
	.end_amdhsa_kernel
	.section	.text._ZN12_GLOBAL__N_127rocblas_gemm_batched_kernelIfLi16ELi16ELi32ELi32ELi8ELi32ELi8ELi8ELi32ELc78ELc67EKPKDF16_KPKfKPfEEvlllT_PT11_llSB_llS9_PT12_llPT13_lli,"axG",@progbits,_ZN12_GLOBAL__N_127rocblas_gemm_batched_kernelIfLi16ELi16ELi32ELi32ELi8ELi32ELi8ELi8ELi32ELc78ELc67EKPKDF16_KPKfKPfEEvlllT_PT11_llSB_llS9_PT12_llPT13_lli,comdat
.Lfunc_end128:
	.size	_ZN12_GLOBAL__N_127rocblas_gemm_batched_kernelIfLi16ELi16ELi32ELi32ELi8ELi32ELi8ELi8ELi32ELc78ELc67EKPKDF16_KPKfKPfEEvlllT_PT11_llSB_llS9_PT12_llPT13_lli, .Lfunc_end128-_ZN12_GLOBAL__N_127rocblas_gemm_batched_kernelIfLi16ELi16ELi32ELi32ELi8ELi32ELi8ELi8ELi32ELc78ELc67EKPKDF16_KPKfKPfEEvlllT_PT11_llSB_llS9_PT12_llPT13_lli
                                        ; -- End function
	.set _ZN12_GLOBAL__N_127rocblas_gemm_batched_kernelIfLi16ELi16ELi32ELi32ELi8ELi32ELi8ELi8ELi32ELc78ELc67EKPKDF16_KPKfKPfEEvlllT_PT11_llSB_llS9_PT12_llPT13_lli.num_vgpr, 46
	.set _ZN12_GLOBAL__N_127rocblas_gemm_batched_kernelIfLi16ELi16ELi32ELi32ELi8ELi32ELi8ELi8ELi32ELc78ELc67EKPKDF16_KPKfKPfEEvlllT_PT11_llSB_llS9_PT12_llPT13_lli.num_agpr, 0
	.set _ZN12_GLOBAL__N_127rocblas_gemm_batched_kernelIfLi16ELi16ELi32ELi32ELi8ELi32ELi8ELi8ELi32ELc78ELc67EKPKDF16_KPKfKPfEEvlllT_PT11_llSB_llS9_PT12_llPT13_lli.numbered_sgpr, 36
	.set _ZN12_GLOBAL__N_127rocblas_gemm_batched_kernelIfLi16ELi16ELi32ELi32ELi8ELi32ELi8ELi8ELi32ELc78ELc67EKPKDF16_KPKfKPfEEvlllT_PT11_llSB_llS9_PT12_llPT13_lli.num_named_barrier, 0
	.set _ZN12_GLOBAL__N_127rocblas_gemm_batched_kernelIfLi16ELi16ELi32ELi32ELi8ELi32ELi8ELi8ELi32ELc78ELc67EKPKDF16_KPKfKPfEEvlllT_PT11_llSB_llS9_PT12_llPT13_lli.private_seg_size, 0
	.set _ZN12_GLOBAL__N_127rocblas_gemm_batched_kernelIfLi16ELi16ELi32ELi32ELi8ELi32ELi8ELi8ELi32ELc78ELc67EKPKDF16_KPKfKPfEEvlllT_PT11_llSB_llS9_PT12_llPT13_lli.uses_vcc, 1
	.set _ZN12_GLOBAL__N_127rocblas_gemm_batched_kernelIfLi16ELi16ELi32ELi32ELi8ELi32ELi8ELi8ELi32ELc78ELc67EKPKDF16_KPKfKPfEEvlllT_PT11_llSB_llS9_PT12_llPT13_lli.uses_flat_scratch, 0
	.set _ZN12_GLOBAL__N_127rocblas_gemm_batched_kernelIfLi16ELi16ELi32ELi32ELi8ELi32ELi8ELi8ELi32ELc78ELc67EKPKDF16_KPKfKPfEEvlllT_PT11_llSB_llS9_PT12_llPT13_lli.has_dyn_sized_stack, 0
	.set _ZN12_GLOBAL__N_127rocblas_gemm_batched_kernelIfLi16ELi16ELi32ELi32ELi8ELi32ELi8ELi8ELi32ELc78ELc67EKPKDF16_KPKfKPfEEvlllT_PT11_llSB_llS9_PT12_llPT13_lli.has_recursion, 0
	.set _ZN12_GLOBAL__N_127rocblas_gemm_batched_kernelIfLi16ELi16ELi32ELi32ELi8ELi32ELi8ELi8ELi32ELc78ELc67EKPKDF16_KPKfKPfEEvlllT_PT11_llSB_llS9_PT12_llPT13_lli.has_indirect_call, 0
	.section	.AMDGPU.csdata,"",@progbits
; Kernel info:
; codeLenInByte = 1376
; TotalNumSgprs: 38
; NumVgprs: 46
; ScratchSize: 0
; MemoryBound: 0
; FloatMode: 240
; IeeeMode: 1
; LDSByteSize: 2048 bytes/workgroup (compile time only)
; SGPRBlocks: 0
; VGPRBlocks: 5
; NumSGPRsForWavesPerEU: 38
; NumVGPRsForWavesPerEU: 46
; Occupancy: 16
; WaveLimiterHint : 1
; COMPUTE_PGM_RSRC2:SCRATCH_EN: 0
; COMPUTE_PGM_RSRC2:USER_SGPR: 6
; COMPUTE_PGM_RSRC2:TRAP_HANDLER: 0
; COMPUTE_PGM_RSRC2:TGID_X_EN: 1
; COMPUTE_PGM_RSRC2:TGID_Y_EN: 1
; COMPUTE_PGM_RSRC2:TGID_Z_EN: 1
; COMPUTE_PGM_RSRC2:TIDIG_COMP_CNT: 1
	.section	.text._ZN12_GLOBAL__N_127rocblas_gemm_batched_kernelIfLi16ELi16ELi32ELi32ELi8ELi32ELi8ELi8ELi32ELc84ELc67EKPKDF16_KPKfKPfEEvlllT_PT11_llSB_llS9_PT12_llPT13_lli,"axG",@progbits,_ZN12_GLOBAL__N_127rocblas_gemm_batched_kernelIfLi16ELi16ELi32ELi32ELi8ELi32ELi8ELi8ELi32ELc84ELc67EKPKDF16_KPKfKPfEEvlllT_PT11_llSB_llS9_PT12_llPT13_lli,comdat
	.globl	_ZN12_GLOBAL__N_127rocblas_gemm_batched_kernelIfLi16ELi16ELi32ELi32ELi8ELi32ELi8ELi8ELi32ELc84ELc67EKPKDF16_KPKfKPfEEvlllT_PT11_llSB_llS9_PT12_llPT13_lli ; -- Begin function _ZN12_GLOBAL__N_127rocblas_gemm_batched_kernelIfLi16ELi16ELi32ELi32ELi8ELi32ELi8ELi8ELi32ELc84ELc67EKPKDF16_KPKfKPfEEvlllT_PT11_llSB_llS9_PT12_llPT13_lli
	.p2align	8
	.type	_ZN12_GLOBAL__N_127rocblas_gemm_batched_kernelIfLi16ELi16ELi32ELi32ELi8ELi32ELi8ELi8ELi32ELc84ELc67EKPKDF16_KPKfKPfEEvlllT_PT11_llSB_llS9_PT12_llPT13_lli,@function
_ZN12_GLOBAL__N_127rocblas_gemm_batched_kernelIfLi16ELi16ELi32ELi32ELi8ELi32ELi8ELi8ELi32ELc84ELc67EKPKDF16_KPKfKPfEEvlllT_PT11_llSB_llS9_PT12_llPT13_lli: ; @_ZN12_GLOBAL__N_127rocblas_gemm_batched_kernelIfLi16ELi16ELi32ELi32ELi8ELi32ELi8ELi8ELi32ELc84ELc67EKPKDF16_KPKfKPfEEvlllT_PT11_llSB_llS9_PT12_llPT13_lli
; %bb.0:
	s_clause 0x1
	s_load_dwordx8 s[12:19], s[4:5], 0x58
	s_load_dwordx2 s[28:29], s[4:5], 0x10
	s_mov_b32 s9, 0
	s_load_dwordx4 s[0:3], s[4:5], 0x78
	s_lshl_b64 s[34:35], s[8:9], 3
	s_mov_b32 s10, s7
	v_mov_b32_e32 v9, 0
	v_mov_b32_e32 v8, 0
	;; [unrolled: 1-line block ×4, first 2 shown]
	s_waitcnt lgkmcnt(0)
	s_add_u32 s8, s12, s34
	s_addc_u32 s9, s13, s35
	s_add_u32 s18, s18, s34
	s_addc_u32 s19, s19, s35
	s_load_dwordx2 s[12:13], s[8:9], 0x0
	s_load_dwordx2 s[18:19], s[18:19], 0x0
	v_cmp_lt_i64_e64 s8, s[28:29], 1
	s_ashr_i32 s7, s6, 31
	s_ashr_i32 s11, s10, 31
	s_lshl_b64 s[6:7], s[6:7], 5
	s_lshl_b64 s[30:31], s[10:11], 5
	s_and_b32 vcc_lo, exec_lo, s8
	s_cbranch_vccnz .LBB129_3
; %bb.1:
	s_clause 0x1
	s_load_dwordx8 s[20:27], s[4:5], 0x20
	s_load_dwordx4 s[8:11], s[4:5], 0x40
	v_lshl_add_u32 v8, v1, 4, v0
	v_and_b32_e32 v9, 7, v0
	v_mov_b32_e32 v3, 0
	v_lshlrev_b32_e32 v10, 2, v0
	v_and_b32_e32 v11, 31, v8
	v_lshrrev_b32_e32 v2, 3, v8
	v_lshlrev_b32_e32 v12, 2, v9
	v_lshrrev_b32_e32 v8, 5, v8
	v_add_co_u32 v6, s33, s6, v11
	v_add_co_ci_u32_e64 v7, null, s7, 0, s33
	v_lshlrev_b32_e32 v15, 2, v11
	v_lshl_or_b32 v16, v2, 5, v12
	v_lshlrev_b32_e32 v17, 1, v8
	v_lshl_add_u32 v11, v1, 5, 0x400
	s_waitcnt lgkmcnt(0)
	s_add_u32 s20, s20, s34
	s_addc_u32 s21, s21, s35
	s_add_u32 s26, s26, s34
	s_addc_u32 s27, s27, s35
	v_mad_u64_u32 v[4:5], null, s8, v9, v[2:3]
	s_load_dwordx2 s[26:27], s[26:27], 0x0
	v_mul_lo_u32 v13, s23, v6
	v_mul_lo_u32 v14, s22, v7
	v_mad_u64_u32 v[6:7], null, s22, v6, 0
	v_lshl_or_b32 v12, v8, 7, v15
	v_mov_b32_e32 v2, v5
	s_load_dwordx2 s[20:21], s[20:21], 0x0
	s_lshl_b64 s[10:11], s[10:11], 1
	v_add3_u32 v7, v7, v14, v13
	v_mad_u64_u32 v[8:9], null, s9, v9, v[2:3]
	v_add_nc_u32_e32 v13, 0x400, v16
	v_mov_b32_e32 v9, v3
	v_lshlrev_b64 v[5:6], 1, v[6:7]
	v_add_co_u32 v7, vcc_lo, v4, s30
	v_add_co_ci_u32_e64 v8, null, s31, v8, vcc_lo
	s_waitcnt lgkmcnt(0)
	s_add_u32 s22, s26, s10
	s_addc_u32 s23, s27, s11
	s_lshl_b64 s[10:11], s[24:25], 1
	s_lshl_b64 s[8:9], s[8:9], 4
	v_add_co_u32 v2, vcc_lo, v5, s10
	v_add_co_ci_u32_e64 v6, null, s11, v6, vcc_lo
	v_lshlrev_b64 v[4:5], 1, v[7:8]
	v_add_co_u32 v2, vcc_lo, v2, v17
	v_add_co_ci_u32_e64 v7, null, 0, v6, vcc_lo
	v_mov_b32_e32 v8, v3
	v_add_co_u32 v4, vcc_lo, s22, v4
	v_add_co_ci_u32_e64 v5, null, s23, v5, vcc_lo
	v_add_co_u32 v6, vcc_lo, s20, v2
	v_add_co_ci_u32_e64 v7, null, s21, v7, vcc_lo
	v_mov_b32_e32 v2, v3
	s_mov_b64 s[10:11], 0
.LBB129_2:                              ; =>This Inner Loop Header: Depth=1
	flat_load_ushort v14, v[6:7]
	flat_load_ushort v15, v[4:5]
	s_add_u32 s10, s10, 8
	s_addc_u32 s11, s11, 0
	v_add_co_u32 v4, vcc_lo, v4, s8
	v_cmp_lt_i64_e64 s20, s[10:11], s[28:29]
	v_add_co_ci_u32_e64 v5, null, s9, v5, vcc_lo
	v_add_co_u32 v6, vcc_lo, v6, 16
	v_add_co_ci_u32_e64 v7, null, 0, v7, vcc_lo
	s_and_b32 vcc_lo, exec_lo, s20
	s_waitcnt vmcnt(1) lgkmcnt(1)
	v_cvt_f32_f16_e32 v14, v14
	s_waitcnt vmcnt(0) lgkmcnt(0)
	v_cvt_f32_f16_e32 v15, v15
	ds_write_b32 v12, v14
	ds_write_b32 v13, v15
	s_waitcnt lgkmcnt(0)
	s_barrier
	buffer_gl0_inv
	ds_read_b128 v[14:17], v11
	ds_read2_b32 v[30:31], v10 offset1:16
	ds_read_b128 v[18:21], v11 offset:512
	ds_read2_b32 v[32:33], v10 offset0:32 offset1:48
	ds_read2_b32 v[34:35], v10 offset0:64 offset1:80
	ds_read_b128 v[22:25], v11 offset:16
	ds_read2_b32 v[36:37], v10 offset0:96 offset1:112
	ds_read2_b32 v[38:39], v10 offset0:128 offset1:144
	;; [unrolled: 3-line block ×3, first 2 shown]
	ds_read2_b32 v[44:45], v10 offset0:224 offset1:240
	s_waitcnt lgkmcnt(0)
	s_barrier
	buffer_gl0_inv
	v_fmac_f32_e32 v9, v30, v14
	v_fmac_f32_e32 v8, v31, v14
	;; [unrolled: 1-line block ×32, first 2 shown]
	s_cbranch_vccnz .LBB129_2
.LBB129_3:
	s_load_dword s8, s[4:5], 0x50
	s_lshl_b64 s[10:11], s[2:3], 2
	s_load_dword s2, s[4:5], 0x18
	v_add_co_u32 v4, s4, s30, v1
	v_add_co_ci_u32_e64 v7, null, s31, 0, s4
	v_add_co_u32 v0, s4, s6, v0
	v_add_co_ci_u32_e64 v1, null, s7, 0, s4
	v_mul_lo_u32 v5, v7, s0
	v_mul_lo_u32 v6, v4, s1
	s_waitcnt lgkmcnt(0)
	s_add_u32 s3, s18, s10
	v_lshlrev_b64 v[0:1], 2, v[0:1]
	s_addc_u32 s4, s19, s11
	v_cmp_neq_f32_e64 s5, s8, 0
	s_and_b32 vcc_lo, exec_lo, s5
	s_mov_b32 s5, 0
	s_cbranch_vccnz .LBB129_7
; %bb.4:
	v_mad_u64_u32 v[10:11], null, v4, s0, 0
	s_lshl_b64 s[6:7], s[0:1], 6
	v_mul_f32_e32 v14, s2, v9
	v_mul_f32_e32 v15, s2, v8
	;; [unrolled: 1-line block ×4, first 2 shown]
	v_add3_u32 v11, v11, v6, v5
	v_lshlrev_b64 v[10:11], 2, v[10:11]
	v_add_co_u32 v10, vcc_lo, s3, v10
	v_add_co_ci_u32_e64 v11, null, s4, v11, vcc_lo
	v_add_co_u32 v12, vcc_lo, v10, s6
	v_add_co_ci_u32_e64 v13, null, s7, v11, vcc_lo
	;; [unrolled: 2-line block ×4, first 2 shown]
	flat_store_dword v[10:11], v14
	flat_store_dword v[10:11], v15 offset:64
	flat_store_dword v[12:13], v16
	flat_store_dword v[12:13], v17 offset:64
	s_andn2_b32 vcc_lo, exec_lo, s5
	s_cbranch_vccnz .LBB129_6
.LBB129_5:
	v_mul_lo_u32 v7, v7, s14
	v_mul_lo_u32 v12, v4, s15
	v_mad_u64_u32 v[10:11], null, v4, s14, 0
	s_lshl_b64 s[6:7], s[16:17], 2
	s_add_u32 s5, s12, s6
	s_addc_u32 s6, s13, s7
	v_add3_u32 v11, v11, v12, v7
	v_mad_u64_u32 v[12:13], null, v4, s0, 0
	s_lshl_b64 s[0:1], s[0:1], 6
	v_lshlrev_b64 v[10:11], 2, v[10:11]
	v_add3_u32 v13, v13, v6, v5
	v_add_co_u32 v7, vcc_lo, s5, v10
	v_add_co_ci_u32_e64 v14, null, s6, v11, vcc_lo
	v_lshlrev_b64 v[4:5], 2, v[12:13]
	v_add_co_u32 v10, vcc_lo, v7, v0
	v_add_co_ci_u32_e64 v11, null, v14, v1, vcc_lo
	v_add_co_u32 v12, vcc_lo, s3, v4
	flat_load_dword v15, v[10:11]
	v_add_co_ci_u32_e64 v13, null, s4, v5, vcc_lo
	v_add_co_u32 v4, vcc_lo, v12, v0
	s_lshl_b64 s[4:5], s[14:15], 6
	v_add_co_ci_u32_e64 v5, null, v13, v1, vcc_lo
	s_waitcnt vmcnt(0) lgkmcnt(0)
	v_mul_f32_e32 v6, s8, v15
	v_fmac_f32_e32 v6, s2, v9
	flat_store_dword v[4:5], v6
	flat_load_dword v6, v[10:11] offset:64
	s_waitcnt vmcnt(0) lgkmcnt(0)
	v_mul_f32_e32 v9, s8, v6
	v_add_co_u32 v6, vcc_lo, v7, s4
	v_add_co_ci_u32_e64 v7, null, s5, v14, vcc_lo
	v_fmac_f32_e32 v9, s2, v8
	v_add_co_u32 v6, vcc_lo, v6, v0
	v_add_co_ci_u32_e64 v7, null, v7, v1, vcc_lo
	flat_store_dword v[4:5], v9 offset:64
	v_add_co_u32 v5, vcc_lo, v12, s0
	flat_load_dword v4, v[6:7]
	v_add_co_ci_u32_e64 v8, null, s1, v13, vcc_lo
	v_add_co_u32 v0, vcc_lo, v5, v0
	v_add_co_ci_u32_e64 v1, null, v8, v1, vcc_lo
	s_waitcnt vmcnt(0) lgkmcnt(0)
	v_mul_f32_e32 v4, s8, v4
	v_fmac_f32_e32 v4, s2, v2
	flat_store_dword v[0:1], v4
	flat_load_dword v2, v[6:7] offset:64
	s_waitcnt vmcnt(0) lgkmcnt(0)
	v_mul_f32_e32 v2, s8, v2
	v_fmac_f32_e32 v2, s2, v3
	flat_store_dword v[0:1], v2 offset:64
.LBB129_6:
	s_endpgm
.LBB129_7:
	s_branch .LBB129_5
	.section	.rodata,"a",@progbits
	.p2align	6, 0x0
	.amdhsa_kernel _ZN12_GLOBAL__N_127rocblas_gemm_batched_kernelIfLi16ELi16ELi32ELi32ELi8ELi32ELi8ELi8ELi32ELc84ELc67EKPKDF16_KPKfKPfEEvlllT_PT11_llSB_llS9_PT12_llPT13_lli
		.amdhsa_group_segment_fixed_size 2048
		.amdhsa_private_segment_fixed_size 0
		.amdhsa_kernarg_size 140
		.amdhsa_user_sgpr_count 6
		.amdhsa_user_sgpr_private_segment_buffer 1
		.amdhsa_user_sgpr_dispatch_ptr 0
		.amdhsa_user_sgpr_queue_ptr 0
		.amdhsa_user_sgpr_kernarg_segment_ptr 1
		.amdhsa_user_sgpr_dispatch_id 0
		.amdhsa_user_sgpr_flat_scratch_init 0
		.amdhsa_user_sgpr_private_segment_size 0
		.amdhsa_wavefront_size32 1
		.amdhsa_uses_dynamic_stack 0
		.amdhsa_system_sgpr_private_segment_wavefront_offset 0
		.amdhsa_system_sgpr_workgroup_id_x 1
		.amdhsa_system_sgpr_workgroup_id_y 1
		.amdhsa_system_sgpr_workgroup_id_z 1
		.amdhsa_system_sgpr_workgroup_info 0
		.amdhsa_system_vgpr_workitem_id 1
		.amdhsa_next_free_vgpr 46
		.amdhsa_next_free_sgpr 36
		.amdhsa_reserve_vcc 1
		.amdhsa_reserve_flat_scratch 0
		.amdhsa_float_round_mode_32 0
		.amdhsa_float_round_mode_16_64 0
		.amdhsa_float_denorm_mode_32 3
		.amdhsa_float_denorm_mode_16_64 3
		.amdhsa_dx10_clamp 1
		.amdhsa_ieee_mode 1
		.amdhsa_fp16_overflow 0
		.amdhsa_workgroup_processor_mode 1
		.amdhsa_memory_ordered 1
		.amdhsa_forward_progress 1
		.amdhsa_shared_vgpr_count 0
		.amdhsa_exception_fp_ieee_invalid_op 0
		.amdhsa_exception_fp_denorm_src 0
		.amdhsa_exception_fp_ieee_div_zero 0
		.amdhsa_exception_fp_ieee_overflow 0
		.amdhsa_exception_fp_ieee_underflow 0
		.amdhsa_exception_fp_ieee_inexact 0
		.amdhsa_exception_int_div_zero 0
	.end_amdhsa_kernel
	.section	.text._ZN12_GLOBAL__N_127rocblas_gemm_batched_kernelIfLi16ELi16ELi32ELi32ELi8ELi32ELi8ELi8ELi32ELc84ELc67EKPKDF16_KPKfKPfEEvlllT_PT11_llSB_llS9_PT12_llPT13_lli,"axG",@progbits,_ZN12_GLOBAL__N_127rocblas_gemm_batched_kernelIfLi16ELi16ELi32ELi32ELi8ELi32ELi8ELi8ELi32ELc84ELc67EKPKDF16_KPKfKPfEEvlllT_PT11_llSB_llS9_PT12_llPT13_lli,comdat
.Lfunc_end129:
	.size	_ZN12_GLOBAL__N_127rocblas_gemm_batched_kernelIfLi16ELi16ELi32ELi32ELi8ELi32ELi8ELi8ELi32ELc84ELc67EKPKDF16_KPKfKPfEEvlllT_PT11_llSB_llS9_PT12_llPT13_lli, .Lfunc_end129-_ZN12_GLOBAL__N_127rocblas_gemm_batched_kernelIfLi16ELi16ELi32ELi32ELi8ELi32ELi8ELi8ELi32ELc84ELc67EKPKDF16_KPKfKPfEEvlllT_PT11_llSB_llS9_PT12_llPT13_lli
                                        ; -- End function
	.set _ZN12_GLOBAL__N_127rocblas_gemm_batched_kernelIfLi16ELi16ELi32ELi32ELi8ELi32ELi8ELi8ELi32ELc84ELc67EKPKDF16_KPKfKPfEEvlllT_PT11_llSB_llS9_PT12_llPT13_lli.num_vgpr, 46
	.set _ZN12_GLOBAL__N_127rocblas_gemm_batched_kernelIfLi16ELi16ELi32ELi32ELi8ELi32ELi8ELi8ELi32ELc84ELc67EKPKDF16_KPKfKPfEEvlllT_PT11_llSB_llS9_PT12_llPT13_lli.num_agpr, 0
	.set _ZN12_GLOBAL__N_127rocblas_gemm_batched_kernelIfLi16ELi16ELi32ELi32ELi8ELi32ELi8ELi8ELi32ELc84ELc67EKPKDF16_KPKfKPfEEvlllT_PT11_llSB_llS9_PT12_llPT13_lli.numbered_sgpr, 36
	.set _ZN12_GLOBAL__N_127rocblas_gemm_batched_kernelIfLi16ELi16ELi32ELi32ELi8ELi32ELi8ELi8ELi32ELc84ELc67EKPKDF16_KPKfKPfEEvlllT_PT11_llSB_llS9_PT12_llPT13_lli.num_named_barrier, 0
	.set _ZN12_GLOBAL__N_127rocblas_gemm_batched_kernelIfLi16ELi16ELi32ELi32ELi8ELi32ELi8ELi8ELi32ELc84ELc67EKPKDF16_KPKfKPfEEvlllT_PT11_llSB_llS9_PT12_llPT13_lli.private_seg_size, 0
	.set _ZN12_GLOBAL__N_127rocblas_gemm_batched_kernelIfLi16ELi16ELi32ELi32ELi8ELi32ELi8ELi8ELi32ELc84ELc67EKPKDF16_KPKfKPfEEvlllT_PT11_llSB_llS9_PT12_llPT13_lli.uses_vcc, 1
	.set _ZN12_GLOBAL__N_127rocblas_gemm_batched_kernelIfLi16ELi16ELi32ELi32ELi8ELi32ELi8ELi8ELi32ELc84ELc67EKPKDF16_KPKfKPfEEvlllT_PT11_llSB_llS9_PT12_llPT13_lli.uses_flat_scratch, 0
	.set _ZN12_GLOBAL__N_127rocblas_gemm_batched_kernelIfLi16ELi16ELi32ELi32ELi8ELi32ELi8ELi8ELi32ELc84ELc67EKPKDF16_KPKfKPfEEvlllT_PT11_llSB_llS9_PT12_llPT13_lli.has_dyn_sized_stack, 0
	.set _ZN12_GLOBAL__N_127rocblas_gemm_batched_kernelIfLi16ELi16ELi32ELi32ELi8ELi32ELi8ELi8ELi32ELc84ELc67EKPKDF16_KPKfKPfEEvlllT_PT11_llSB_llS9_PT12_llPT13_lli.has_recursion, 0
	.set _ZN12_GLOBAL__N_127rocblas_gemm_batched_kernelIfLi16ELi16ELi32ELi32ELi8ELi32ELi8ELi8ELi32ELc84ELc67EKPKDF16_KPKfKPfEEvlllT_PT11_llSB_llS9_PT12_llPT13_lli.has_indirect_call, 0
	.section	.AMDGPU.csdata,"",@progbits
; Kernel info:
; codeLenInByte = 1412
; TotalNumSgprs: 38
; NumVgprs: 46
; ScratchSize: 0
; MemoryBound: 0
; FloatMode: 240
; IeeeMode: 1
; LDSByteSize: 2048 bytes/workgroup (compile time only)
; SGPRBlocks: 0
; VGPRBlocks: 5
; NumSGPRsForWavesPerEU: 38
; NumVGPRsForWavesPerEU: 46
; Occupancy: 16
; WaveLimiterHint : 1
; COMPUTE_PGM_RSRC2:SCRATCH_EN: 0
; COMPUTE_PGM_RSRC2:USER_SGPR: 6
; COMPUTE_PGM_RSRC2:TRAP_HANDLER: 0
; COMPUTE_PGM_RSRC2:TGID_X_EN: 1
; COMPUTE_PGM_RSRC2:TGID_Y_EN: 1
; COMPUTE_PGM_RSRC2:TGID_Z_EN: 1
; COMPUTE_PGM_RSRC2:TIDIG_COMP_CNT: 1
	.section	.text._ZN12_GLOBAL__N_135rocblas_gemm_batched_general_kernelIfLi16ELi16ELi32ELi32ELi8ELi32ELi8ELi8ELi32ELc78ELc78EKPKDF16_KPKfKPfEEvlllT_PT11_llSB_llS9_PT12_llPT13_lli,"axG",@progbits,_ZN12_GLOBAL__N_135rocblas_gemm_batched_general_kernelIfLi16ELi16ELi32ELi32ELi8ELi32ELi8ELi8ELi32ELc78ELc78EKPKDF16_KPKfKPfEEvlllT_PT11_llSB_llS9_PT12_llPT13_lli,comdat
	.globl	_ZN12_GLOBAL__N_135rocblas_gemm_batched_general_kernelIfLi16ELi16ELi32ELi32ELi8ELi32ELi8ELi8ELi32ELc78ELc78EKPKDF16_KPKfKPfEEvlllT_PT11_llSB_llS9_PT12_llPT13_lli ; -- Begin function _ZN12_GLOBAL__N_135rocblas_gemm_batched_general_kernelIfLi16ELi16ELi32ELi32ELi8ELi32ELi8ELi8ELi32ELc78ELc78EKPKDF16_KPKfKPfEEvlllT_PT11_llSB_llS9_PT12_llPT13_lli
	.p2align	8
	.type	_ZN12_GLOBAL__N_135rocblas_gemm_batched_general_kernelIfLi16ELi16ELi32ELi32ELi8ELi32ELi8ELi8ELi32ELc78ELc78EKPKDF16_KPKfKPfEEvlllT_PT11_llSB_llS9_PT12_llPT13_lli,@function
_ZN12_GLOBAL__N_135rocblas_gemm_batched_general_kernelIfLi16ELi16ELi32ELi32ELi8ELi32ELi8ELi8ELi32ELc78ELc78EKPKDF16_KPKfKPfEEvlllT_PT11_llSB_llS9_PT12_llPT13_lli: ; @_ZN12_GLOBAL__N_135rocblas_gemm_batched_general_kernelIfLi16ELi16ELi32ELi32ELi8ELi32ELi8ELi8ELi32ELc78ELc78EKPKDF16_KPKfKPfEEvlllT_PT11_llSB_llS9_PT12_llPT13_lli
; %bb.0:
	s_clause 0x1
	s_load_dwordx8 s[12:19], s[4:5], 0x58
	s_load_dwordx2 s[36:37], s[4:5], 0x10
	s_mov_b32 s9, 0
	s_load_dwordx4 s[28:31], s[4:5], 0x0
	s_lshl_b64 s[40:41], s[8:9], 3
	s_load_dwordx4 s[8:11], s[4:5], 0x78
	s_mov_b32 s0, s7
	v_mov_b32_e32 v10, 0
	v_mov_b32_e32 v9, 0
	;; [unrolled: 1-line block ×4, first 2 shown]
	s_waitcnt lgkmcnt(0)
	s_add_u32 s2, s12, s40
	s_addc_u32 s3, s13, s41
	s_add_u32 s18, s18, s40
	s_addc_u32 s19, s19, s41
	s_load_dwordx2 s[12:13], s[2:3], 0x0
	s_load_dwordx2 s[34:35], s[18:19], 0x0
	v_cmp_lt_i64_e64 s2, s[36:37], 1
	s_ashr_i32 s7, s6, 31
	s_ashr_i32 s1, s0, 31
	s_lshl_b64 s[18:19], s[6:7], 5
	s_lshl_b64 s[38:39], s[0:1], 5
	s_and_b32 vcc_lo, exec_lo, s2
	s_cbranch_vccnz .LBB130_7
; %bb.1:
	s_clause 0x1
	s_load_dwordx4 s[0:3], s[4:5], 0x40
	s_load_dwordx8 s[20:27], s[4:5], 0x20
	v_lshl_add_u32 v2, v1, 4, v0
	v_mov_b32_e32 v3, s19
	v_and_b32_e32 v6, 7, v0
	v_mov_b32_e32 v7, 0
	v_lshlrev_b32_e32 v11, 2, v0
	v_lshrrev_b32_e32 v10, 3, v2
	v_lshrrev_b32_e32 v13, 5, v2
	v_and_b32_e32 v18, 31, v2
	v_lshlrev_b32_e32 v14, 2, v6
	v_lshl_add_u32 v12, v1, 5, 0x400
	v_add_co_u32 v4, s33, v10, s38
	v_add_co_ci_u32_e64 v5, null, 0, s39, s33
	v_or_b32_e32 v2, s18, v18
	v_lshlrev_b32_e32 v15, 2, v18
	v_lshl_or_b32 v10, v10, 5, v14
	s_waitcnt lgkmcnt(0)
	v_mul_lo_u32 v19, s1, v4
	v_mad_u64_u32 v[8:9], null, s22, v13, 0
	v_mul_lo_u32 v20, s0, v5
	v_mad_u64_u32 v[16:17], null, s0, v4, 0
	v_cmp_gt_i64_e64 s0, s[28:29], v[2:3]
	s_add_u32 s26, s26, s40
	s_addc_u32 s27, s27, s41
	v_mov_b32_e32 v2, v9
	s_add_u32 s20, s20, s40
	v_cmp_gt_i64_e64 s1, s[30:31], v[4:5]
	v_add3_u32 v17, v17, v20, v19
	s_load_dwordx2 s[26:27], s[26:27], 0x0
	v_mad_u64_u32 v[2:3], null, s23, v13, v[2:3]
	s_addc_u32 s21, s21, s41
	v_lshlrev_b64 v[3:4], 1, v[16:17]
	s_load_dwordx2 s[20:21], s[20:21], 0x0
	s_lshl_b64 s[2:3], s[2:3], 1
	v_lshl_or_b32 v14, v13, 7, v15
	v_add_nc_u32_e32 v15, 0x400, v10
	v_mov_b32_e32 v9, v2
	v_add_co_u32 v5, vcc_lo, v3, s2
	v_add_co_ci_u32_e64 v4, null, s3, v4, vcc_lo
	v_lshlrev_b64 v[2:3], 1, v[8:9]
	s_lshl_b64 s[2:3], s[6:7], 6
	s_lshl_b64 s[6:7], s[24:25], 1
	v_lshlrev_b32_e32 v8, 1, v6
	s_add_u32 s2, s6, s2
	s_addc_u32 s3, s7, s3
	v_add_co_u32 v2, vcc_lo, s2, v2
	v_lshlrev_b32_e32 v9, 1, v18
	v_add_co_ci_u32_e64 v3, null, s3, v3, vcc_lo
	v_add_co_u32 v5, vcc_lo, v5, v8
	v_add_co_ci_u32_e64 v4, null, 0, v4, vcc_lo
	v_add_co_u32 v8, vcc_lo, v2, v9
	v_add_co_ci_u32_e64 v9, null, 0, v3, vcc_lo
	s_waitcnt lgkmcnt(0)
	v_add_co_u32 v2, vcc_lo, s26, v5
	v_add_co_ci_u32_e64 v3, null, s27, v4, vcc_lo
	v_add_co_u32 v4, vcc_lo, s20, v8
	v_add_co_ci_u32_e64 v5, null, s21, v9, vcc_lo
	v_mov_b32_e32 v8, 0
	v_mov_b32_e32 v9, 0
	;; [unrolled: 1-line block ×3, first 2 shown]
	s_lshl_b64 s[2:3], s[22:23], 4
	s_mov_b64 s[6:7], 0
	s_branch .LBB130_3
.LBB130_2:                              ;   in Loop: Header=BB130_3 Depth=1
	s_or_b32 exec_lo, exec_lo, s20
	ds_write_b32 v15, v17
	s_waitcnt lgkmcnt(0)
	s_barrier
	buffer_gl0_inv
	ds_read_b128 v[16:19], v12
	ds_read2_b32 v[32:33], v11 offset1:16
	ds_read_b128 v[20:23], v12 offset:512
	ds_read2_b32 v[34:35], v11 offset0:32 offset1:48
	ds_read2_b32 v[36:37], v11 offset0:64 offset1:80
	;; [unrolled: 1-line block ×3, first 2 shown]
	ds_read_b128 v[24:27], v12 offset:16
	ds_read2_b32 v[40:41], v11 offset0:128 offset1:144
	ds_read_b128 v[28:31], v12 offset:528
	ds_read2_b32 v[42:43], v11 offset0:160 offset1:176
	s_add_u32 s6, s6, 8
	s_addc_u32 s7, s7, 0
	v_add_co_u32 v2, vcc_lo, v2, 16
	v_cmp_lt_i64_e64 s20, s[6:7], s[36:37]
	v_add_co_ci_u32_e64 v3, null, 0, v3, vcc_lo
	v_add_co_u32 v4, vcc_lo, v4, s2
	v_add_co_ci_u32_e64 v5, null, s3, v5, vcc_lo
	s_waitcnt lgkmcnt(8)
	v_fmac_f32_e32 v10, v32, v16
	v_fmac_f32_e32 v9, v33, v16
	s_waitcnt lgkmcnt(7)
	v_fmac_f32_e32 v8, v32, v20
	v_fmac_f32_e32 v7, v33, v20
	ds_read2_b32 v[32:33], v11 offset0:192 offset1:208
	s_waitcnt lgkmcnt(7)
	v_fmac_f32_e32 v10, v34, v17
	v_fmac_f32_e32 v9, v35, v17
	v_fmac_f32_e32 v8, v34, v21
	v_fmac_f32_e32 v7, v35, v21
	ds_read2_b32 v[16:17], v11 offset0:224 offset1:240
	s_waitcnt lgkmcnt(7)
	v_fmac_f32_e32 v10, v36, v18
	v_fmac_f32_e32 v9, v37, v18
	v_fmac_f32_e32 v8, v36, v22
	v_fmac_f32_e32 v7, v37, v22
	s_and_b32 vcc_lo, exec_lo, s20
	s_waitcnt lgkmcnt(6)
	v_fmac_f32_e32 v10, v38, v19
	v_fmac_f32_e32 v9, v39, v19
	;; [unrolled: 1-line block ×4, first 2 shown]
	s_waitcnt lgkmcnt(0)
	v_fmac_f32_e32 v10, v40, v24
	v_fmac_f32_e32 v9, v41, v24
	;; [unrolled: 1-line block ×4, first 2 shown]
	s_barrier
	v_fmac_f32_e32 v10, v42, v25
	v_fmac_f32_e32 v9, v43, v25
	v_fmac_f32_e32 v8, v42, v29
	v_fmac_f32_e32 v7, v43, v29
	buffer_gl0_inv
	v_fmac_f32_e32 v10, v32, v26
	v_fmac_f32_e32 v9, v33, v26
	;; [unrolled: 1-line block ×8, first 2 shown]
	s_cbranch_vccz .LBB130_7
.LBB130_3:                              ; =>This Inner Loop Header: Depth=1
	v_add_co_u32 v16, s20, v13, s6
	v_add_co_ci_u32_e64 v17, null, 0, s7, s20
	v_cmp_gt_i64_e32 vcc_lo, s[36:37], v[16:17]
	v_mov_b32_e32 v16, 0
	s_and_b32 s21, s0, vcc_lo
	s_and_saveexec_b32 s20, s21
	s_cbranch_execz .LBB130_5
; %bb.4:                                ;   in Loop: Header=BB130_3 Depth=1
	flat_load_ushort v16, v[4:5]
	s_waitcnt vmcnt(0) lgkmcnt(0)
	v_cvt_f32_f16_e32 v16, v16
.LBB130_5:                              ;   in Loop: Header=BB130_3 Depth=1
	s_or_b32 exec_lo, exec_lo, s20
	v_add_co_u32 v17, s20, v6, s6
	v_add_co_ci_u32_e64 v18, null, 0, s7, s20
	ds_write_b32 v14, v16
	v_cmp_gt_i64_e32 vcc_lo, s[36:37], v[17:18]
	v_mov_b32_e32 v17, 0
	s_and_b32 s21, vcc_lo, s1
	s_and_saveexec_b32 s20, s21
	s_cbranch_execz .LBB130_2
; %bb.6:                                ;   in Loop: Header=BB130_3 Depth=1
	flat_load_ushort v16, v[2:3]
	s_waitcnt vmcnt(0) lgkmcnt(0)
	v_cvt_f32_f16_e32 v17, v16
	s_branch .LBB130_2
.LBB130_7:
	s_clause 0x1
	s_load_dword s6, s[4:5], 0x50
	s_load_dword s3, s[4:5], 0x18
	v_add_co_u32 v1, s2, s38, v1
	v_add_co_ci_u32_e64 v2, null, s39, 0, s2
	s_lshl_b64 s[0:1], s[10:11], 2
	s_waitcnt lgkmcnt(0)
	s_add_u32 s4, s34, s0
	v_cmp_gt_i64_e64 s0, s[30:31], v[1:2]
	s_addc_u32 s5, s35, s1
	v_cmp_neq_f32_e64 s2, s6, 0
	s_and_b32 vcc_lo, exec_lo, s2
	s_cbranch_vccnz .LBB130_20
; %bb.8:
	s_and_saveexec_b32 s7, s0
	s_cbranch_execz .LBB130_18
; %bb.9:
	v_mul_lo_u32 v5, v2, s8
	v_mul_lo_u32 v6, v1, s9
	v_mad_u64_u32 v[3:4], null, v1, s8, 0
	v_add3_u32 v4, v4, v6, v5
	v_add_co_u32 v5, s1, s18, v0
	v_add_co_ci_u32_e64 v6, null, s19, 0, s1
	v_lshlrev_b64 v[11:12], 2, v[3:4]
	v_cmp_gt_i64_e32 vcc_lo, s[28:29], v[5:6]
	v_lshlrev_b64 v[3:4], 2, v[5:6]
	v_add_co_u32 v11, s1, s4, v11
	v_add_co_ci_u32_e64 v12, null, s5, v12, s1
	s_and_saveexec_b32 s2, vcc_lo
	s_cbranch_execz .LBB130_11
; %bb.10:
	v_add_co_u32 v13, s1, v11, v3
	v_add_co_ci_u32_e64 v14, null, v12, v4, s1
	v_mul_f32_e32 v15, s3, v10
	flat_store_dword v[13:14], v15
.LBB130_11:
	s_or_b32 exec_lo, exec_lo, s2
	v_add_co_u32 v5, s1, v5, 16
	v_add_co_ci_u32_e64 v6, null, 0, v6, s1
	v_cmp_gt_i64_e64 s1, s[28:29], v[5:6]
	s_and_saveexec_b32 s10, s1
	s_cbranch_execz .LBB130_13
; %bb.12:
	v_add_co_u32 v5, s2, v11, v3
	v_add_co_ci_u32_e64 v6, null, v12, v4, s2
	v_mul_f32_e32 v13, s3, v9
	flat_store_dword v[5:6], v13 offset:64
.LBB130_13:
	s_or_b32 exec_lo, exec_lo, s10
	v_add_co_u32 v5, s2, v1, 16
	v_add_co_ci_u32_e64 v6, null, 0, v2, s2
	v_cmp_gt_i64_e64 s2, s[30:31], v[5:6]
	s_and_b32 exec_lo, exec_lo, s2
	s_cbranch_execz .LBB130_18
; %bb.14:
	s_lshl_b64 s[10:11], s[8:9], 6
	v_add_co_u32 v5, s2, v11, s10
	v_add_co_ci_u32_e64 v6, null, s11, v12, s2
	v_add_co_u32 v3, s2, v5, v3
	v_add_co_ci_u32_e64 v4, null, v6, v4, s2
	s_and_saveexec_b32 s2, vcc_lo
	s_cbranch_execz .LBB130_16
; %bb.15:
	v_mul_f32_e32 v5, s3, v8
	flat_store_dword v[3:4], v5
.LBB130_16:
	s_or_b32 exec_lo, exec_lo, s2
	s_and_b32 exec_lo, exec_lo, s1
	s_cbranch_execz .LBB130_18
; %bb.17:
	v_mul_f32_e32 v5, s3, v7
	flat_store_dword v[3:4], v5 offset:64
.LBB130_18:
	s_or_b32 exec_lo, exec_lo, s7
	s_cbranch_execz .LBB130_21
.LBB130_19:
	s_endpgm
.LBB130_20:
.LBB130_21:
	s_and_saveexec_b32 s1, s0
	s_cbranch_execz .LBB130_19
; %bb.22:
	v_mul_lo_u32 v5, v2, s14
	v_mul_lo_u32 v6, v1, s15
	v_mad_u64_u32 v[3:4], null, v1, s14, 0
	v_mul_lo_u32 v13, v2, s8
	v_mul_lo_u32 v14, v1, s9
	v_mad_u64_u32 v[11:12], null, v1, s8, 0
	s_lshl_b64 s[0:1], s[16:17], 2
	v_add3_u32 v4, v4, v6, v5
	v_add_co_u32 v5, s2, s18, v0
	v_add_co_ci_u32_e64 v6, null, s19, 0, s2
	v_add3_u32 v12, v12, v14, v13
	v_lshlrev_b64 v[3:4], 2, v[3:4]
	s_add_u32 s0, s12, s0
	s_addc_u32 s1, s13, s1
	v_cmp_gt_i64_e32 vcc_lo, s[28:29], v[5:6]
	v_lshlrev_b64 v[12:13], 2, v[11:12]
	v_add_co_u32 v0, s0, s0, v3
	v_add_co_ci_u32_e64 v11, null, s1, v4, s0
	v_add_co_u32 v12, s0, s4, v12
	v_lshlrev_b64 v[3:4], 2, v[5:6]
	v_add_co_ci_u32_e64 v13, null, s5, v13, s0
	s_and_saveexec_b32 s1, vcc_lo
	s_cbranch_execz .LBB130_24
; %bb.23:
	v_add_co_u32 v14, s0, v0, v3
	v_add_co_ci_u32_e64 v15, null, v11, v4, s0
	flat_load_dword v14, v[14:15]
	s_waitcnt vmcnt(0) lgkmcnt(0)
	v_mul_f32_e32 v16, s6, v14
	v_add_co_u32 v14, s0, v12, v3
	v_add_co_ci_u32_e64 v15, null, v13, v4, s0
	v_fmac_f32_e32 v16, s3, v10
	flat_store_dword v[14:15], v16
.LBB130_24:
	s_or_b32 exec_lo, exec_lo, s1
	v_add_co_u32 v5, s0, v5, 16
	v_add_co_ci_u32_e64 v6, null, 0, v6, s0
	v_cmp_gt_i64_e64 s0, s[28:29], v[5:6]
	s_and_saveexec_b32 s2, s0
	s_cbranch_execz .LBB130_26
; %bb.25:
	v_add_co_u32 v5, s1, v0, v3
	v_add_co_ci_u32_e64 v6, null, v11, v4, s1
	flat_load_dword v5, v[5:6] offset:64
	s_waitcnt vmcnt(0) lgkmcnt(0)
	v_mul_f32_e32 v10, s6, v5
	v_add_co_u32 v5, s1, v12, v3
	v_add_co_ci_u32_e64 v6, null, v13, v4, s1
	v_fmac_f32_e32 v10, s3, v9
	flat_store_dword v[5:6], v10 offset:64
.LBB130_26:
	s_or_b32 exec_lo, exec_lo, s2
	v_add_co_u32 v1, s1, v1, 16
	v_add_co_ci_u32_e64 v2, null, 0, v2, s1
	v_cmp_gt_i64_e64 s1, s[30:31], v[1:2]
	s_and_b32 exec_lo, exec_lo, s1
	s_cbranch_execz .LBB130_19
; %bb.27:
	s_lshl_b64 s[4:5], s[14:15], 6
	v_add_co_u32 v0, s1, v0, s4
	v_add_co_ci_u32_e64 v1, null, s5, v11, s1
	s_lshl_b64 s[4:5], s[8:9], 6
	v_add_co_u32 v2, s1, v12, s4
	v_add_co_ci_u32_e64 v5, null, s5, v13, s1
	v_add_co_u32 v0, s1, v0, v3
	v_add_co_ci_u32_e64 v1, null, v1, v4, s1
	;; [unrolled: 2-line block ×3, first 2 shown]
	s_and_saveexec_b32 s1, vcc_lo
	s_cbranch_execz .LBB130_29
; %bb.28:
	flat_load_dword v4, v[0:1]
	s_waitcnt vmcnt(0) lgkmcnt(0)
	v_mul_f32_e32 v4, s6, v4
	v_fmac_f32_e32 v4, s3, v8
	flat_store_dword v[2:3], v4
.LBB130_29:
	s_or_b32 exec_lo, exec_lo, s1
	s_and_b32 exec_lo, exec_lo, s0
	s_cbranch_execz .LBB130_19
; %bb.30:
	flat_load_dword v0, v[0:1] offset:64
	s_waitcnt vmcnt(0) lgkmcnt(0)
	v_mul_f32_e32 v0, s6, v0
	v_fmac_f32_e32 v0, s3, v7
	flat_store_dword v[2:3], v0 offset:64
	s_endpgm
	.section	.rodata,"a",@progbits
	.p2align	6, 0x0
	.amdhsa_kernel _ZN12_GLOBAL__N_135rocblas_gemm_batched_general_kernelIfLi16ELi16ELi32ELi32ELi8ELi32ELi8ELi8ELi32ELc78ELc78EKPKDF16_KPKfKPfEEvlllT_PT11_llSB_llS9_PT12_llPT13_lli
		.amdhsa_group_segment_fixed_size 2048
		.amdhsa_private_segment_fixed_size 0
		.amdhsa_kernarg_size 140
		.amdhsa_user_sgpr_count 6
		.amdhsa_user_sgpr_private_segment_buffer 1
		.amdhsa_user_sgpr_dispatch_ptr 0
		.amdhsa_user_sgpr_queue_ptr 0
		.amdhsa_user_sgpr_kernarg_segment_ptr 1
		.amdhsa_user_sgpr_dispatch_id 0
		.amdhsa_user_sgpr_flat_scratch_init 0
		.amdhsa_user_sgpr_private_segment_size 0
		.amdhsa_wavefront_size32 1
		.amdhsa_uses_dynamic_stack 0
		.amdhsa_system_sgpr_private_segment_wavefront_offset 0
		.amdhsa_system_sgpr_workgroup_id_x 1
		.amdhsa_system_sgpr_workgroup_id_y 1
		.amdhsa_system_sgpr_workgroup_id_z 1
		.amdhsa_system_sgpr_workgroup_info 0
		.amdhsa_system_vgpr_workitem_id 1
		.amdhsa_next_free_vgpr 44
		.amdhsa_next_free_sgpr 42
		.amdhsa_reserve_vcc 1
		.amdhsa_reserve_flat_scratch 0
		.amdhsa_float_round_mode_32 0
		.amdhsa_float_round_mode_16_64 0
		.amdhsa_float_denorm_mode_32 3
		.amdhsa_float_denorm_mode_16_64 3
		.amdhsa_dx10_clamp 1
		.amdhsa_ieee_mode 1
		.amdhsa_fp16_overflow 0
		.amdhsa_workgroup_processor_mode 1
		.amdhsa_memory_ordered 1
		.amdhsa_forward_progress 1
		.amdhsa_shared_vgpr_count 0
		.amdhsa_exception_fp_ieee_invalid_op 0
		.amdhsa_exception_fp_denorm_src 0
		.amdhsa_exception_fp_ieee_div_zero 0
		.amdhsa_exception_fp_ieee_overflow 0
		.amdhsa_exception_fp_ieee_underflow 0
		.amdhsa_exception_fp_ieee_inexact 0
		.amdhsa_exception_int_div_zero 0
	.end_amdhsa_kernel
	.section	.text._ZN12_GLOBAL__N_135rocblas_gemm_batched_general_kernelIfLi16ELi16ELi32ELi32ELi8ELi32ELi8ELi8ELi32ELc78ELc78EKPKDF16_KPKfKPfEEvlllT_PT11_llSB_llS9_PT12_llPT13_lli,"axG",@progbits,_ZN12_GLOBAL__N_135rocblas_gemm_batched_general_kernelIfLi16ELi16ELi32ELi32ELi8ELi32ELi8ELi8ELi32ELc78ELc78EKPKDF16_KPKfKPfEEvlllT_PT11_llSB_llS9_PT12_llPT13_lli,comdat
.Lfunc_end130:
	.size	_ZN12_GLOBAL__N_135rocblas_gemm_batched_general_kernelIfLi16ELi16ELi32ELi32ELi8ELi32ELi8ELi8ELi32ELc78ELc78EKPKDF16_KPKfKPfEEvlllT_PT11_llSB_llS9_PT12_llPT13_lli, .Lfunc_end130-_ZN12_GLOBAL__N_135rocblas_gemm_batched_general_kernelIfLi16ELi16ELi32ELi32ELi8ELi32ELi8ELi8ELi32ELc78ELc78EKPKDF16_KPKfKPfEEvlllT_PT11_llSB_llS9_PT12_llPT13_lli
                                        ; -- End function
	.set _ZN12_GLOBAL__N_135rocblas_gemm_batched_general_kernelIfLi16ELi16ELi32ELi32ELi8ELi32ELi8ELi8ELi32ELc78ELc78EKPKDF16_KPKfKPfEEvlllT_PT11_llSB_llS9_PT12_llPT13_lli.num_vgpr, 44
	.set _ZN12_GLOBAL__N_135rocblas_gemm_batched_general_kernelIfLi16ELi16ELi32ELi32ELi8ELi32ELi8ELi8ELi32ELc78ELc78EKPKDF16_KPKfKPfEEvlllT_PT11_llSB_llS9_PT12_llPT13_lli.num_agpr, 0
	.set _ZN12_GLOBAL__N_135rocblas_gemm_batched_general_kernelIfLi16ELi16ELi32ELi32ELi8ELi32ELi8ELi8ELi32ELc78ELc78EKPKDF16_KPKfKPfEEvlllT_PT11_llSB_llS9_PT12_llPT13_lli.numbered_sgpr, 42
	.set _ZN12_GLOBAL__N_135rocblas_gemm_batched_general_kernelIfLi16ELi16ELi32ELi32ELi8ELi32ELi8ELi8ELi32ELc78ELc78EKPKDF16_KPKfKPfEEvlllT_PT11_llSB_llS9_PT12_llPT13_lli.num_named_barrier, 0
	.set _ZN12_GLOBAL__N_135rocblas_gemm_batched_general_kernelIfLi16ELi16ELi32ELi32ELi8ELi32ELi8ELi8ELi32ELc78ELc78EKPKDF16_KPKfKPfEEvlllT_PT11_llSB_llS9_PT12_llPT13_lli.private_seg_size, 0
	.set _ZN12_GLOBAL__N_135rocblas_gemm_batched_general_kernelIfLi16ELi16ELi32ELi32ELi8ELi32ELi8ELi8ELi32ELc78ELc78EKPKDF16_KPKfKPfEEvlllT_PT11_llSB_llS9_PT12_llPT13_lli.uses_vcc, 1
	.set _ZN12_GLOBAL__N_135rocblas_gemm_batched_general_kernelIfLi16ELi16ELi32ELi32ELi8ELi32ELi8ELi8ELi32ELc78ELc78EKPKDF16_KPKfKPfEEvlllT_PT11_llSB_llS9_PT12_llPT13_lli.uses_flat_scratch, 0
	.set _ZN12_GLOBAL__N_135rocblas_gemm_batched_general_kernelIfLi16ELi16ELi32ELi32ELi8ELi32ELi8ELi8ELi32ELc78ELc78EKPKDF16_KPKfKPfEEvlllT_PT11_llSB_llS9_PT12_llPT13_lli.has_dyn_sized_stack, 0
	.set _ZN12_GLOBAL__N_135rocblas_gemm_batched_general_kernelIfLi16ELi16ELi32ELi32ELi8ELi32ELi8ELi8ELi32ELc78ELc78EKPKDF16_KPKfKPfEEvlllT_PT11_llSB_llS9_PT12_llPT13_lli.has_recursion, 0
	.set _ZN12_GLOBAL__N_135rocblas_gemm_batched_general_kernelIfLi16ELi16ELi32ELi32ELi8ELi32ELi8ELi8ELi32ELc78ELc78EKPKDF16_KPKfKPfEEvlllT_PT11_llSB_llS9_PT12_llPT13_lli.has_indirect_call, 0
	.section	.AMDGPU.csdata,"",@progbits
; Kernel info:
; codeLenInByte = 1900
; TotalNumSgprs: 44
; NumVgprs: 44
; ScratchSize: 0
; MemoryBound: 0
; FloatMode: 240
; IeeeMode: 1
; LDSByteSize: 2048 bytes/workgroup (compile time only)
; SGPRBlocks: 0
; VGPRBlocks: 5
; NumSGPRsForWavesPerEU: 44
; NumVGPRsForWavesPerEU: 44
; Occupancy: 16
; WaveLimiterHint : 1
; COMPUTE_PGM_RSRC2:SCRATCH_EN: 0
; COMPUTE_PGM_RSRC2:USER_SGPR: 6
; COMPUTE_PGM_RSRC2:TRAP_HANDLER: 0
; COMPUTE_PGM_RSRC2:TGID_X_EN: 1
; COMPUTE_PGM_RSRC2:TGID_Y_EN: 1
; COMPUTE_PGM_RSRC2:TGID_Z_EN: 1
; COMPUTE_PGM_RSRC2:TIDIG_COMP_CNT: 1
	.section	.text._ZN12_GLOBAL__N_135rocblas_gemm_batched_general_kernelIfLi16ELi16ELi32ELi32ELi8ELi32ELi8ELi8ELi32ELc84ELc78EKPKDF16_KPKfKPfEEvlllT_PT11_llSB_llS9_PT12_llPT13_lli,"axG",@progbits,_ZN12_GLOBAL__N_135rocblas_gemm_batched_general_kernelIfLi16ELi16ELi32ELi32ELi8ELi32ELi8ELi8ELi32ELc84ELc78EKPKDF16_KPKfKPfEEvlllT_PT11_llSB_llS9_PT12_llPT13_lli,comdat
	.globl	_ZN12_GLOBAL__N_135rocblas_gemm_batched_general_kernelIfLi16ELi16ELi32ELi32ELi8ELi32ELi8ELi8ELi32ELc84ELc78EKPKDF16_KPKfKPfEEvlllT_PT11_llSB_llS9_PT12_llPT13_lli ; -- Begin function _ZN12_GLOBAL__N_135rocblas_gemm_batched_general_kernelIfLi16ELi16ELi32ELi32ELi8ELi32ELi8ELi8ELi32ELc84ELc78EKPKDF16_KPKfKPfEEvlllT_PT11_llSB_llS9_PT12_llPT13_lli
	.p2align	8
	.type	_ZN12_GLOBAL__N_135rocblas_gemm_batched_general_kernelIfLi16ELi16ELi32ELi32ELi8ELi32ELi8ELi8ELi32ELc84ELc78EKPKDF16_KPKfKPfEEvlllT_PT11_llSB_llS9_PT12_llPT13_lli,@function
_ZN12_GLOBAL__N_135rocblas_gemm_batched_general_kernelIfLi16ELi16ELi32ELi32ELi8ELi32ELi8ELi8ELi32ELc84ELc78EKPKDF16_KPKfKPfEEvlllT_PT11_llSB_llS9_PT12_llPT13_lli: ; @_ZN12_GLOBAL__N_135rocblas_gemm_batched_general_kernelIfLi16ELi16ELi32ELi32ELi8ELi32ELi8ELi8ELi32ELc84ELc78EKPKDF16_KPKfKPfEEvlllT_PT11_llSB_llS9_PT12_llPT13_lli
; %bb.0:
	s_clause 0x1
	s_load_dwordx8 s[12:19], s[4:5], 0x58
	s_load_dwordx2 s[34:35], s[4:5], 0x10
	s_mov_b32 s9, 0
	s_load_dwordx4 s[28:31], s[4:5], 0x0
	s_lshl_b64 s[38:39], s[8:9], 3
	s_load_dwordx4 s[8:11], s[4:5], 0x78
	s_mov_b32 s0, s7
	v_mov_b32_e32 v10, 0
	v_mov_b32_e32 v9, 0
	v_mov_b32_e32 v8, 0
	v_mov_b32_e32 v7, 0
	s_waitcnt lgkmcnt(0)
	s_add_u32 s2, s12, s38
	s_addc_u32 s3, s13, s39
	s_add_u32 s18, s18, s38
	s_addc_u32 s19, s19, s39
	s_load_dwordx2 s[12:13], s[2:3], 0x0
	s_load_dwordx2 s[18:19], s[18:19], 0x0
	v_cmp_lt_i64_e64 s2, s[34:35], 1
	s_ashr_i32 s7, s6, 31
	s_ashr_i32 s1, s0, 31
	s_lshl_b64 s[6:7], s[6:7], 5
	s_lshl_b64 s[36:37], s[0:1], 5
	s_and_b32 vcc_lo, exec_lo, s2
	s_cbranch_vccnz .LBB131_7
; %bb.1:
	s_clause 0x1
	s_load_dwordx8 s[20:27], s[4:5], 0x20
	s_load_dwordx4 s[0:3], s[4:5], 0x40
	v_lshl_add_u32 v2, v1, 4, v0
	v_mov_b32_e32 v3, s7
	v_and_b32_e32 v6, 7, v0
	v_mov_b32_e32 v7, 0
	v_lshrrev_b32_e32 v10, 3, v2
	v_and_b32_e32 v8, 31, v2
	v_lshrrev_b32_e32 v11, 5, v2
	v_lshlrev_b32_e32 v12, 2, v6
	v_add_co_u32 v4, s33, v10, s36
	v_add_co_ci_u32_e64 v5, null, 0, s37, s33
	v_or_b32_e32 v2, s6, v8
	v_lshlrev_b32_e32 v13, 2, v8
	v_lshl_or_b32 v10, v10, 5, v12
	s_waitcnt lgkmcnt(0)
	s_add_u32 s26, s26, s38
	v_mul_lo_u32 v14, s1, v4
	v_add_co_u32 v15, s1, s6, v8
	v_add_co_ci_u32_e64 v16, null, s7, 0, s1
	v_mul_lo_u32 v18, s0, v5
	v_mad_u64_u32 v[8:9], null, s0, v4, 0
	v_mul_lo_u32 v19, s23, v15
	v_mul_lo_u32 v20, s22, v16
	v_mad_u64_u32 v[16:17], null, s22, v15, 0
	s_addc_u32 s27, s27, s39
	s_add_u32 s20, s20, s38
	v_add3_u32 v9, v9, v18, v14
	s_load_dwordx2 s[26:27], s[26:27], 0x0
	s_addc_u32 s21, s21, s39
	v_cmp_gt_i64_e64 s0, s[28:29], v[2:3]
	v_add3_u32 v17, v17, v20, v19
	s_load_dwordx2 s[20:21], s[20:21], 0x0
	v_lshlrev_b64 v[2:3], 1, v[8:9]
	v_cmp_gt_i64_e64 s1, s[30:31], v[4:5]
	s_lshl_b64 s[2:3], s[2:3], 1
	v_lshlrev_b64 v[4:5], 1, v[16:17]
	v_lshlrev_b32_e32 v8, 1, v6
	v_lshlrev_b32_e32 v9, 1, v11
	v_add_co_u32 v2, vcc_lo, v2, s2
	v_add_co_ci_u32_e64 v3, null, s3, v3, vcc_lo
	s_lshl_b64 s[2:3], s[24:25], 1
	v_lshl_or_b32 v12, v11, 7, v13
	v_add_co_u32 v4, vcc_lo, v4, s2
	v_add_co_ci_u32_e64 v5, null, s3, v5, vcc_lo
	v_add_co_u32 v2, vcc_lo, v2, v8
	v_add_co_ci_u32_e64 v3, null, 0, v3, vcc_lo
	;; [unrolled: 2-line block ×3, first 2 shown]
	s_waitcnt lgkmcnt(0)
	v_add_co_u32 v2, vcc_lo, s26, v2
	v_add_co_ci_u32_e64 v3, null, s27, v3, vcc_lo
	v_add_co_u32 v4, vcc_lo, s20, v4
	v_add_nc_u32_e32 v13, 0x400, v10
	v_lshlrev_b32_e32 v14, 2, v0
	v_lshl_add_u32 v15, v1, 5, 0x400
	v_add_co_ci_u32_e64 v5, null, s21, v5, vcc_lo
	v_mov_b32_e32 v8, 0
	v_mov_b32_e32 v9, 0
	;; [unrolled: 1-line block ×3, first 2 shown]
	s_mov_b64 s[2:3], 0
	s_branch .LBB131_3
.LBB131_2:                              ;   in Loop: Header=BB131_3 Depth=1
	s_or_b32 exec_lo, exec_lo, s20
	ds_write_b32 v13, v17
	s_waitcnt lgkmcnt(0)
	s_barrier
	buffer_gl0_inv
	ds_read_b128 v[16:19], v15
	ds_read2_b32 v[32:33], v14 offset1:16
	ds_read_b128 v[20:23], v15 offset:512
	ds_read2_b32 v[34:35], v14 offset0:32 offset1:48
	ds_read2_b32 v[36:37], v14 offset0:64 offset1:80
	;; [unrolled: 1-line block ×3, first 2 shown]
	ds_read_b128 v[24:27], v15 offset:16
	ds_read2_b32 v[40:41], v14 offset0:128 offset1:144
	ds_read_b128 v[28:31], v15 offset:528
	ds_read2_b32 v[42:43], v14 offset0:160 offset1:176
	s_add_u32 s2, s2, 8
	s_addc_u32 s3, s3, 0
	v_add_co_u32 v2, vcc_lo, v2, 16
	v_cmp_lt_i64_e64 s20, s[2:3], s[34:35]
	v_add_co_ci_u32_e64 v3, null, 0, v3, vcc_lo
	v_add_co_u32 v4, vcc_lo, v4, 16
	v_add_co_ci_u32_e64 v5, null, 0, v5, vcc_lo
	s_waitcnt lgkmcnt(8)
	v_fmac_f32_e32 v10, v32, v16
	v_fmac_f32_e32 v9, v33, v16
	s_waitcnt lgkmcnt(7)
	v_fmac_f32_e32 v8, v32, v20
	v_fmac_f32_e32 v7, v33, v20
	ds_read2_b32 v[32:33], v14 offset0:192 offset1:208
	s_waitcnt lgkmcnt(7)
	v_fmac_f32_e32 v10, v34, v17
	v_fmac_f32_e32 v9, v35, v17
	;; [unrolled: 1-line block ×4, first 2 shown]
	ds_read2_b32 v[16:17], v14 offset0:224 offset1:240
	s_waitcnt lgkmcnt(7)
	v_fmac_f32_e32 v10, v36, v18
	v_fmac_f32_e32 v9, v37, v18
	;; [unrolled: 1-line block ×4, first 2 shown]
	s_and_b32 vcc_lo, exec_lo, s20
	s_waitcnt lgkmcnt(6)
	v_fmac_f32_e32 v10, v38, v19
	v_fmac_f32_e32 v9, v39, v19
	;; [unrolled: 1-line block ×4, first 2 shown]
	s_waitcnt lgkmcnt(0)
	v_fmac_f32_e32 v10, v40, v24
	v_fmac_f32_e32 v9, v41, v24
	;; [unrolled: 1-line block ×4, first 2 shown]
	s_barrier
	v_fmac_f32_e32 v10, v42, v25
	v_fmac_f32_e32 v9, v43, v25
	;; [unrolled: 1-line block ×4, first 2 shown]
	buffer_gl0_inv
	v_fmac_f32_e32 v10, v32, v26
	v_fmac_f32_e32 v9, v33, v26
	;; [unrolled: 1-line block ×8, first 2 shown]
	s_cbranch_vccz .LBB131_7
.LBB131_3:                              ; =>This Inner Loop Header: Depth=1
	v_add_co_u32 v16, s20, v11, s2
	v_add_co_ci_u32_e64 v17, null, 0, s3, s20
	v_cmp_gt_i64_e32 vcc_lo, s[34:35], v[16:17]
	v_mov_b32_e32 v16, 0
	s_and_b32 s21, s0, vcc_lo
	s_and_saveexec_b32 s20, s21
	s_cbranch_execz .LBB131_5
; %bb.4:                                ;   in Loop: Header=BB131_3 Depth=1
	flat_load_ushort v16, v[4:5]
	s_waitcnt vmcnt(0) lgkmcnt(0)
	v_cvt_f32_f16_e32 v16, v16
.LBB131_5:                              ;   in Loop: Header=BB131_3 Depth=1
	s_or_b32 exec_lo, exec_lo, s20
	v_add_co_u32 v17, s20, v6, s2
	v_add_co_ci_u32_e64 v18, null, 0, s3, s20
	ds_write_b32 v12, v16
	v_cmp_gt_i64_e32 vcc_lo, s[34:35], v[17:18]
	v_mov_b32_e32 v17, 0
	s_and_b32 s21, vcc_lo, s1
	s_and_saveexec_b32 s20, s21
	s_cbranch_execz .LBB131_2
; %bb.6:                                ;   in Loop: Header=BB131_3 Depth=1
	flat_load_ushort v16, v[2:3]
	s_waitcnt vmcnt(0) lgkmcnt(0)
	v_cvt_f32_f16_e32 v17, v16
	s_branch .LBB131_2
.LBB131_7:
	s_clause 0x1
	s_load_dword s20, s[4:5], 0x50
	s_load_dword s3, s[4:5], 0x18
	v_add_co_u32 v1, s2, s36, v1
	v_add_co_ci_u32_e64 v2, null, s37, 0, s2
	s_lshl_b64 s[0:1], s[10:11], 2
	s_waitcnt lgkmcnt(0)
	s_add_u32 s4, s18, s0
	v_cmp_gt_i64_e64 s0, s[30:31], v[1:2]
	s_addc_u32 s5, s19, s1
	v_cmp_neq_f32_e64 s2, s20, 0
	s_and_b32 vcc_lo, exec_lo, s2
	s_cbranch_vccnz .LBB131_20
; %bb.8:
	s_and_saveexec_b32 s10, s0
	s_cbranch_execz .LBB131_18
; %bb.9:
	v_mul_lo_u32 v5, v2, s8
	v_mul_lo_u32 v6, v1, s9
	v_mad_u64_u32 v[3:4], null, v1, s8, 0
	v_add3_u32 v4, v4, v6, v5
	v_add_co_u32 v5, s1, s6, v0
	v_add_co_ci_u32_e64 v6, null, s7, 0, s1
	v_lshlrev_b64 v[11:12], 2, v[3:4]
	v_cmp_gt_i64_e32 vcc_lo, s[28:29], v[5:6]
	v_lshlrev_b64 v[3:4], 2, v[5:6]
	v_add_co_u32 v11, s1, s4, v11
	v_add_co_ci_u32_e64 v12, null, s5, v12, s1
	s_and_saveexec_b32 s2, vcc_lo
	s_cbranch_execz .LBB131_11
; %bb.10:
	v_add_co_u32 v13, s1, v11, v3
	v_add_co_ci_u32_e64 v14, null, v12, v4, s1
	v_mul_f32_e32 v15, s3, v10
	flat_store_dword v[13:14], v15
.LBB131_11:
	s_or_b32 exec_lo, exec_lo, s2
	v_add_co_u32 v5, s1, v5, 16
	v_add_co_ci_u32_e64 v6, null, 0, v6, s1
	v_cmp_gt_i64_e64 s1, s[28:29], v[5:6]
	s_and_saveexec_b32 s11, s1
	s_cbranch_execz .LBB131_13
; %bb.12:
	v_add_co_u32 v5, s2, v11, v3
	v_add_co_ci_u32_e64 v6, null, v12, v4, s2
	v_mul_f32_e32 v13, s3, v9
	flat_store_dword v[5:6], v13 offset:64
.LBB131_13:
	s_or_b32 exec_lo, exec_lo, s11
	v_add_co_u32 v5, s2, v1, 16
	v_add_co_ci_u32_e64 v6, null, 0, v2, s2
	v_cmp_gt_i64_e64 s2, s[30:31], v[5:6]
	s_and_b32 exec_lo, exec_lo, s2
	s_cbranch_execz .LBB131_18
; %bb.14:
	s_lshl_b64 s[18:19], s[8:9], 6
	v_add_co_u32 v5, s2, v11, s18
	v_add_co_ci_u32_e64 v6, null, s19, v12, s2
	v_add_co_u32 v3, s2, v5, v3
	v_add_co_ci_u32_e64 v4, null, v6, v4, s2
	s_and_saveexec_b32 s2, vcc_lo
	s_cbranch_execz .LBB131_16
; %bb.15:
	v_mul_f32_e32 v5, s3, v8
	flat_store_dword v[3:4], v5
.LBB131_16:
	s_or_b32 exec_lo, exec_lo, s2
	s_and_b32 exec_lo, exec_lo, s1
	s_cbranch_execz .LBB131_18
; %bb.17:
	v_mul_f32_e32 v5, s3, v7
	flat_store_dword v[3:4], v5 offset:64
.LBB131_18:
	s_or_b32 exec_lo, exec_lo, s10
	s_cbranch_execz .LBB131_21
.LBB131_19:
	s_endpgm
.LBB131_20:
.LBB131_21:
	s_and_saveexec_b32 s1, s0
	s_cbranch_execz .LBB131_19
; %bb.22:
	v_mul_lo_u32 v5, v2, s14
	v_mul_lo_u32 v6, v1, s15
	v_mad_u64_u32 v[3:4], null, v1, s14, 0
	v_mul_lo_u32 v13, v2, s8
	v_mul_lo_u32 v14, v1, s9
	v_mad_u64_u32 v[11:12], null, v1, s8, 0
	s_lshl_b64 s[0:1], s[16:17], 2
	v_add3_u32 v4, v4, v6, v5
	v_add_co_u32 v5, s2, s6, v0
	v_add_co_ci_u32_e64 v6, null, s7, 0, s2
	v_add3_u32 v12, v12, v14, v13
	v_lshlrev_b64 v[3:4], 2, v[3:4]
	s_add_u32 s0, s12, s0
	s_addc_u32 s1, s13, s1
	v_cmp_gt_i64_e32 vcc_lo, s[28:29], v[5:6]
	v_lshlrev_b64 v[12:13], 2, v[11:12]
	v_add_co_u32 v0, s0, s0, v3
	v_add_co_ci_u32_e64 v11, null, s1, v4, s0
	v_add_co_u32 v12, s0, s4, v12
	v_lshlrev_b64 v[3:4], 2, v[5:6]
	v_add_co_ci_u32_e64 v13, null, s5, v13, s0
	s_and_saveexec_b32 s1, vcc_lo
	s_cbranch_execz .LBB131_24
; %bb.23:
	v_add_co_u32 v14, s0, v0, v3
	v_add_co_ci_u32_e64 v15, null, v11, v4, s0
	flat_load_dword v14, v[14:15]
	s_waitcnt vmcnt(0) lgkmcnt(0)
	v_mul_f32_e32 v16, s20, v14
	v_add_co_u32 v14, s0, v12, v3
	v_add_co_ci_u32_e64 v15, null, v13, v4, s0
	v_fmac_f32_e32 v16, s3, v10
	flat_store_dword v[14:15], v16
.LBB131_24:
	s_or_b32 exec_lo, exec_lo, s1
	v_add_co_u32 v5, s0, v5, 16
	v_add_co_ci_u32_e64 v6, null, 0, v6, s0
	v_cmp_gt_i64_e64 s0, s[28:29], v[5:6]
	s_and_saveexec_b32 s2, s0
	s_cbranch_execz .LBB131_26
; %bb.25:
	v_add_co_u32 v5, s1, v0, v3
	v_add_co_ci_u32_e64 v6, null, v11, v4, s1
	flat_load_dword v5, v[5:6] offset:64
	s_waitcnt vmcnt(0) lgkmcnt(0)
	v_mul_f32_e32 v10, s20, v5
	v_add_co_u32 v5, s1, v12, v3
	v_add_co_ci_u32_e64 v6, null, v13, v4, s1
	v_fmac_f32_e32 v10, s3, v9
	flat_store_dword v[5:6], v10 offset:64
.LBB131_26:
	s_or_b32 exec_lo, exec_lo, s2
	v_add_co_u32 v1, s1, v1, 16
	v_add_co_ci_u32_e64 v2, null, 0, v2, s1
	v_cmp_gt_i64_e64 s1, s[30:31], v[1:2]
	s_and_b32 exec_lo, exec_lo, s1
	s_cbranch_execz .LBB131_19
; %bb.27:
	s_lshl_b64 s[4:5], s[14:15], 6
	v_add_co_u32 v0, s1, v0, s4
	v_add_co_ci_u32_e64 v1, null, s5, v11, s1
	s_lshl_b64 s[4:5], s[8:9], 6
	v_add_co_u32 v2, s1, v12, s4
	v_add_co_ci_u32_e64 v5, null, s5, v13, s1
	v_add_co_u32 v0, s1, v0, v3
	v_add_co_ci_u32_e64 v1, null, v1, v4, s1
	;; [unrolled: 2-line block ×3, first 2 shown]
	s_and_saveexec_b32 s1, vcc_lo
	s_cbranch_execz .LBB131_29
; %bb.28:
	flat_load_dword v4, v[0:1]
	s_waitcnt vmcnt(0) lgkmcnt(0)
	v_mul_f32_e32 v4, s20, v4
	v_fmac_f32_e32 v4, s3, v8
	flat_store_dword v[2:3], v4
.LBB131_29:
	s_or_b32 exec_lo, exec_lo, s1
	s_and_b32 exec_lo, exec_lo, s0
	s_cbranch_execz .LBB131_19
; %bb.30:
	flat_load_dword v0, v[0:1] offset:64
	s_waitcnt vmcnt(0) lgkmcnt(0)
	v_mul_f32_e32 v0, s20, v0
	v_fmac_f32_e32 v0, s3, v7
	flat_store_dword v[2:3], v0 offset:64
	s_endpgm
	.section	.rodata,"a",@progbits
	.p2align	6, 0x0
	.amdhsa_kernel _ZN12_GLOBAL__N_135rocblas_gemm_batched_general_kernelIfLi16ELi16ELi32ELi32ELi8ELi32ELi8ELi8ELi32ELc84ELc78EKPKDF16_KPKfKPfEEvlllT_PT11_llSB_llS9_PT12_llPT13_lli
		.amdhsa_group_segment_fixed_size 2048
		.amdhsa_private_segment_fixed_size 0
		.amdhsa_kernarg_size 140
		.amdhsa_user_sgpr_count 6
		.amdhsa_user_sgpr_private_segment_buffer 1
		.amdhsa_user_sgpr_dispatch_ptr 0
		.amdhsa_user_sgpr_queue_ptr 0
		.amdhsa_user_sgpr_kernarg_segment_ptr 1
		.amdhsa_user_sgpr_dispatch_id 0
		.amdhsa_user_sgpr_flat_scratch_init 0
		.amdhsa_user_sgpr_private_segment_size 0
		.amdhsa_wavefront_size32 1
		.amdhsa_uses_dynamic_stack 0
		.amdhsa_system_sgpr_private_segment_wavefront_offset 0
		.amdhsa_system_sgpr_workgroup_id_x 1
		.amdhsa_system_sgpr_workgroup_id_y 1
		.amdhsa_system_sgpr_workgroup_id_z 1
		.amdhsa_system_sgpr_workgroup_info 0
		.amdhsa_system_vgpr_workitem_id 1
		.amdhsa_next_free_vgpr 44
		.amdhsa_next_free_sgpr 40
		.amdhsa_reserve_vcc 1
		.amdhsa_reserve_flat_scratch 0
		.amdhsa_float_round_mode_32 0
		.amdhsa_float_round_mode_16_64 0
		.amdhsa_float_denorm_mode_32 3
		.amdhsa_float_denorm_mode_16_64 3
		.amdhsa_dx10_clamp 1
		.amdhsa_ieee_mode 1
		.amdhsa_fp16_overflow 0
		.amdhsa_workgroup_processor_mode 1
		.amdhsa_memory_ordered 1
		.amdhsa_forward_progress 1
		.amdhsa_shared_vgpr_count 0
		.amdhsa_exception_fp_ieee_invalid_op 0
		.amdhsa_exception_fp_denorm_src 0
		.amdhsa_exception_fp_ieee_div_zero 0
		.amdhsa_exception_fp_ieee_overflow 0
		.amdhsa_exception_fp_ieee_underflow 0
		.amdhsa_exception_fp_ieee_inexact 0
		.amdhsa_exception_int_div_zero 0
	.end_amdhsa_kernel
	.section	.text._ZN12_GLOBAL__N_135rocblas_gemm_batched_general_kernelIfLi16ELi16ELi32ELi32ELi8ELi32ELi8ELi8ELi32ELc84ELc78EKPKDF16_KPKfKPfEEvlllT_PT11_llSB_llS9_PT12_llPT13_lli,"axG",@progbits,_ZN12_GLOBAL__N_135rocblas_gemm_batched_general_kernelIfLi16ELi16ELi32ELi32ELi8ELi32ELi8ELi8ELi32ELc84ELc78EKPKDF16_KPKfKPfEEvlllT_PT11_llSB_llS9_PT12_llPT13_lli,comdat
.Lfunc_end131:
	.size	_ZN12_GLOBAL__N_135rocblas_gemm_batched_general_kernelIfLi16ELi16ELi32ELi32ELi8ELi32ELi8ELi8ELi32ELc84ELc78EKPKDF16_KPKfKPfEEvlllT_PT11_llSB_llS9_PT12_llPT13_lli, .Lfunc_end131-_ZN12_GLOBAL__N_135rocblas_gemm_batched_general_kernelIfLi16ELi16ELi32ELi32ELi8ELi32ELi8ELi8ELi32ELc84ELc78EKPKDF16_KPKfKPfEEvlllT_PT11_llSB_llS9_PT12_llPT13_lli
                                        ; -- End function
	.set _ZN12_GLOBAL__N_135rocblas_gemm_batched_general_kernelIfLi16ELi16ELi32ELi32ELi8ELi32ELi8ELi8ELi32ELc84ELc78EKPKDF16_KPKfKPfEEvlllT_PT11_llSB_llS9_PT12_llPT13_lli.num_vgpr, 44
	.set _ZN12_GLOBAL__N_135rocblas_gemm_batched_general_kernelIfLi16ELi16ELi32ELi32ELi8ELi32ELi8ELi8ELi32ELc84ELc78EKPKDF16_KPKfKPfEEvlllT_PT11_llSB_llS9_PT12_llPT13_lli.num_agpr, 0
	.set _ZN12_GLOBAL__N_135rocblas_gemm_batched_general_kernelIfLi16ELi16ELi32ELi32ELi8ELi32ELi8ELi8ELi32ELc84ELc78EKPKDF16_KPKfKPfEEvlllT_PT11_llSB_llS9_PT12_llPT13_lli.numbered_sgpr, 40
	.set _ZN12_GLOBAL__N_135rocblas_gemm_batched_general_kernelIfLi16ELi16ELi32ELi32ELi8ELi32ELi8ELi8ELi32ELc84ELc78EKPKDF16_KPKfKPfEEvlllT_PT11_llSB_llS9_PT12_llPT13_lli.num_named_barrier, 0
	.set _ZN12_GLOBAL__N_135rocblas_gemm_batched_general_kernelIfLi16ELi16ELi32ELi32ELi8ELi32ELi8ELi8ELi32ELc84ELc78EKPKDF16_KPKfKPfEEvlllT_PT11_llSB_llS9_PT12_llPT13_lli.private_seg_size, 0
	.set _ZN12_GLOBAL__N_135rocblas_gemm_batched_general_kernelIfLi16ELi16ELi32ELi32ELi8ELi32ELi8ELi8ELi32ELc84ELc78EKPKDF16_KPKfKPfEEvlllT_PT11_llSB_llS9_PT12_llPT13_lli.uses_vcc, 1
	.set _ZN12_GLOBAL__N_135rocblas_gemm_batched_general_kernelIfLi16ELi16ELi32ELi32ELi8ELi32ELi8ELi8ELi32ELc84ELc78EKPKDF16_KPKfKPfEEvlllT_PT11_llSB_llS9_PT12_llPT13_lli.uses_flat_scratch, 0
	.set _ZN12_GLOBAL__N_135rocblas_gemm_batched_general_kernelIfLi16ELi16ELi32ELi32ELi8ELi32ELi8ELi8ELi32ELc84ELc78EKPKDF16_KPKfKPfEEvlllT_PT11_llSB_llS9_PT12_llPT13_lli.has_dyn_sized_stack, 0
	.set _ZN12_GLOBAL__N_135rocblas_gemm_batched_general_kernelIfLi16ELi16ELi32ELi32ELi8ELi32ELi8ELi8ELi32ELc84ELc78EKPKDF16_KPKfKPfEEvlllT_PT11_llSB_llS9_PT12_llPT13_lli.has_recursion, 0
	.set _ZN12_GLOBAL__N_135rocblas_gemm_batched_general_kernelIfLi16ELi16ELi32ELi32ELi8ELi32ELi8ELi8ELi32ELc84ELc78EKPKDF16_KPKfKPfEEvlllT_PT11_llSB_llS9_PT12_llPT13_lli.has_indirect_call, 0
	.section	.AMDGPU.csdata,"",@progbits
; Kernel info:
; codeLenInByte = 1908
; TotalNumSgprs: 42
; NumVgprs: 44
; ScratchSize: 0
; MemoryBound: 0
; FloatMode: 240
; IeeeMode: 1
; LDSByteSize: 2048 bytes/workgroup (compile time only)
; SGPRBlocks: 0
; VGPRBlocks: 5
; NumSGPRsForWavesPerEU: 42
; NumVGPRsForWavesPerEU: 44
; Occupancy: 16
; WaveLimiterHint : 1
; COMPUTE_PGM_RSRC2:SCRATCH_EN: 0
; COMPUTE_PGM_RSRC2:USER_SGPR: 6
; COMPUTE_PGM_RSRC2:TRAP_HANDLER: 0
; COMPUTE_PGM_RSRC2:TGID_X_EN: 1
; COMPUTE_PGM_RSRC2:TGID_Y_EN: 1
; COMPUTE_PGM_RSRC2:TGID_Z_EN: 1
; COMPUTE_PGM_RSRC2:TIDIG_COMP_CNT: 1
	.section	.text._ZN12_GLOBAL__N_135rocblas_gemm_batched_general_kernelIfLi16ELi16ELi32ELi32ELi8ELi32ELi8ELi8ELi32ELc78ELc84EKPKDF16_KPKfKPfEEvlllT_PT11_llSB_llS9_PT12_llPT13_lli,"axG",@progbits,_ZN12_GLOBAL__N_135rocblas_gemm_batched_general_kernelIfLi16ELi16ELi32ELi32ELi8ELi32ELi8ELi8ELi32ELc78ELc84EKPKDF16_KPKfKPfEEvlllT_PT11_llSB_llS9_PT12_llPT13_lli,comdat
	.globl	_ZN12_GLOBAL__N_135rocblas_gemm_batched_general_kernelIfLi16ELi16ELi32ELi32ELi8ELi32ELi8ELi8ELi32ELc78ELc84EKPKDF16_KPKfKPfEEvlllT_PT11_llSB_llS9_PT12_llPT13_lli ; -- Begin function _ZN12_GLOBAL__N_135rocblas_gemm_batched_general_kernelIfLi16ELi16ELi32ELi32ELi8ELi32ELi8ELi8ELi32ELc78ELc84EKPKDF16_KPKfKPfEEvlllT_PT11_llSB_llS9_PT12_llPT13_lli
	.p2align	8
	.type	_ZN12_GLOBAL__N_135rocblas_gemm_batched_general_kernelIfLi16ELi16ELi32ELi32ELi8ELi32ELi8ELi8ELi32ELc78ELc84EKPKDF16_KPKfKPfEEvlllT_PT11_llSB_llS9_PT12_llPT13_lli,@function
_ZN12_GLOBAL__N_135rocblas_gemm_batched_general_kernelIfLi16ELi16ELi32ELi32ELi8ELi32ELi8ELi8ELi32ELc78ELc84EKPKDF16_KPKfKPfEEvlllT_PT11_llSB_llS9_PT12_llPT13_lli: ; @_ZN12_GLOBAL__N_135rocblas_gemm_batched_general_kernelIfLi16ELi16ELi32ELi32ELi8ELi32ELi8ELi8ELi32ELc78ELc84EKPKDF16_KPKfKPfEEvlllT_PT11_llSB_llS9_PT12_llPT13_lli
; %bb.0:
	s_clause 0x1
	s_load_dwordx8 s[12:19], s[4:5], 0x58
	s_load_dwordx2 s[34:35], s[4:5], 0x10
	s_mov_b32 s9, 0
	s_load_dwordx4 s[28:31], s[4:5], 0x0
	s_lshl_b64 s[44:45], s[8:9], 3
	s_load_dwordx4 s[8:11], s[4:5], 0x78
	s_mov_b32 s42, s7
	v_mov_b32_e32 v10, 0
	v_mov_b32_e32 v9, 0
	v_mov_b32_e32 v8, 0
	v_mov_b32_e32 v7, 0
	s_waitcnt lgkmcnt(0)
	s_add_u32 s0, s12, s44
	s_addc_u32 s1, s13, s45
	s_add_u32 s2, s18, s44
	s_addc_u32 s3, s19, s45
	s_load_dwordx2 s[12:13], s[0:1], 0x0
	s_load_dwordx2 s[2:3], s[2:3], 0x0
	v_cmp_lt_i64_e64 s0, s[34:35], 1
	s_ashr_i32 s7, s6, 31
	s_ashr_i32 s43, s42, 31
	s_lshl_b64 s[18:19], s[6:7], 5
	s_lshl_b64 s[40:41], s[42:43], 5
	s_and_b32 vcc_lo, exec_lo, s0
	s_cbranch_vccnz .LBB132_7
; %bb.1:
	s_clause 0x1
	s_load_dwordx4 s[36:39], s[4:5], 0x40
	s_load_dwordx8 s[20:27], s[4:5], 0x20
	v_lshl_add_u32 v2, v1, 4, v0
	v_and_b32_e32 v6, 7, v0
	v_mov_b32_e32 v3, s19
	v_mov_b32_e32 v7, 0
	v_lshlrev_b32_e32 v11, 2, v0
	v_lshrrev_b32_e32 v13, 5, v2
	v_and_b32_e32 v18, 31, v2
	v_lshrrev_b32_e32 v10, 3, v2
	v_lshlrev_b32_e32 v14, 2, v6
	v_lshl_add_u32 v12, v1, 5, 0x400
	v_or_b32_e32 v2, s18, v18
	v_add_co_u32 v4, s0, v10, s40
	v_add_co_ci_u32_e64 v5, null, 0, s41, s0
	v_cmp_gt_i64_e64 s0, s[28:29], v[2:3]
	v_lshl_or_b32 v19, v10, 5, v14
	s_waitcnt lgkmcnt(0)
	v_mad_u64_u32 v[8:9], null, s36, v6, 0
	v_mad_u64_u32 v[16:17], null, s22, v13, 0
	v_cmp_gt_i64_e64 s1, s[30:31], v[4:5]
	s_add_u32 s26, s26, s44
	s_addc_u32 s27, s27, s45
	s_add_u32 s20, s20, s44
	v_mov_b32_e32 v2, v9
	s_load_dwordx2 s[26:27], s[26:27], 0x0
	v_mov_b32_e32 v3, v17
	s_addc_u32 s21, s21, s45
	s_lshl_b64 s[42:43], s[42:43], 6
	s_load_dwordx2 s[20:21], s[20:21], 0x0
	s_lshl_b64 s[38:39], s[38:39], 1
	v_mad_u64_u32 v[4:5], null, s37, v6, v[2:3]
	s_add_u32 s33, s38, s42
	s_addc_u32 s42, s39, s43
	s_lshl_b64 s[38:39], s[6:7], 6
	s_lshl_b64 s[24:25], s[24:25], 1
	;; [unrolled: 1-line block ×3, first 2 shown]
	v_lshlrev_b32_e32 v10, 1, v10
	v_mad_u64_u32 v[2:3], null, s23, v13, v[3:4]
	v_mov_b32_e32 v9, v4
	s_add_u32 s24, s24, s38
	s_addc_u32 s25, s25, s39
	v_lshlrev_b32_e32 v15, 2, v18
	v_mov_b32_e32 v17, v2
	v_lshlrev_b64 v[2:3], 1, v[8:9]
	v_lshlrev_b32_e32 v8, 1, v18
	v_lshl_or_b32 v14, v13, 7, v15
	v_add_nc_u32_e32 v15, 0x400, v19
	v_lshlrev_b64 v[4:5], 1, v[16:17]
	v_mov_b32_e32 v9, 0
	v_add_co_u32 v2, vcc_lo, s33, v2
	v_add_co_ci_u32_e64 v3, null, s42, v3, vcc_lo
	v_add_co_u32 v4, vcc_lo, s24, v4
	v_add_co_ci_u32_e64 v5, null, s25, v5, vcc_lo
	;; [unrolled: 2-line block ×4, first 2 shown]
	s_waitcnt lgkmcnt(0)
	v_add_co_u32 v2, vcc_lo, s26, v2
	v_add_co_ci_u32_e64 v3, null, s27, v3, vcc_lo
	v_add_co_u32 v4, vcc_lo, s20, v4
	v_add_co_ci_u32_e64 v5, null, s21, v5, vcc_lo
	v_mov_b32_e32 v8, 0
	v_mov_b32_e32 v10, 0
	s_lshl_b64 s[20:21], s[22:23], 4
	s_mov_b64 s[22:23], 0
	s_branch .LBB132_3
.LBB132_2:                              ;   in Loop: Header=BB132_3 Depth=1
	s_or_b32 exec_lo, exec_lo, s24
	ds_write_b32 v15, v17
	s_waitcnt lgkmcnt(0)
	s_barrier
	buffer_gl0_inv
	ds_read_b128 v[16:19], v12
	ds_read2_b32 v[32:33], v11 offset1:16
	ds_read_b128 v[20:23], v12 offset:512
	ds_read2_b32 v[34:35], v11 offset0:32 offset1:48
	ds_read2_b32 v[36:37], v11 offset0:64 offset1:80
	;; [unrolled: 1-line block ×3, first 2 shown]
	ds_read_b128 v[24:27], v12 offset:16
	ds_read2_b32 v[40:41], v11 offset0:128 offset1:144
	ds_read_b128 v[28:31], v12 offset:528
	ds_read2_b32 v[42:43], v11 offset0:160 offset1:176
	s_add_u32 s22, s22, 8
	s_addc_u32 s23, s23, 0
	v_add_co_u32 v2, vcc_lo, v2, s6
	v_cmp_lt_i64_e64 s24, s[22:23], s[34:35]
	v_add_co_ci_u32_e64 v3, null, s7, v3, vcc_lo
	v_add_co_u32 v4, vcc_lo, v4, s20
	v_add_co_ci_u32_e64 v5, null, s21, v5, vcc_lo
	s_waitcnt lgkmcnt(8)
	v_fmac_f32_e32 v10, v32, v16
	v_fmac_f32_e32 v9, v33, v16
	s_waitcnt lgkmcnt(7)
	v_fmac_f32_e32 v8, v32, v20
	v_fmac_f32_e32 v7, v33, v20
	ds_read2_b32 v[32:33], v11 offset0:192 offset1:208
	s_waitcnt lgkmcnt(7)
	v_fmac_f32_e32 v10, v34, v17
	v_fmac_f32_e32 v9, v35, v17
	;; [unrolled: 1-line block ×4, first 2 shown]
	ds_read2_b32 v[16:17], v11 offset0:224 offset1:240
	s_waitcnt lgkmcnt(7)
	v_fmac_f32_e32 v10, v36, v18
	v_fmac_f32_e32 v9, v37, v18
	;; [unrolled: 1-line block ×4, first 2 shown]
	s_and_b32 vcc_lo, exec_lo, s24
	s_waitcnt lgkmcnt(6)
	v_fmac_f32_e32 v10, v38, v19
	v_fmac_f32_e32 v9, v39, v19
	;; [unrolled: 1-line block ×4, first 2 shown]
	s_waitcnt lgkmcnt(0)
	v_fmac_f32_e32 v10, v40, v24
	v_fmac_f32_e32 v9, v41, v24
	;; [unrolled: 1-line block ×4, first 2 shown]
	s_barrier
	v_fmac_f32_e32 v10, v42, v25
	v_fmac_f32_e32 v9, v43, v25
	;; [unrolled: 1-line block ×4, first 2 shown]
	buffer_gl0_inv
	v_fmac_f32_e32 v10, v32, v26
	v_fmac_f32_e32 v9, v33, v26
	;; [unrolled: 1-line block ×8, first 2 shown]
	s_cbranch_vccz .LBB132_7
.LBB132_3:                              ; =>This Inner Loop Header: Depth=1
	v_add_co_u32 v16, s24, v13, s22
	v_add_co_ci_u32_e64 v17, null, 0, s23, s24
	v_cmp_gt_i64_e32 vcc_lo, s[34:35], v[16:17]
	v_mov_b32_e32 v16, 0
	s_and_b32 s25, s0, vcc_lo
	s_and_saveexec_b32 s24, s25
	s_cbranch_execz .LBB132_5
; %bb.4:                                ;   in Loop: Header=BB132_3 Depth=1
	flat_load_ushort v16, v[4:5]
	s_waitcnt vmcnt(0) lgkmcnt(0)
	v_cvt_f32_f16_e32 v16, v16
.LBB132_5:                              ;   in Loop: Header=BB132_3 Depth=1
	s_or_b32 exec_lo, exec_lo, s24
	v_add_co_u32 v17, s24, v6, s22
	v_add_co_ci_u32_e64 v18, null, 0, s23, s24
	ds_write_b32 v14, v16
	v_cmp_gt_i64_e32 vcc_lo, s[34:35], v[17:18]
	v_mov_b32_e32 v17, 0
	s_and_b32 s25, vcc_lo, s1
	s_and_saveexec_b32 s24, s25
	s_cbranch_execz .LBB132_2
; %bb.6:                                ;   in Loop: Header=BB132_3 Depth=1
	flat_load_ushort v16, v[2:3]
	s_waitcnt vmcnt(0) lgkmcnt(0)
	v_cvt_f32_f16_e32 v17, v16
	s_branch .LBB132_2
.LBB132_7:
	s_clause 0x1
	s_load_dword s6, s[4:5], 0x50
	s_load_dword s4, s[4:5], 0x18
	v_add_co_u32 v1, s5, s40, v1
	v_add_co_ci_u32_e64 v2, null, s41, 0, s5
	s_lshl_b64 s[0:1], s[10:11], 2
	s_waitcnt lgkmcnt(0)
	s_add_u32 s5, s2, s0
	v_cmp_gt_i64_e64 s0, s[30:31], v[1:2]
	s_addc_u32 s3, s3, s1
	v_cmp_neq_f32_e64 s7, s6, 0
	s_and_b32 vcc_lo, exec_lo, s7
	s_cbranch_vccnz .LBB132_20
; %bb.8:
	s_and_saveexec_b32 s7, s0
	s_cbranch_execz .LBB132_18
; %bb.9:
	v_mul_lo_u32 v5, v2, s8
	v_mul_lo_u32 v6, v1, s9
	v_mad_u64_u32 v[3:4], null, v1, s8, 0
	v_add3_u32 v4, v4, v6, v5
	v_add_co_u32 v5, s1, s18, v0
	v_add_co_ci_u32_e64 v6, null, s19, 0, s1
	v_lshlrev_b64 v[11:12], 2, v[3:4]
	v_cmp_gt_i64_e32 vcc_lo, s[28:29], v[5:6]
	v_lshlrev_b64 v[3:4], 2, v[5:6]
	v_add_co_u32 v11, s1, s5, v11
	v_add_co_ci_u32_e64 v12, null, s3, v12, s1
	s_and_saveexec_b32 s2, vcc_lo
	s_cbranch_execz .LBB132_11
; %bb.10:
	v_add_co_u32 v13, s1, v11, v3
	v_add_co_ci_u32_e64 v14, null, v12, v4, s1
	v_mul_f32_e32 v15, s4, v10
	flat_store_dword v[13:14], v15
.LBB132_11:
	s_or_b32 exec_lo, exec_lo, s2
	v_add_co_u32 v5, s1, v5, 16
	v_add_co_ci_u32_e64 v6, null, 0, v6, s1
	v_cmp_gt_i64_e64 s1, s[28:29], v[5:6]
	s_and_saveexec_b32 s10, s1
	s_cbranch_execz .LBB132_13
; %bb.12:
	v_add_co_u32 v5, s2, v11, v3
	v_add_co_ci_u32_e64 v6, null, v12, v4, s2
	v_mul_f32_e32 v13, s4, v9
	flat_store_dword v[5:6], v13 offset:64
.LBB132_13:
	s_or_b32 exec_lo, exec_lo, s10
	v_add_co_u32 v5, s2, v1, 16
	v_add_co_ci_u32_e64 v6, null, 0, v2, s2
	v_cmp_gt_i64_e64 s2, s[30:31], v[5:6]
	s_and_b32 exec_lo, exec_lo, s2
	s_cbranch_execz .LBB132_18
; %bb.14:
	s_lshl_b64 s[10:11], s[8:9], 6
	v_add_co_u32 v5, s2, v11, s10
	v_add_co_ci_u32_e64 v6, null, s11, v12, s2
	v_add_co_u32 v3, s2, v5, v3
	v_add_co_ci_u32_e64 v4, null, v6, v4, s2
	s_and_saveexec_b32 s2, vcc_lo
	s_cbranch_execz .LBB132_16
; %bb.15:
	v_mul_f32_e32 v5, s4, v8
	flat_store_dword v[3:4], v5
.LBB132_16:
	s_or_b32 exec_lo, exec_lo, s2
	s_and_b32 exec_lo, exec_lo, s1
	s_cbranch_execz .LBB132_18
; %bb.17:
	v_mul_f32_e32 v5, s4, v7
	flat_store_dword v[3:4], v5 offset:64
.LBB132_18:
	s_or_b32 exec_lo, exec_lo, s7
	s_cbranch_execz .LBB132_21
.LBB132_19:
	s_endpgm
.LBB132_20:
.LBB132_21:
	s_and_saveexec_b32 s1, s0
	s_cbranch_execz .LBB132_19
; %bb.22:
	v_mul_lo_u32 v5, v2, s14
	v_mul_lo_u32 v6, v1, s15
	v_mad_u64_u32 v[3:4], null, v1, s14, 0
	v_mul_lo_u32 v13, v2, s8
	v_mul_lo_u32 v14, v1, s9
	v_mad_u64_u32 v[11:12], null, v1, s8, 0
	s_lshl_b64 s[0:1], s[16:17], 2
	v_add3_u32 v4, v4, v6, v5
	v_add_co_u32 v5, s2, s18, v0
	v_add_co_ci_u32_e64 v6, null, s19, 0, s2
	v_add3_u32 v12, v12, v14, v13
	v_lshlrev_b64 v[3:4], 2, v[3:4]
	s_add_u32 s0, s12, s0
	s_addc_u32 s1, s13, s1
	v_cmp_gt_i64_e32 vcc_lo, s[28:29], v[5:6]
	v_lshlrev_b64 v[12:13], 2, v[11:12]
	v_add_co_u32 v0, s0, s0, v3
	v_add_co_ci_u32_e64 v11, null, s1, v4, s0
	v_add_co_u32 v12, s0, s5, v12
	v_lshlrev_b64 v[3:4], 2, v[5:6]
	v_add_co_ci_u32_e64 v13, null, s3, v13, s0
	s_and_saveexec_b32 s1, vcc_lo
	s_cbranch_execz .LBB132_24
; %bb.23:
	v_add_co_u32 v14, s0, v0, v3
	v_add_co_ci_u32_e64 v15, null, v11, v4, s0
	flat_load_dword v14, v[14:15]
	s_waitcnt vmcnt(0) lgkmcnt(0)
	v_mul_f32_e32 v16, s6, v14
	v_add_co_u32 v14, s0, v12, v3
	v_add_co_ci_u32_e64 v15, null, v13, v4, s0
	v_fmac_f32_e32 v16, s4, v10
	flat_store_dword v[14:15], v16
.LBB132_24:
	s_or_b32 exec_lo, exec_lo, s1
	v_add_co_u32 v5, s0, v5, 16
	v_add_co_ci_u32_e64 v6, null, 0, v6, s0
	v_cmp_gt_i64_e64 s0, s[28:29], v[5:6]
	s_and_saveexec_b32 s2, s0
	s_cbranch_execz .LBB132_26
; %bb.25:
	v_add_co_u32 v5, s1, v0, v3
	v_add_co_ci_u32_e64 v6, null, v11, v4, s1
	flat_load_dword v5, v[5:6] offset:64
	s_waitcnt vmcnt(0) lgkmcnt(0)
	v_mul_f32_e32 v10, s6, v5
	v_add_co_u32 v5, s1, v12, v3
	v_add_co_ci_u32_e64 v6, null, v13, v4, s1
	v_fmac_f32_e32 v10, s4, v9
	flat_store_dword v[5:6], v10 offset:64
.LBB132_26:
	s_or_b32 exec_lo, exec_lo, s2
	v_add_co_u32 v1, s1, v1, 16
	v_add_co_ci_u32_e64 v2, null, 0, v2, s1
	v_cmp_gt_i64_e64 s1, s[30:31], v[1:2]
	s_and_b32 exec_lo, exec_lo, s1
	s_cbranch_execz .LBB132_19
; %bb.27:
	s_lshl_b64 s[2:3], s[14:15], 6
	v_add_co_u32 v0, s1, v0, s2
	v_add_co_ci_u32_e64 v1, null, s3, v11, s1
	s_lshl_b64 s[2:3], s[8:9], 6
	v_add_co_u32 v2, s1, v12, s2
	v_add_co_ci_u32_e64 v5, null, s3, v13, s1
	v_add_co_u32 v0, s1, v0, v3
	v_add_co_ci_u32_e64 v1, null, v1, v4, s1
	;; [unrolled: 2-line block ×3, first 2 shown]
	s_and_saveexec_b32 s1, vcc_lo
	s_cbranch_execz .LBB132_29
; %bb.28:
	flat_load_dword v4, v[0:1]
	s_waitcnt vmcnt(0) lgkmcnt(0)
	v_mul_f32_e32 v4, s6, v4
	v_fmac_f32_e32 v4, s4, v8
	flat_store_dword v[2:3], v4
.LBB132_29:
	s_or_b32 exec_lo, exec_lo, s1
	s_and_b32 exec_lo, exec_lo, s0
	s_cbranch_execz .LBB132_19
; %bb.30:
	flat_load_dword v0, v[0:1] offset:64
	s_waitcnt vmcnt(0) lgkmcnt(0)
	v_mul_f32_e32 v0, s6, v0
	v_fmac_f32_e32 v0, s4, v7
	flat_store_dword v[2:3], v0 offset:64
	s_endpgm
	.section	.rodata,"a",@progbits
	.p2align	6, 0x0
	.amdhsa_kernel _ZN12_GLOBAL__N_135rocblas_gemm_batched_general_kernelIfLi16ELi16ELi32ELi32ELi8ELi32ELi8ELi8ELi32ELc78ELc84EKPKDF16_KPKfKPfEEvlllT_PT11_llSB_llS9_PT12_llPT13_lli
		.amdhsa_group_segment_fixed_size 2048
		.amdhsa_private_segment_fixed_size 0
		.amdhsa_kernarg_size 140
		.amdhsa_user_sgpr_count 6
		.amdhsa_user_sgpr_private_segment_buffer 1
		.amdhsa_user_sgpr_dispatch_ptr 0
		.amdhsa_user_sgpr_queue_ptr 0
		.amdhsa_user_sgpr_kernarg_segment_ptr 1
		.amdhsa_user_sgpr_dispatch_id 0
		.amdhsa_user_sgpr_flat_scratch_init 0
		.amdhsa_user_sgpr_private_segment_size 0
		.amdhsa_wavefront_size32 1
		.amdhsa_uses_dynamic_stack 0
		.amdhsa_system_sgpr_private_segment_wavefront_offset 0
		.amdhsa_system_sgpr_workgroup_id_x 1
		.amdhsa_system_sgpr_workgroup_id_y 1
		.amdhsa_system_sgpr_workgroup_id_z 1
		.amdhsa_system_sgpr_workgroup_info 0
		.amdhsa_system_vgpr_workitem_id 1
		.amdhsa_next_free_vgpr 44
		.amdhsa_next_free_sgpr 46
		.amdhsa_reserve_vcc 1
		.amdhsa_reserve_flat_scratch 0
		.amdhsa_float_round_mode_32 0
		.amdhsa_float_round_mode_16_64 0
		.amdhsa_float_denorm_mode_32 3
		.amdhsa_float_denorm_mode_16_64 3
		.amdhsa_dx10_clamp 1
		.amdhsa_ieee_mode 1
		.amdhsa_fp16_overflow 0
		.amdhsa_workgroup_processor_mode 1
		.amdhsa_memory_ordered 1
		.amdhsa_forward_progress 1
		.amdhsa_shared_vgpr_count 0
		.amdhsa_exception_fp_ieee_invalid_op 0
		.amdhsa_exception_fp_denorm_src 0
		.amdhsa_exception_fp_ieee_div_zero 0
		.amdhsa_exception_fp_ieee_overflow 0
		.amdhsa_exception_fp_ieee_underflow 0
		.amdhsa_exception_fp_ieee_inexact 0
		.amdhsa_exception_int_div_zero 0
	.end_amdhsa_kernel
	.section	.text._ZN12_GLOBAL__N_135rocblas_gemm_batched_general_kernelIfLi16ELi16ELi32ELi32ELi8ELi32ELi8ELi8ELi32ELc78ELc84EKPKDF16_KPKfKPfEEvlllT_PT11_llSB_llS9_PT12_llPT13_lli,"axG",@progbits,_ZN12_GLOBAL__N_135rocblas_gemm_batched_general_kernelIfLi16ELi16ELi32ELi32ELi8ELi32ELi8ELi8ELi32ELc78ELc84EKPKDF16_KPKfKPfEEvlllT_PT11_llSB_llS9_PT12_llPT13_lli,comdat
.Lfunc_end132:
	.size	_ZN12_GLOBAL__N_135rocblas_gemm_batched_general_kernelIfLi16ELi16ELi32ELi32ELi8ELi32ELi8ELi8ELi32ELc78ELc84EKPKDF16_KPKfKPfEEvlllT_PT11_llSB_llS9_PT12_llPT13_lli, .Lfunc_end132-_ZN12_GLOBAL__N_135rocblas_gemm_batched_general_kernelIfLi16ELi16ELi32ELi32ELi8ELi32ELi8ELi8ELi32ELc78ELc84EKPKDF16_KPKfKPfEEvlllT_PT11_llSB_llS9_PT12_llPT13_lli
                                        ; -- End function
	.set _ZN12_GLOBAL__N_135rocblas_gemm_batched_general_kernelIfLi16ELi16ELi32ELi32ELi8ELi32ELi8ELi8ELi32ELc78ELc84EKPKDF16_KPKfKPfEEvlllT_PT11_llSB_llS9_PT12_llPT13_lli.num_vgpr, 44
	.set _ZN12_GLOBAL__N_135rocblas_gemm_batched_general_kernelIfLi16ELi16ELi32ELi32ELi8ELi32ELi8ELi8ELi32ELc78ELc84EKPKDF16_KPKfKPfEEvlllT_PT11_llSB_llS9_PT12_llPT13_lli.num_agpr, 0
	.set _ZN12_GLOBAL__N_135rocblas_gemm_batched_general_kernelIfLi16ELi16ELi32ELi32ELi8ELi32ELi8ELi8ELi32ELc78ELc84EKPKDF16_KPKfKPfEEvlllT_PT11_llSB_llS9_PT12_llPT13_lli.numbered_sgpr, 46
	.set _ZN12_GLOBAL__N_135rocblas_gemm_batched_general_kernelIfLi16ELi16ELi32ELi32ELi8ELi32ELi8ELi8ELi32ELc78ELc84EKPKDF16_KPKfKPfEEvlllT_PT11_llSB_llS9_PT12_llPT13_lli.num_named_barrier, 0
	.set _ZN12_GLOBAL__N_135rocblas_gemm_batched_general_kernelIfLi16ELi16ELi32ELi32ELi8ELi32ELi8ELi8ELi32ELc78ELc84EKPKDF16_KPKfKPfEEvlllT_PT11_llSB_llS9_PT12_llPT13_lli.private_seg_size, 0
	.set _ZN12_GLOBAL__N_135rocblas_gemm_batched_general_kernelIfLi16ELi16ELi32ELi32ELi8ELi32ELi8ELi8ELi32ELc78ELc84EKPKDF16_KPKfKPfEEvlllT_PT11_llSB_llS9_PT12_llPT13_lli.uses_vcc, 1
	.set _ZN12_GLOBAL__N_135rocblas_gemm_batched_general_kernelIfLi16ELi16ELi32ELi32ELi8ELi32ELi8ELi8ELi32ELc78ELc84EKPKDF16_KPKfKPfEEvlllT_PT11_llSB_llS9_PT12_llPT13_lli.uses_flat_scratch, 0
	.set _ZN12_GLOBAL__N_135rocblas_gemm_batched_general_kernelIfLi16ELi16ELi32ELi32ELi8ELi32ELi8ELi8ELi32ELc78ELc84EKPKDF16_KPKfKPfEEvlllT_PT11_llSB_llS9_PT12_llPT13_lli.has_dyn_sized_stack, 0
	.set _ZN12_GLOBAL__N_135rocblas_gemm_batched_general_kernelIfLi16ELi16ELi32ELi32ELi8ELi32ELi8ELi8ELi32ELc78ELc84EKPKDF16_KPKfKPfEEvlllT_PT11_llSB_llS9_PT12_llPT13_lli.has_recursion, 0
	.set _ZN12_GLOBAL__N_135rocblas_gemm_batched_general_kernelIfLi16ELi16ELi32ELi32ELi8ELi32ELi8ELi8ELi32ELc78ELc84EKPKDF16_KPKfKPfEEvlllT_PT11_llSB_llS9_PT12_llPT13_lli.has_indirect_call, 0
	.section	.AMDGPU.csdata,"",@progbits
; Kernel info:
; codeLenInByte = 1908
; TotalNumSgprs: 48
; NumVgprs: 44
; ScratchSize: 0
; MemoryBound: 0
; FloatMode: 240
; IeeeMode: 1
; LDSByteSize: 2048 bytes/workgroup (compile time only)
; SGPRBlocks: 0
; VGPRBlocks: 5
; NumSGPRsForWavesPerEU: 48
; NumVGPRsForWavesPerEU: 44
; Occupancy: 16
; WaveLimiterHint : 1
; COMPUTE_PGM_RSRC2:SCRATCH_EN: 0
; COMPUTE_PGM_RSRC2:USER_SGPR: 6
; COMPUTE_PGM_RSRC2:TRAP_HANDLER: 0
; COMPUTE_PGM_RSRC2:TGID_X_EN: 1
; COMPUTE_PGM_RSRC2:TGID_Y_EN: 1
; COMPUTE_PGM_RSRC2:TGID_Z_EN: 1
; COMPUTE_PGM_RSRC2:TIDIG_COMP_CNT: 1
	.section	.text._ZN12_GLOBAL__N_135rocblas_gemm_batched_general_kernelIfLi16ELi16ELi32ELi32ELi8ELi32ELi8ELi8ELi32ELc84ELc84EKPKDF16_KPKfKPfEEvlllT_PT11_llSB_llS9_PT12_llPT13_lli,"axG",@progbits,_ZN12_GLOBAL__N_135rocblas_gemm_batched_general_kernelIfLi16ELi16ELi32ELi32ELi8ELi32ELi8ELi8ELi32ELc84ELc84EKPKDF16_KPKfKPfEEvlllT_PT11_llSB_llS9_PT12_llPT13_lli,comdat
	.globl	_ZN12_GLOBAL__N_135rocblas_gemm_batched_general_kernelIfLi16ELi16ELi32ELi32ELi8ELi32ELi8ELi8ELi32ELc84ELc84EKPKDF16_KPKfKPfEEvlllT_PT11_llSB_llS9_PT12_llPT13_lli ; -- Begin function _ZN12_GLOBAL__N_135rocblas_gemm_batched_general_kernelIfLi16ELi16ELi32ELi32ELi8ELi32ELi8ELi8ELi32ELc84ELc84EKPKDF16_KPKfKPfEEvlllT_PT11_llSB_llS9_PT12_llPT13_lli
	.p2align	8
	.type	_ZN12_GLOBAL__N_135rocblas_gemm_batched_general_kernelIfLi16ELi16ELi32ELi32ELi8ELi32ELi8ELi8ELi32ELc84ELc84EKPKDF16_KPKfKPfEEvlllT_PT11_llSB_llS9_PT12_llPT13_lli,@function
_ZN12_GLOBAL__N_135rocblas_gemm_batched_general_kernelIfLi16ELi16ELi32ELi32ELi8ELi32ELi8ELi8ELi32ELc84ELc84EKPKDF16_KPKfKPfEEvlllT_PT11_llSB_llS9_PT12_llPT13_lli: ; @_ZN12_GLOBAL__N_135rocblas_gemm_batched_general_kernelIfLi16ELi16ELi32ELi32ELi8ELi32ELi8ELi8ELi32ELc84ELc84EKPKDF16_KPKfKPfEEvlllT_PT11_llSB_llS9_PT12_llPT13_lli
; %bb.0:
	s_clause 0x1
	s_load_dwordx8 s[12:19], s[4:5], 0x58
	s_load_dwordx2 s[34:35], s[4:5], 0x10
	s_mov_b32 s9, 0
	s_load_dwordx4 s[28:31], s[4:5], 0x0
	s_lshl_b64 s[42:43], s[8:9], 3
	s_load_dwordx4 s[8:11], s[4:5], 0x78
	s_mov_b32 s40, s7
	v_mov_b32_e32 v10, 0
	v_mov_b32_e32 v9, 0
	;; [unrolled: 1-line block ×4, first 2 shown]
	s_waitcnt lgkmcnt(0)
	s_add_u32 s0, s12, s42
	s_addc_u32 s1, s13, s43
	s_add_u32 s2, s18, s42
	s_addc_u32 s3, s19, s43
	s_load_dwordx2 s[12:13], s[0:1], 0x0
	s_load_dwordx2 s[2:3], s[2:3], 0x0
	v_cmp_lt_i64_e64 s0, s[34:35], 1
	s_ashr_i32 s7, s6, 31
	s_ashr_i32 s41, s40, 31
	s_lshl_b64 s[6:7], s[6:7], 5
	s_lshl_b64 s[18:19], s[40:41], 5
	s_and_b32 vcc_lo, exec_lo, s0
	s_cbranch_vccnz .LBB133_7
; %bb.1:
	s_clause 0x1
	s_load_dwordx4 s[36:39], s[4:5], 0x40
	s_load_dwordx8 s[20:27], s[4:5], 0x20
	v_lshl_add_u32 v2, v1, 4, v0
	v_and_b32_e32 v6, 7, v0
	v_mov_b32_e32 v3, s7
	v_mov_b32_e32 v7, 0
	v_lshlrev_b32_e32 v11, 2, v0
	v_and_b32_e32 v14, 31, v2
	v_lshrrev_b32_e32 v10, 3, v2
	v_lshrrev_b32_e32 v13, 5, v2
	v_lshlrev_b32_e32 v15, 2, v6
	v_lshl_add_u32 v12, v1, 5, 0x400
	v_or_b32_e32 v2, s6, v14
	v_add_co_u32 v4, s0, v10, s18
	v_add_co_ci_u32_e64 v5, null, 0, s19, s0
	v_add_co_u32 v17, s0, s6, v14
	v_add_co_ci_u32_e64 v18, null, s7, 0, s0
	s_waitcnt lgkmcnt(0)
	v_mad_u64_u32 v[8:9], null, s36, v6, 0
	v_cmp_gt_i64_e64 s0, s[28:29], v[2:3]
	v_lshlrev_b32_e32 v16, 2, v14
	v_cmp_gt_i64_e64 s1, s[30:31], v[4:5]
	v_mul_lo_u32 v5, s23, v17
	s_add_u32 s26, s26, s42
	s_addc_u32 s27, s27, s43
	v_mov_b32_e32 v2, v9
	v_lshl_or_b32 v14, v13, 7, v16
	v_mul_lo_u32 v16, s22, v18
	s_add_u32 s20, s20, s42
	s_addc_u32 s21, s21, s43
	v_mad_u64_u32 v[2:3], null, s37, v6, v[2:3]
	v_mad_u64_u32 v[3:4], null, s22, v17, 0
	s_load_dwordx2 s[22:23], s[26:27], 0x0
	s_load_dwordx2 s[20:21], s[20:21], 0x0
	s_lshl_b64 s[26:27], s[40:41], 6
	s_lshl_b64 s[38:39], s[38:39], 1
	v_mov_b32_e32 v9, v2
	s_add_u32 s26, s38, s26
	v_add3_u32 v4, v4, v16, v5
	s_addc_u32 s27, s39, s27
	s_lshl_b64 s[24:25], s[24:25], 1
	v_lshlrev_b64 v[8:9], 1, v[8:9]
	v_lshl_or_b32 v15, v10, 5, v15
	v_lshlrev_b64 v[2:3], 1, v[3:4]
	v_add_nc_u32_e32 v15, 0x400, v15
	v_add_co_u32 v4, vcc_lo, s26, v8
	v_lshlrev_b32_e32 v8, 1, v10
	v_add_co_ci_u32_e64 v5, null, s27, v9, vcc_lo
	v_add_co_u32 v2, vcc_lo, v2, s24
	v_lshlrev_b32_e32 v9, 1, v13
	v_add_co_ci_u32_e64 v3, null, s25, v3, vcc_lo
	v_add_co_u32 v4, vcc_lo, v4, v8
	v_add_co_ci_u32_e64 v5, null, 0, v5, vcc_lo
	v_add_co_u32 v8, vcc_lo, v2, v9
	v_add_co_ci_u32_e64 v9, null, 0, v3, vcc_lo
	s_waitcnt lgkmcnt(0)
	v_add_co_u32 v2, vcc_lo, s22, v4
	v_add_co_ci_u32_e64 v3, null, s23, v5, vcc_lo
	v_add_co_u32 v4, vcc_lo, s20, v8
	v_add_co_ci_u32_e64 v5, null, s21, v9, vcc_lo
	v_mov_b32_e32 v8, 0
	v_mov_b32_e32 v9, 0
	;; [unrolled: 1-line block ×3, first 2 shown]
	s_lshl_b64 s[20:21], s[36:37], 4
	s_mov_b64 s[22:23], 0
	s_branch .LBB133_3
.LBB133_2:                              ;   in Loop: Header=BB133_3 Depth=1
	s_or_b32 exec_lo, exec_lo, s24
	ds_write_b32 v15, v17
	s_waitcnt lgkmcnt(0)
	s_barrier
	buffer_gl0_inv
	ds_read_b128 v[16:19], v12
	ds_read2_b32 v[32:33], v11 offset1:16
	ds_read_b128 v[20:23], v12 offset:512
	ds_read2_b32 v[34:35], v11 offset0:32 offset1:48
	ds_read2_b32 v[36:37], v11 offset0:64 offset1:80
	;; [unrolled: 1-line block ×3, first 2 shown]
	ds_read_b128 v[24:27], v12 offset:16
	ds_read2_b32 v[40:41], v11 offset0:128 offset1:144
	ds_read_b128 v[28:31], v12 offset:528
	ds_read2_b32 v[42:43], v11 offset0:160 offset1:176
	s_add_u32 s22, s22, 8
	s_addc_u32 s23, s23, 0
	v_add_co_u32 v2, vcc_lo, v2, s20
	v_cmp_lt_i64_e64 s24, s[22:23], s[34:35]
	v_add_co_ci_u32_e64 v3, null, s21, v3, vcc_lo
	v_add_co_u32 v4, vcc_lo, v4, 16
	v_add_co_ci_u32_e64 v5, null, 0, v5, vcc_lo
	s_waitcnt lgkmcnt(8)
	v_fmac_f32_e32 v10, v32, v16
	v_fmac_f32_e32 v9, v33, v16
	s_waitcnt lgkmcnt(7)
	v_fmac_f32_e32 v8, v32, v20
	v_fmac_f32_e32 v7, v33, v20
	ds_read2_b32 v[32:33], v11 offset0:192 offset1:208
	s_waitcnt lgkmcnt(7)
	v_fmac_f32_e32 v10, v34, v17
	v_fmac_f32_e32 v9, v35, v17
	v_fmac_f32_e32 v8, v34, v21
	v_fmac_f32_e32 v7, v35, v21
	ds_read2_b32 v[16:17], v11 offset0:224 offset1:240
	s_waitcnt lgkmcnt(7)
	v_fmac_f32_e32 v10, v36, v18
	v_fmac_f32_e32 v9, v37, v18
	;; [unrolled: 1-line block ×4, first 2 shown]
	s_and_b32 vcc_lo, exec_lo, s24
	s_waitcnt lgkmcnt(6)
	v_fmac_f32_e32 v10, v38, v19
	v_fmac_f32_e32 v9, v39, v19
	;; [unrolled: 1-line block ×4, first 2 shown]
	s_waitcnt lgkmcnt(0)
	v_fmac_f32_e32 v10, v40, v24
	v_fmac_f32_e32 v9, v41, v24
	;; [unrolled: 1-line block ×4, first 2 shown]
	s_barrier
	v_fmac_f32_e32 v10, v42, v25
	v_fmac_f32_e32 v9, v43, v25
	;; [unrolled: 1-line block ×4, first 2 shown]
	buffer_gl0_inv
	v_fmac_f32_e32 v10, v32, v26
	v_fmac_f32_e32 v9, v33, v26
	;; [unrolled: 1-line block ×8, first 2 shown]
	s_cbranch_vccz .LBB133_7
.LBB133_3:                              ; =>This Inner Loop Header: Depth=1
	v_add_co_u32 v16, s24, v13, s22
	v_add_co_ci_u32_e64 v17, null, 0, s23, s24
	v_cmp_gt_i64_e32 vcc_lo, s[34:35], v[16:17]
	v_mov_b32_e32 v16, 0
	s_and_b32 s25, s0, vcc_lo
	s_and_saveexec_b32 s24, s25
	s_cbranch_execz .LBB133_5
; %bb.4:                                ;   in Loop: Header=BB133_3 Depth=1
	flat_load_ushort v16, v[4:5]
	s_waitcnt vmcnt(0) lgkmcnt(0)
	v_cvt_f32_f16_e32 v16, v16
.LBB133_5:                              ;   in Loop: Header=BB133_3 Depth=1
	s_or_b32 exec_lo, exec_lo, s24
	v_add_co_u32 v17, s24, v6, s22
	v_add_co_ci_u32_e64 v18, null, 0, s23, s24
	ds_write_b32 v14, v16
	v_cmp_gt_i64_e32 vcc_lo, s[34:35], v[17:18]
	v_mov_b32_e32 v17, 0
	s_and_b32 s25, vcc_lo, s1
	s_and_saveexec_b32 s24, s25
	s_cbranch_execz .LBB133_2
; %bb.6:                                ;   in Loop: Header=BB133_3 Depth=1
	flat_load_ushort v16, v[2:3]
	s_waitcnt vmcnt(0) lgkmcnt(0)
	v_cvt_f32_f16_e32 v17, v16
	s_branch .LBB133_2
.LBB133_7:
	s_clause 0x1
	s_load_dword s20, s[4:5], 0x50
	s_load_dword s4, s[4:5], 0x18
	v_add_co_u32 v1, s5, s18, v1
	v_add_co_ci_u32_e64 v2, null, s19, 0, s5
	s_lshl_b64 s[0:1], s[10:11], 2
	s_waitcnt lgkmcnt(0)
	s_add_u32 s5, s2, s0
	v_cmp_gt_i64_e64 s0, s[30:31], v[1:2]
	s_addc_u32 s3, s3, s1
	v_cmp_neq_f32_e64 s10, s20, 0
	s_and_b32 vcc_lo, exec_lo, s10
	s_cbranch_vccnz .LBB133_20
; %bb.8:
	s_and_saveexec_b32 s10, s0
	s_cbranch_execz .LBB133_18
; %bb.9:
	v_mul_lo_u32 v5, v2, s8
	v_mul_lo_u32 v6, v1, s9
	v_mad_u64_u32 v[3:4], null, v1, s8, 0
	v_add3_u32 v4, v4, v6, v5
	v_add_co_u32 v5, s1, s6, v0
	v_add_co_ci_u32_e64 v6, null, s7, 0, s1
	v_lshlrev_b64 v[11:12], 2, v[3:4]
	v_cmp_gt_i64_e32 vcc_lo, s[28:29], v[5:6]
	v_lshlrev_b64 v[3:4], 2, v[5:6]
	v_add_co_u32 v11, s1, s5, v11
	v_add_co_ci_u32_e64 v12, null, s3, v12, s1
	s_and_saveexec_b32 s2, vcc_lo
	s_cbranch_execz .LBB133_11
; %bb.10:
	v_add_co_u32 v13, s1, v11, v3
	v_add_co_ci_u32_e64 v14, null, v12, v4, s1
	v_mul_f32_e32 v15, s4, v10
	flat_store_dword v[13:14], v15
.LBB133_11:
	s_or_b32 exec_lo, exec_lo, s2
	v_add_co_u32 v5, s1, v5, 16
	v_add_co_ci_u32_e64 v6, null, 0, v6, s1
	v_cmp_gt_i64_e64 s1, s[28:29], v[5:6]
	s_and_saveexec_b32 s11, s1
	s_cbranch_execz .LBB133_13
; %bb.12:
	v_add_co_u32 v5, s2, v11, v3
	v_add_co_ci_u32_e64 v6, null, v12, v4, s2
	v_mul_f32_e32 v13, s4, v9
	flat_store_dword v[5:6], v13 offset:64
.LBB133_13:
	s_or_b32 exec_lo, exec_lo, s11
	v_add_co_u32 v5, s2, v1, 16
	v_add_co_ci_u32_e64 v6, null, 0, v2, s2
	v_cmp_gt_i64_e64 s2, s[30:31], v[5:6]
	s_and_b32 exec_lo, exec_lo, s2
	s_cbranch_execz .LBB133_18
; %bb.14:
	s_lshl_b64 s[18:19], s[8:9], 6
	v_add_co_u32 v5, s2, v11, s18
	v_add_co_ci_u32_e64 v6, null, s19, v12, s2
	v_add_co_u32 v3, s2, v5, v3
	v_add_co_ci_u32_e64 v4, null, v6, v4, s2
	s_and_saveexec_b32 s2, vcc_lo
	s_cbranch_execz .LBB133_16
; %bb.15:
	v_mul_f32_e32 v5, s4, v8
	flat_store_dword v[3:4], v5
.LBB133_16:
	s_or_b32 exec_lo, exec_lo, s2
	s_and_b32 exec_lo, exec_lo, s1
	s_cbranch_execz .LBB133_18
; %bb.17:
	v_mul_f32_e32 v5, s4, v7
	flat_store_dword v[3:4], v5 offset:64
.LBB133_18:
	s_or_b32 exec_lo, exec_lo, s10
	s_cbranch_execz .LBB133_21
.LBB133_19:
	s_endpgm
.LBB133_20:
.LBB133_21:
	s_and_saveexec_b32 s1, s0
	s_cbranch_execz .LBB133_19
; %bb.22:
	v_mul_lo_u32 v5, v2, s14
	v_mul_lo_u32 v6, v1, s15
	v_mad_u64_u32 v[3:4], null, v1, s14, 0
	v_mul_lo_u32 v13, v2, s8
	v_mul_lo_u32 v14, v1, s9
	v_mad_u64_u32 v[11:12], null, v1, s8, 0
	s_lshl_b64 s[0:1], s[16:17], 2
	v_add3_u32 v4, v4, v6, v5
	v_add_co_u32 v5, s2, s6, v0
	v_add_co_ci_u32_e64 v6, null, s7, 0, s2
	v_add3_u32 v12, v12, v14, v13
	v_lshlrev_b64 v[3:4], 2, v[3:4]
	s_add_u32 s0, s12, s0
	s_addc_u32 s1, s13, s1
	v_cmp_gt_i64_e32 vcc_lo, s[28:29], v[5:6]
	v_lshlrev_b64 v[12:13], 2, v[11:12]
	v_add_co_u32 v0, s0, s0, v3
	v_add_co_ci_u32_e64 v11, null, s1, v4, s0
	v_add_co_u32 v12, s0, s5, v12
	v_lshlrev_b64 v[3:4], 2, v[5:6]
	v_add_co_ci_u32_e64 v13, null, s3, v13, s0
	s_and_saveexec_b32 s1, vcc_lo
	s_cbranch_execz .LBB133_24
; %bb.23:
	v_add_co_u32 v14, s0, v0, v3
	v_add_co_ci_u32_e64 v15, null, v11, v4, s0
	flat_load_dword v14, v[14:15]
	s_waitcnt vmcnt(0) lgkmcnt(0)
	v_mul_f32_e32 v16, s20, v14
	v_add_co_u32 v14, s0, v12, v3
	v_add_co_ci_u32_e64 v15, null, v13, v4, s0
	v_fmac_f32_e32 v16, s4, v10
	flat_store_dword v[14:15], v16
.LBB133_24:
	s_or_b32 exec_lo, exec_lo, s1
	v_add_co_u32 v5, s0, v5, 16
	v_add_co_ci_u32_e64 v6, null, 0, v6, s0
	v_cmp_gt_i64_e64 s0, s[28:29], v[5:6]
	s_and_saveexec_b32 s2, s0
	s_cbranch_execz .LBB133_26
; %bb.25:
	v_add_co_u32 v5, s1, v0, v3
	v_add_co_ci_u32_e64 v6, null, v11, v4, s1
	flat_load_dword v5, v[5:6] offset:64
	s_waitcnt vmcnt(0) lgkmcnt(0)
	v_mul_f32_e32 v10, s20, v5
	v_add_co_u32 v5, s1, v12, v3
	v_add_co_ci_u32_e64 v6, null, v13, v4, s1
	v_fmac_f32_e32 v10, s4, v9
	flat_store_dword v[5:6], v10 offset:64
.LBB133_26:
	s_or_b32 exec_lo, exec_lo, s2
	v_add_co_u32 v1, s1, v1, 16
	v_add_co_ci_u32_e64 v2, null, 0, v2, s1
	v_cmp_gt_i64_e64 s1, s[30:31], v[1:2]
	s_and_b32 exec_lo, exec_lo, s1
	s_cbranch_execz .LBB133_19
; %bb.27:
	s_lshl_b64 s[2:3], s[14:15], 6
	v_add_co_u32 v0, s1, v0, s2
	v_add_co_ci_u32_e64 v1, null, s3, v11, s1
	s_lshl_b64 s[2:3], s[8:9], 6
	v_add_co_u32 v2, s1, v12, s2
	v_add_co_ci_u32_e64 v5, null, s3, v13, s1
	v_add_co_u32 v0, s1, v0, v3
	v_add_co_ci_u32_e64 v1, null, v1, v4, s1
	;; [unrolled: 2-line block ×3, first 2 shown]
	s_and_saveexec_b32 s1, vcc_lo
	s_cbranch_execz .LBB133_29
; %bb.28:
	flat_load_dword v4, v[0:1]
	s_waitcnt vmcnt(0) lgkmcnt(0)
	v_mul_f32_e32 v4, s20, v4
	v_fmac_f32_e32 v4, s4, v8
	flat_store_dword v[2:3], v4
.LBB133_29:
	s_or_b32 exec_lo, exec_lo, s1
	s_and_b32 exec_lo, exec_lo, s0
	s_cbranch_execz .LBB133_19
; %bb.30:
	flat_load_dword v0, v[0:1] offset:64
	s_waitcnt vmcnt(0) lgkmcnt(0)
	v_mul_f32_e32 v0, s20, v0
	v_fmac_f32_e32 v0, s4, v7
	flat_store_dword v[2:3], v0 offset:64
	s_endpgm
	.section	.rodata,"a",@progbits
	.p2align	6, 0x0
	.amdhsa_kernel _ZN12_GLOBAL__N_135rocblas_gemm_batched_general_kernelIfLi16ELi16ELi32ELi32ELi8ELi32ELi8ELi8ELi32ELc84ELc84EKPKDF16_KPKfKPfEEvlllT_PT11_llSB_llS9_PT12_llPT13_lli
		.amdhsa_group_segment_fixed_size 2048
		.amdhsa_private_segment_fixed_size 0
		.amdhsa_kernarg_size 140
		.amdhsa_user_sgpr_count 6
		.amdhsa_user_sgpr_private_segment_buffer 1
		.amdhsa_user_sgpr_dispatch_ptr 0
		.amdhsa_user_sgpr_queue_ptr 0
		.amdhsa_user_sgpr_kernarg_segment_ptr 1
		.amdhsa_user_sgpr_dispatch_id 0
		.amdhsa_user_sgpr_flat_scratch_init 0
		.amdhsa_user_sgpr_private_segment_size 0
		.amdhsa_wavefront_size32 1
		.amdhsa_uses_dynamic_stack 0
		.amdhsa_system_sgpr_private_segment_wavefront_offset 0
		.amdhsa_system_sgpr_workgroup_id_x 1
		.amdhsa_system_sgpr_workgroup_id_y 1
		.amdhsa_system_sgpr_workgroup_id_z 1
		.amdhsa_system_sgpr_workgroup_info 0
		.amdhsa_system_vgpr_workitem_id 1
		.amdhsa_next_free_vgpr 44
		.amdhsa_next_free_sgpr 44
		.amdhsa_reserve_vcc 1
		.amdhsa_reserve_flat_scratch 0
		.amdhsa_float_round_mode_32 0
		.amdhsa_float_round_mode_16_64 0
		.amdhsa_float_denorm_mode_32 3
		.amdhsa_float_denorm_mode_16_64 3
		.amdhsa_dx10_clamp 1
		.amdhsa_ieee_mode 1
		.amdhsa_fp16_overflow 0
		.amdhsa_workgroup_processor_mode 1
		.amdhsa_memory_ordered 1
		.amdhsa_forward_progress 1
		.amdhsa_shared_vgpr_count 0
		.amdhsa_exception_fp_ieee_invalid_op 0
		.amdhsa_exception_fp_denorm_src 0
		.amdhsa_exception_fp_ieee_div_zero 0
		.amdhsa_exception_fp_ieee_overflow 0
		.amdhsa_exception_fp_ieee_underflow 0
		.amdhsa_exception_fp_ieee_inexact 0
		.amdhsa_exception_int_div_zero 0
	.end_amdhsa_kernel
	.section	.text._ZN12_GLOBAL__N_135rocblas_gemm_batched_general_kernelIfLi16ELi16ELi32ELi32ELi8ELi32ELi8ELi8ELi32ELc84ELc84EKPKDF16_KPKfKPfEEvlllT_PT11_llSB_llS9_PT12_llPT13_lli,"axG",@progbits,_ZN12_GLOBAL__N_135rocblas_gemm_batched_general_kernelIfLi16ELi16ELi32ELi32ELi8ELi32ELi8ELi8ELi32ELc84ELc84EKPKDF16_KPKfKPfEEvlllT_PT11_llSB_llS9_PT12_llPT13_lli,comdat
.Lfunc_end133:
	.size	_ZN12_GLOBAL__N_135rocblas_gemm_batched_general_kernelIfLi16ELi16ELi32ELi32ELi8ELi32ELi8ELi8ELi32ELc84ELc84EKPKDF16_KPKfKPfEEvlllT_PT11_llSB_llS9_PT12_llPT13_lli, .Lfunc_end133-_ZN12_GLOBAL__N_135rocblas_gemm_batched_general_kernelIfLi16ELi16ELi32ELi32ELi8ELi32ELi8ELi8ELi32ELc84ELc84EKPKDF16_KPKfKPfEEvlllT_PT11_llSB_llS9_PT12_llPT13_lli
                                        ; -- End function
	.set _ZN12_GLOBAL__N_135rocblas_gemm_batched_general_kernelIfLi16ELi16ELi32ELi32ELi8ELi32ELi8ELi8ELi32ELc84ELc84EKPKDF16_KPKfKPfEEvlllT_PT11_llSB_llS9_PT12_llPT13_lli.num_vgpr, 44
	.set _ZN12_GLOBAL__N_135rocblas_gemm_batched_general_kernelIfLi16ELi16ELi32ELi32ELi8ELi32ELi8ELi8ELi32ELc84ELc84EKPKDF16_KPKfKPfEEvlllT_PT11_llSB_llS9_PT12_llPT13_lli.num_agpr, 0
	.set _ZN12_GLOBAL__N_135rocblas_gemm_batched_general_kernelIfLi16ELi16ELi32ELi32ELi8ELi32ELi8ELi8ELi32ELc84ELc84EKPKDF16_KPKfKPfEEvlllT_PT11_llSB_llS9_PT12_llPT13_lli.numbered_sgpr, 44
	.set _ZN12_GLOBAL__N_135rocblas_gemm_batched_general_kernelIfLi16ELi16ELi32ELi32ELi8ELi32ELi8ELi8ELi32ELc84ELc84EKPKDF16_KPKfKPfEEvlllT_PT11_llSB_llS9_PT12_llPT13_lli.num_named_barrier, 0
	.set _ZN12_GLOBAL__N_135rocblas_gemm_batched_general_kernelIfLi16ELi16ELi32ELi32ELi8ELi32ELi8ELi8ELi32ELc84ELc84EKPKDF16_KPKfKPfEEvlllT_PT11_llSB_llS9_PT12_llPT13_lli.private_seg_size, 0
	.set _ZN12_GLOBAL__N_135rocblas_gemm_batched_general_kernelIfLi16ELi16ELi32ELi32ELi8ELi32ELi8ELi8ELi32ELc84ELc84EKPKDF16_KPKfKPfEEvlllT_PT11_llSB_llS9_PT12_llPT13_lli.uses_vcc, 1
	.set _ZN12_GLOBAL__N_135rocblas_gemm_batched_general_kernelIfLi16ELi16ELi32ELi32ELi8ELi32ELi8ELi8ELi32ELc84ELc84EKPKDF16_KPKfKPfEEvlllT_PT11_llSB_llS9_PT12_llPT13_lli.uses_flat_scratch, 0
	.set _ZN12_GLOBAL__N_135rocblas_gemm_batched_general_kernelIfLi16ELi16ELi32ELi32ELi8ELi32ELi8ELi8ELi32ELc84ELc84EKPKDF16_KPKfKPfEEvlllT_PT11_llSB_llS9_PT12_llPT13_lli.has_dyn_sized_stack, 0
	.set _ZN12_GLOBAL__N_135rocblas_gemm_batched_general_kernelIfLi16ELi16ELi32ELi32ELi8ELi32ELi8ELi8ELi32ELc84ELc84EKPKDF16_KPKfKPfEEvlllT_PT11_llSB_llS9_PT12_llPT13_lli.has_recursion, 0
	.set _ZN12_GLOBAL__N_135rocblas_gemm_batched_general_kernelIfLi16ELi16ELi32ELi32ELi8ELi32ELi8ELi8ELi32ELc84ELc84EKPKDF16_KPKfKPfEEvlllT_PT11_llSB_llS9_PT12_llPT13_lli.has_indirect_call, 0
	.section	.AMDGPU.csdata,"",@progbits
; Kernel info:
; codeLenInByte = 1916
; TotalNumSgprs: 46
; NumVgprs: 44
; ScratchSize: 0
; MemoryBound: 0
; FloatMode: 240
; IeeeMode: 1
; LDSByteSize: 2048 bytes/workgroup (compile time only)
; SGPRBlocks: 0
; VGPRBlocks: 5
; NumSGPRsForWavesPerEU: 46
; NumVGPRsForWavesPerEU: 44
; Occupancy: 16
; WaveLimiterHint : 1
; COMPUTE_PGM_RSRC2:SCRATCH_EN: 0
; COMPUTE_PGM_RSRC2:USER_SGPR: 6
; COMPUTE_PGM_RSRC2:TRAP_HANDLER: 0
; COMPUTE_PGM_RSRC2:TGID_X_EN: 1
; COMPUTE_PGM_RSRC2:TGID_Y_EN: 1
; COMPUTE_PGM_RSRC2:TGID_Z_EN: 1
; COMPUTE_PGM_RSRC2:TIDIG_COMP_CNT: 1
	.section	.text._ZN12_GLOBAL__N_135rocblas_gemm_batched_general_kernelIfLi16ELi16ELi32ELi32ELi8ELi32ELi8ELi8ELi32ELc67ELc67EKPKDF16_KPKfKPfEEvlllT_PT11_llSB_llS9_PT12_llPT13_lli,"axG",@progbits,_ZN12_GLOBAL__N_135rocblas_gemm_batched_general_kernelIfLi16ELi16ELi32ELi32ELi8ELi32ELi8ELi8ELi32ELc67ELc67EKPKDF16_KPKfKPfEEvlllT_PT11_llSB_llS9_PT12_llPT13_lli,comdat
	.globl	_ZN12_GLOBAL__N_135rocblas_gemm_batched_general_kernelIfLi16ELi16ELi32ELi32ELi8ELi32ELi8ELi8ELi32ELc67ELc67EKPKDF16_KPKfKPfEEvlllT_PT11_llSB_llS9_PT12_llPT13_lli ; -- Begin function _ZN12_GLOBAL__N_135rocblas_gemm_batched_general_kernelIfLi16ELi16ELi32ELi32ELi8ELi32ELi8ELi8ELi32ELc67ELc67EKPKDF16_KPKfKPfEEvlllT_PT11_llSB_llS9_PT12_llPT13_lli
	.p2align	8
	.type	_ZN12_GLOBAL__N_135rocblas_gemm_batched_general_kernelIfLi16ELi16ELi32ELi32ELi8ELi32ELi8ELi8ELi32ELc67ELc67EKPKDF16_KPKfKPfEEvlllT_PT11_llSB_llS9_PT12_llPT13_lli,@function
_ZN12_GLOBAL__N_135rocblas_gemm_batched_general_kernelIfLi16ELi16ELi32ELi32ELi8ELi32ELi8ELi8ELi32ELc67ELc67EKPKDF16_KPKfKPfEEvlllT_PT11_llSB_llS9_PT12_llPT13_lli: ; @_ZN12_GLOBAL__N_135rocblas_gemm_batched_general_kernelIfLi16ELi16ELi32ELi32ELi8ELi32ELi8ELi8ELi32ELc67ELc67EKPKDF16_KPKfKPfEEvlllT_PT11_llSB_llS9_PT12_llPT13_lli
; %bb.0:
	s_clause 0x1
	s_load_dwordx8 s[12:19], s[4:5], 0x58
	s_load_dwordx2 s[34:35], s[4:5], 0x10
	s_mov_b32 s9, 0
	s_load_dwordx4 s[28:31], s[4:5], 0x0
	s_lshl_b64 s[42:43], s[8:9], 3
	s_load_dwordx4 s[8:11], s[4:5], 0x78
	s_mov_b32 s40, s7
	v_mov_b32_e32 v10, 0
	v_mov_b32_e32 v9, 0
	;; [unrolled: 1-line block ×4, first 2 shown]
	s_waitcnt lgkmcnt(0)
	s_add_u32 s0, s12, s42
	s_addc_u32 s1, s13, s43
	s_add_u32 s2, s18, s42
	s_addc_u32 s3, s19, s43
	s_load_dwordx2 s[12:13], s[0:1], 0x0
	s_load_dwordx2 s[2:3], s[2:3], 0x0
	v_cmp_lt_i64_e64 s0, s[34:35], 1
	s_ashr_i32 s7, s6, 31
	s_ashr_i32 s41, s40, 31
	s_lshl_b64 s[6:7], s[6:7], 5
	s_lshl_b64 s[18:19], s[40:41], 5
	s_and_b32 vcc_lo, exec_lo, s0
	s_cbranch_vccnz .LBB134_7
; %bb.1:
	s_clause 0x1
	s_load_dwordx4 s[36:39], s[4:5], 0x40
	s_load_dwordx8 s[20:27], s[4:5], 0x20
	v_lshl_add_u32 v2, v1, 4, v0
	v_and_b32_e32 v6, 7, v0
	v_mov_b32_e32 v3, s7
	v_mov_b32_e32 v7, 0
	v_lshlrev_b32_e32 v11, 2, v0
	v_and_b32_e32 v14, 31, v2
	v_lshrrev_b32_e32 v10, 3, v2
	v_lshrrev_b32_e32 v13, 5, v2
	v_lshlrev_b32_e32 v15, 2, v6
	v_lshl_add_u32 v12, v1, 5, 0x400
	v_or_b32_e32 v2, s6, v14
	v_add_co_u32 v4, s0, v10, s18
	v_add_co_ci_u32_e64 v5, null, 0, s19, s0
	v_add_co_u32 v17, s0, s6, v14
	v_add_co_ci_u32_e64 v18, null, s7, 0, s0
	s_waitcnt lgkmcnt(0)
	v_mad_u64_u32 v[8:9], null, s36, v6, 0
	v_cmp_gt_i64_e64 s0, s[28:29], v[2:3]
	v_lshlrev_b32_e32 v16, 2, v14
	v_cmp_gt_i64_e64 s1, s[30:31], v[4:5]
	v_mul_lo_u32 v5, s23, v17
	s_add_u32 s26, s26, s42
	s_addc_u32 s27, s27, s43
	v_mov_b32_e32 v2, v9
	v_lshl_or_b32 v14, v13, 7, v16
	v_mul_lo_u32 v16, s22, v18
	s_add_u32 s20, s20, s42
	s_addc_u32 s21, s21, s43
	v_mad_u64_u32 v[2:3], null, s37, v6, v[2:3]
	v_mad_u64_u32 v[3:4], null, s22, v17, 0
	s_load_dwordx2 s[22:23], s[26:27], 0x0
	s_load_dwordx2 s[20:21], s[20:21], 0x0
	s_lshl_b64 s[26:27], s[40:41], 6
	s_lshl_b64 s[38:39], s[38:39], 1
	v_mov_b32_e32 v9, v2
	s_add_u32 s26, s38, s26
	v_add3_u32 v4, v4, v16, v5
	s_addc_u32 s27, s39, s27
	s_lshl_b64 s[24:25], s[24:25], 1
	v_lshlrev_b64 v[8:9], 1, v[8:9]
	v_lshl_or_b32 v15, v10, 5, v15
	v_lshlrev_b64 v[2:3], 1, v[3:4]
	v_add_nc_u32_e32 v15, 0x400, v15
	v_add_co_u32 v4, vcc_lo, s26, v8
	v_lshlrev_b32_e32 v8, 1, v10
	v_add_co_ci_u32_e64 v5, null, s27, v9, vcc_lo
	v_add_co_u32 v2, vcc_lo, v2, s24
	v_lshlrev_b32_e32 v9, 1, v13
	v_add_co_ci_u32_e64 v3, null, s25, v3, vcc_lo
	v_add_co_u32 v4, vcc_lo, v4, v8
	v_add_co_ci_u32_e64 v5, null, 0, v5, vcc_lo
	v_add_co_u32 v8, vcc_lo, v2, v9
	v_add_co_ci_u32_e64 v9, null, 0, v3, vcc_lo
	s_waitcnt lgkmcnt(0)
	v_add_co_u32 v2, vcc_lo, s22, v4
	v_add_co_ci_u32_e64 v3, null, s23, v5, vcc_lo
	v_add_co_u32 v4, vcc_lo, s20, v8
	v_add_co_ci_u32_e64 v5, null, s21, v9, vcc_lo
	v_mov_b32_e32 v8, 0
	v_mov_b32_e32 v9, 0
	v_mov_b32_e32 v10, 0
	s_lshl_b64 s[20:21], s[36:37], 4
	s_mov_b64 s[22:23], 0
	s_branch .LBB134_3
.LBB134_2:                              ;   in Loop: Header=BB134_3 Depth=1
	s_or_b32 exec_lo, exec_lo, s24
	ds_write_b32 v15, v17
	s_waitcnt lgkmcnt(0)
	s_barrier
	buffer_gl0_inv
	ds_read_b128 v[16:19], v12
	ds_read2_b32 v[32:33], v11 offset1:16
	ds_read_b128 v[20:23], v12 offset:512
	ds_read2_b32 v[34:35], v11 offset0:32 offset1:48
	ds_read2_b32 v[36:37], v11 offset0:64 offset1:80
	ds_read2_b32 v[38:39], v11 offset0:96 offset1:112
	ds_read_b128 v[24:27], v12 offset:16
	ds_read2_b32 v[40:41], v11 offset0:128 offset1:144
	ds_read_b128 v[28:31], v12 offset:528
	ds_read2_b32 v[42:43], v11 offset0:160 offset1:176
	s_add_u32 s22, s22, 8
	s_addc_u32 s23, s23, 0
	v_add_co_u32 v2, vcc_lo, v2, s20
	v_cmp_lt_i64_e64 s24, s[22:23], s[34:35]
	v_add_co_ci_u32_e64 v3, null, s21, v3, vcc_lo
	v_add_co_u32 v4, vcc_lo, v4, 16
	v_add_co_ci_u32_e64 v5, null, 0, v5, vcc_lo
	s_waitcnt lgkmcnt(8)
	v_fmac_f32_e32 v10, v32, v16
	v_fmac_f32_e32 v9, v33, v16
	s_waitcnt lgkmcnt(7)
	v_fmac_f32_e32 v8, v32, v20
	v_fmac_f32_e32 v7, v33, v20
	ds_read2_b32 v[32:33], v11 offset0:192 offset1:208
	s_waitcnt lgkmcnt(7)
	v_fmac_f32_e32 v10, v34, v17
	v_fmac_f32_e32 v9, v35, v17
	;; [unrolled: 1-line block ×4, first 2 shown]
	ds_read2_b32 v[16:17], v11 offset0:224 offset1:240
	s_waitcnt lgkmcnt(7)
	v_fmac_f32_e32 v10, v36, v18
	v_fmac_f32_e32 v9, v37, v18
	v_fmac_f32_e32 v8, v36, v22
	v_fmac_f32_e32 v7, v37, v22
	s_and_b32 vcc_lo, exec_lo, s24
	s_waitcnt lgkmcnt(6)
	v_fmac_f32_e32 v10, v38, v19
	v_fmac_f32_e32 v9, v39, v19
	v_fmac_f32_e32 v8, v38, v23
	v_fmac_f32_e32 v7, v39, v23
	s_waitcnt lgkmcnt(0)
	v_fmac_f32_e32 v10, v40, v24
	v_fmac_f32_e32 v9, v41, v24
	;; [unrolled: 1-line block ×4, first 2 shown]
	s_barrier
	v_fmac_f32_e32 v10, v42, v25
	v_fmac_f32_e32 v9, v43, v25
	;; [unrolled: 1-line block ×4, first 2 shown]
	buffer_gl0_inv
	v_fmac_f32_e32 v10, v32, v26
	v_fmac_f32_e32 v9, v33, v26
	;; [unrolled: 1-line block ×8, first 2 shown]
	s_cbranch_vccz .LBB134_7
.LBB134_3:                              ; =>This Inner Loop Header: Depth=1
	v_add_co_u32 v16, s24, v13, s22
	v_add_co_ci_u32_e64 v17, null, 0, s23, s24
	v_cmp_gt_i64_e32 vcc_lo, s[34:35], v[16:17]
	v_mov_b32_e32 v16, 0
	s_and_b32 s25, s0, vcc_lo
	s_and_saveexec_b32 s24, s25
	s_cbranch_execz .LBB134_5
; %bb.4:                                ;   in Loop: Header=BB134_3 Depth=1
	flat_load_ushort v16, v[4:5]
	s_waitcnt vmcnt(0) lgkmcnt(0)
	v_cvt_f32_f16_e32 v16, v16
.LBB134_5:                              ;   in Loop: Header=BB134_3 Depth=1
	s_or_b32 exec_lo, exec_lo, s24
	v_add_co_u32 v17, s24, v6, s22
	v_add_co_ci_u32_e64 v18, null, 0, s23, s24
	ds_write_b32 v14, v16
	v_cmp_gt_i64_e32 vcc_lo, s[34:35], v[17:18]
	v_mov_b32_e32 v17, 0
	s_and_b32 s25, vcc_lo, s1
	s_and_saveexec_b32 s24, s25
	s_cbranch_execz .LBB134_2
; %bb.6:                                ;   in Loop: Header=BB134_3 Depth=1
	flat_load_ushort v16, v[2:3]
	s_waitcnt vmcnt(0) lgkmcnt(0)
	v_cvt_f32_f16_e32 v17, v16
	s_branch .LBB134_2
.LBB134_7:
	s_clause 0x1
	s_load_dword s20, s[4:5], 0x50
	s_load_dword s4, s[4:5], 0x18
	v_add_co_u32 v1, s5, s18, v1
	v_add_co_ci_u32_e64 v2, null, s19, 0, s5
	s_lshl_b64 s[0:1], s[10:11], 2
	s_waitcnt lgkmcnt(0)
	s_add_u32 s5, s2, s0
	v_cmp_gt_i64_e64 s0, s[30:31], v[1:2]
	s_addc_u32 s3, s3, s1
	v_cmp_neq_f32_e64 s10, s20, 0
	s_and_b32 vcc_lo, exec_lo, s10
	s_cbranch_vccnz .LBB134_20
; %bb.8:
	s_and_saveexec_b32 s10, s0
	s_cbranch_execz .LBB134_18
; %bb.9:
	v_mul_lo_u32 v5, v2, s8
	v_mul_lo_u32 v6, v1, s9
	v_mad_u64_u32 v[3:4], null, v1, s8, 0
	v_add3_u32 v4, v4, v6, v5
	v_add_co_u32 v5, s1, s6, v0
	v_add_co_ci_u32_e64 v6, null, s7, 0, s1
	v_lshlrev_b64 v[11:12], 2, v[3:4]
	v_cmp_gt_i64_e32 vcc_lo, s[28:29], v[5:6]
	v_lshlrev_b64 v[3:4], 2, v[5:6]
	v_add_co_u32 v11, s1, s5, v11
	v_add_co_ci_u32_e64 v12, null, s3, v12, s1
	s_and_saveexec_b32 s2, vcc_lo
	s_cbranch_execz .LBB134_11
; %bb.10:
	v_add_co_u32 v13, s1, v11, v3
	v_add_co_ci_u32_e64 v14, null, v12, v4, s1
	v_mul_f32_e32 v15, s4, v10
	flat_store_dword v[13:14], v15
.LBB134_11:
	s_or_b32 exec_lo, exec_lo, s2
	v_add_co_u32 v5, s1, v5, 16
	v_add_co_ci_u32_e64 v6, null, 0, v6, s1
	v_cmp_gt_i64_e64 s1, s[28:29], v[5:6]
	s_and_saveexec_b32 s11, s1
	s_cbranch_execz .LBB134_13
; %bb.12:
	v_add_co_u32 v5, s2, v11, v3
	v_add_co_ci_u32_e64 v6, null, v12, v4, s2
	v_mul_f32_e32 v13, s4, v9
	flat_store_dword v[5:6], v13 offset:64
.LBB134_13:
	s_or_b32 exec_lo, exec_lo, s11
	v_add_co_u32 v5, s2, v1, 16
	v_add_co_ci_u32_e64 v6, null, 0, v2, s2
	v_cmp_gt_i64_e64 s2, s[30:31], v[5:6]
	s_and_b32 exec_lo, exec_lo, s2
	s_cbranch_execz .LBB134_18
; %bb.14:
	s_lshl_b64 s[18:19], s[8:9], 6
	v_add_co_u32 v5, s2, v11, s18
	v_add_co_ci_u32_e64 v6, null, s19, v12, s2
	v_add_co_u32 v3, s2, v5, v3
	v_add_co_ci_u32_e64 v4, null, v6, v4, s2
	s_and_saveexec_b32 s2, vcc_lo
	s_cbranch_execz .LBB134_16
; %bb.15:
	v_mul_f32_e32 v5, s4, v8
	flat_store_dword v[3:4], v5
.LBB134_16:
	s_or_b32 exec_lo, exec_lo, s2
	s_and_b32 exec_lo, exec_lo, s1
	s_cbranch_execz .LBB134_18
; %bb.17:
	v_mul_f32_e32 v5, s4, v7
	flat_store_dword v[3:4], v5 offset:64
.LBB134_18:
	s_or_b32 exec_lo, exec_lo, s10
	s_cbranch_execz .LBB134_21
.LBB134_19:
	s_endpgm
.LBB134_20:
.LBB134_21:
	s_and_saveexec_b32 s1, s0
	s_cbranch_execz .LBB134_19
; %bb.22:
	v_mul_lo_u32 v5, v2, s14
	v_mul_lo_u32 v6, v1, s15
	v_mad_u64_u32 v[3:4], null, v1, s14, 0
	v_mul_lo_u32 v13, v2, s8
	v_mul_lo_u32 v14, v1, s9
	v_mad_u64_u32 v[11:12], null, v1, s8, 0
	s_lshl_b64 s[0:1], s[16:17], 2
	v_add3_u32 v4, v4, v6, v5
	v_add_co_u32 v5, s2, s6, v0
	v_add_co_ci_u32_e64 v6, null, s7, 0, s2
	v_add3_u32 v12, v12, v14, v13
	v_lshlrev_b64 v[3:4], 2, v[3:4]
	s_add_u32 s0, s12, s0
	s_addc_u32 s1, s13, s1
	v_cmp_gt_i64_e32 vcc_lo, s[28:29], v[5:6]
	v_lshlrev_b64 v[12:13], 2, v[11:12]
	v_add_co_u32 v0, s0, s0, v3
	v_add_co_ci_u32_e64 v11, null, s1, v4, s0
	v_add_co_u32 v12, s0, s5, v12
	v_lshlrev_b64 v[3:4], 2, v[5:6]
	v_add_co_ci_u32_e64 v13, null, s3, v13, s0
	s_and_saveexec_b32 s1, vcc_lo
	s_cbranch_execz .LBB134_24
; %bb.23:
	v_add_co_u32 v14, s0, v0, v3
	v_add_co_ci_u32_e64 v15, null, v11, v4, s0
	flat_load_dword v14, v[14:15]
	s_waitcnt vmcnt(0) lgkmcnt(0)
	v_mul_f32_e32 v16, s20, v14
	v_add_co_u32 v14, s0, v12, v3
	v_add_co_ci_u32_e64 v15, null, v13, v4, s0
	v_fmac_f32_e32 v16, s4, v10
	flat_store_dword v[14:15], v16
.LBB134_24:
	s_or_b32 exec_lo, exec_lo, s1
	v_add_co_u32 v5, s0, v5, 16
	v_add_co_ci_u32_e64 v6, null, 0, v6, s0
	v_cmp_gt_i64_e64 s0, s[28:29], v[5:6]
	s_and_saveexec_b32 s2, s0
	s_cbranch_execz .LBB134_26
; %bb.25:
	v_add_co_u32 v5, s1, v0, v3
	v_add_co_ci_u32_e64 v6, null, v11, v4, s1
	flat_load_dword v5, v[5:6] offset:64
	s_waitcnt vmcnt(0) lgkmcnt(0)
	v_mul_f32_e32 v10, s20, v5
	v_add_co_u32 v5, s1, v12, v3
	v_add_co_ci_u32_e64 v6, null, v13, v4, s1
	v_fmac_f32_e32 v10, s4, v9
	flat_store_dword v[5:6], v10 offset:64
.LBB134_26:
	s_or_b32 exec_lo, exec_lo, s2
	v_add_co_u32 v1, s1, v1, 16
	v_add_co_ci_u32_e64 v2, null, 0, v2, s1
	v_cmp_gt_i64_e64 s1, s[30:31], v[1:2]
	s_and_b32 exec_lo, exec_lo, s1
	s_cbranch_execz .LBB134_19
; %bb.27:
	s_lshl_b64 s[2:3], s[14:15], 6
	v_add_co_u32 v0, s1, v0, s2
	v_add_co_ci_u32_e64 v1, null, s3, v11, s1
	s_lshl_b64 s[2:3], s[8:9], 6
	v_add_co_u32 v2, s1, v12, s2
	v_add_co_ci_u32_e64 v5, null, s3, v13, s1
	v_add_co_u32 v0, s1, v0, v3
	v_add_co_ci_u32_e64 v1, null, v1, v4, s1
	;; [unrolled: 2-line block ×3, first 2 shown]
	s_and_saveexec_b32 s1, vcc_lo
	s_cbranch_execz .LBB134_29
; %bb.28:
	flat_load_dword v4, v[0:1]
	s_waitcnt vmcnt(0) lgkmcnt(0)
	v_mul_f32_e32 v4, s20, v4
	v_fmac_f32_e32 v4, s4, v8
	flat_store_dword v[2:3], v4
.LBB134_29:
	s_or_b32 exec_lo, exec_lo, s1
	s_and_b32 exec_lo, exec_lo, s0
	s_cbranch_execz .LBB134_19
; %bb.30:
	flat_load_dword v0, v[0:1] offset:64
	s_waitcnt vmcnt(0) lgkmcnt(0)
	v_mul_f32_e32 v0, s20, v0
	v_fmac_f32_e32 v0, s4, v7
	flat_store_dword v[2:3], v0 offset:64
	s_endpgm
	.section	.rodata,"a",@progbits
	.p2align	6, 0x0
	.amdhsa_kernel _ZN12_GLOBAL__N_135rocblas_gemm_batched_general_kernelIfLi16ELi16ELi32ELi32ELi8ELi32ELi8ELi8ELi32ELc67ELc67EKPKDF16_KPKfKPfEEvlllT_PT11_llSB_llS9_PT12_llPT13_lli
		.amdhsa_group_segment_fixed_size 2048
		.amdhsa_private_segment_fixed_size 0
		.amdhsa_kernarg_size 140
		.amdhsa_user_sgpr_count 6
		.amdhsa_user_sgpr_private_segment_buffer 1
		.amdhsa_user_sgpr_dispatch_ptr 0
		.amdhsa_user_sgpr_queue_ptr 0
		.amdhsa_user_sgpr_kernarg_segment_ptr 1
		.amdhsa_user_sgpr_dispatch_id 0
		.amdhsa_user_sgpr_flat_scratch_init 0
		.amdhsa_user_sgpr_private_segment_size 0
		.amdhsa_wavefront_size32 1
		.amdhsa_uses_dynamic_stack 0
		.amdhsa_system_sgpr_private_segment_wavefront_offset 0
		.amdhsa_system_sgpr_workgroup_id_x 1
		.amdhsa_system_sgpr_workgroup_id_y 1
		.amdhsa_system_sgpr_workgroup_id_z 1
		.amdhsa_system_sgpr_workgroup_info 0
		.amdhsa_system_vgpr_workitem_id 1
		.amdhsa_next_free_vgpr 44
		.amdhsa_next_free_sgpr 44
		.amdhsa_reserve_vcc 1
		.amdhsa_reserve_flat_scratch 0
		.amdhsa_float_round_mode_32 0
		.amdhsa_float_round_mode_16_64 0
		.amdhsa_float_denorm_mode_32 3
		.amdhsa_float_denorm_mode_16_64 3
		.amdhsa_dx10_clamp 1
		.amdhsa_ieee_mode 1
		.amdhsa_fp16_overflow 0
		.amdhsa_workgroup_processor_mode 1
		.amdhsa_memory_ordered 1
		.amdhsa_forward_progress 1
		.amdhsa_shared_vgpr_count 0
		.amdhsa_exception_fp_ieee_invalid_op 0
		.amdhsa_exception_fp_denorm_src 0
		.amdhsa_exception_fp_ieee_div_zero 0
		.amdhsa_exception_fp_ieee_overflow 0
		.amdhsa_exception_fp_ieee_underflow 0
		.amdhsa_exception_fp_ieee_inexact 0
		.amdhsa_exception_int_div_zero 0
	.end_amdhsa_kernel
	.section	.text._ZN12_GLOBAL__N_135rocblas_gemm_batched_general_kernelIfLi16ELi16ELi32ELi32ELi8ELi32ELi8ELi8ELi32ELc67ELc67EKPKDF16_KPKfKPfEEvlllT_PT11_llSB_llS9_PT12_llPT13_lli,"axG",@progbits,_ZN12_GLOBAL__N_135rocblas_gemm_batched_general_kernelIfLi16ELi16ELi32ELi32ELi8ELi32ELi8ELi8ELi32ELc67ELc67EKPKDF16_KPKfKPfEEvlllT_PT11_llSB_llS9_PT12_llPT13_lli,comdat
.Lfunc_end134:
	.size	_ZN12_GLOBAL__N_135rocblas_gemm_batched_general_kernelIfLi16ELi16ELi32ELi32ELi8ELi32ELi8ELi8ELi32ELc67ELc67EKPKDF16_KPKfKPfEEvlllT_PT11_llSB_llS9_PT12_llPT13_lli, .Lfunc_end134-_ZN12_GLOBAL__N_135rocblas_gemm_batched_general_kernelIfLi16ELi16ELi32ELi32ELi8ELi32ELi8ELi8ELi32ELc67ELc67EKPKDF16_KPKfKPfEEvlllT_PT11_llSB_llS9_PT12_llPT13_lli
                                        ; -- End function
	.set _ZN12_GLOBAL__N_135rocblas_gemm_batched_general_kernelIfLi16ELi16ELi32ELi32ELi8ELi32ELi8ELi8ELi32ELc67ELc67EKPKDF16_KPKfKPfEEvlllT_PT11_llSB_llS9_PT12_llPT13_lli.num_vgpr, 44
	.set _ZN12_GLOBAL__N_135rocblas_gemm_batched_general_kernelIfLi16ELi16ELi32ELi32ELi8ELi32ELi8ELi8ELi32ELc67ELc67EKPKDF16_KPKfKPfEEvlllT_PT11_llSB_llS9_PT12_llPT13_lli.num_agpr, 0
	.set _ZN12_GLOBAL__N_135rocblas_gemm_batched_general_kernelIfLi16ELi16ELi32ELi32ELi8ELi32ELi8ELi8ELi32ELc67ELc67EKPKDF16_KPKfKPfEEvlllT_PT11_llSB_llS9_PT12_llPT13_lli.numbered_sgpr, 44
	.set _ZN12_GLOBAL__N_135rocblas_gemm_batched_general_kernelIfLi16ELi16ELi32ELi32ELi8ELi32ELi8ELi8ELi32ELc67ELc67EKPKDF16_KPKfKPfEEvlllT_PT11_llSB_llS9_PT12_llPT13_lli.num_named_barrier, 0
	.set _ZN12_GLOBAL__N_135rocblas_gemm_batched_general_kernelIfLi16ELi16ELi32ELi32ELi8ELi32ELi8ELi8ELi32ELc67ELc67EKPKDF16_KPKfKPfEEvlllT_PT11_llSB_llS9_PT12_llPT13_lli.private_seg_size, 0
	.set _ZN12_GLOBAL__N_135rocblas_gemm_batched_general_kernelIfLi16ELi16ELi32ELi32ELi8ELi32ELi8ELi8ELi32ELc67ELc67EKPKDF16_KPKfKPfEEvlllT_PT11_llSB_llS9_PT12_llPT13_lli.uses_vcc, 1
	.set _ZN12_GLOBAL__N_135rocblas_gemm_batched_general_kernelIfLi16ELi16ELi32ELi32ELi8ELi32ELi8ELi8ELi32ELc67ELc67EKPKDF16_KPKfKPfEEvlllT_PT11_llSB_llS9_PT12_llPT13_lli.uses_flat_scratch, 0
	.set _ZN12_GLOBAL__N_135rocblas_gemm_batched_general_kernelIfLi16ELi16ELi32ELi32ELi8ELi32ELi8ELi8ELi32ELc67ELc67EKPKDF16_KPKfKPfEEvlllT_PT11_llSB_llS9_PT12_llPT13_lli.has_dyn_sized_stack, 0
	.set _ZN12_GLOBAL__N_135rocblas_gemm_batched_general_kernelIfLi16ELi16ELi32ELi32ELi8ELi32ELi8ELi8ELi32ELc67ELc67EKPKDF16_KPKfKPfEEvlllT_PT11_llSB_llS9_PT12_llPT13_lli.has_recursion, 0
	.set _ZN12_GLOBAL__N_135rocblas_gemm_batched_general_kernelIfLi16ELi16ELi32ELi32ELi8ELi32ELi8ELi8ELi32ELc67ELc67EKPKDF16_KPKfKPfEEvlllT_PT11_llSB_llS9_PT12_llPT13_lli.has_indirect_call, 0
	.section	.AMDGPU.csdata,"",@progbits
; Kernel info:
; codeLenInByte = 1916
; TotalNumSgprs: 46
; NumVgprs: 44
; ScratchSize: 0
; MemoryBound: 0
; FloatMode: 240
; IeeeMode: 1
; LDSByteSize: 2048 bytes/workgroup (compile time only)
; SGPRBlocks: 0
; VGPRBlocks: 5
; NumSGPRsForWavesPerEU: 46
; NumVGPRsForWavesPerEU: 44
; Occupancy: 16
; WaveLimiterHint : 1
; COMPUTE_PGM_RSRC2:SCRATCH_EN: 0
; COMPUTE_PGM_RSRC2:USER_SGPR: 6
; COMPUTE_PGM_RSRC2:TRAP_HANDLER: 0
; COMPUTE_PGM_RSRC2:TGID_X_EN: 1
; COMPUTE_PGM_RSRC2:TGID_Y_EN: 1
; COMPUTE_PGM_RSRC2:TGID_Z_EN: 1
; COMPUTE_PGM_RSRC2:TIDIG_COMP_CNT: 1
	.section	.text._ZN12_GLOBAL__N_135rocblas_gemm_batched_general_kernelIfLi16ELi16ELi32ELi32ELi8ELi32ELi8ELi8ELi32ELc67ELc78EKPKDF16_KPKfKPfEEvlllT_PT11_llSB_llS9_PT12_llPT13_lli,"axG",@progbits,_ZN12_GLOBAL__N_135rocblas_gemm_batched_general_kernelIfLi16ELi16ELi32ELi32ELi8ELi32ELi8ELi8ELi32ELc67ELc78EKPKDF16_KPKfKPfEEvlllT_PT11_llSB_llS9_PT12_llPT13_lli,comdat
	.globl	_ZN12_GLOBAL__N_135rocblas_gemm_batched_general_kernelIfLi16ELi16ELi32ELi32ELi8ELi32ELi8ELi8ELi32ELc67ELc78EKPKDF16_KPKfKPfEEvlllT_PT11_llSB_llS9_PT12_llPT13_lli ; -- Begin function _ZN12_GLOBAL__N_135rocblas_gemm_batched_general_kernelIfLi16ELi16ELi32ELi32ELi8ELi32ELi8ELi8ELi32ELc67ELc78EKPKDF16_KPKfKPfEEvlllT_PT11_llSB_llS9_PT12_llPT13_lli
	.p2align	8
	.type	_ZN12_GLOBAL__N_135rocblas_gemm_batched_general_kernelIfLi16ELi16ELi32ELi32ELi8ELi32ELi8ELi8ELi32ELc67ELc78EKPKDF16_KPKfKPfEEvlllT_PT11_llSB_llS9_PT12_llPT13_lli,@function
_ZN12_GLOBAL__N_135rocblas_gemm_batched_general_kernelIfLi16ELi16ELi32ELi32ELi8ELi32ELi8ELi8ELi32ELc67ELc78EKPKDF16_KPKfKPfEEvlllT_PT11_llSB_llS9_PT12_llPT13_lli: ; @_ZN12_GLOBAL__N_135rocblas_gemm_batched_general_kernelIfLi16ELi16ELi32ELi32ELi8ELi32ELi8ELi8ELi32ELc67ELc78EKPKDF16_KPKfKPfEEvlllT_PT11_llSB_llS9_PT12_llPT13_lli
; %bb.0:
	s_clause 0x1
	s_load_dwordx8 s[12:19], s[4:5], 0x58
	s_load_dwordx2 s[34:35], s[4:5], 0x10
	s_mov_b32 s9, 0
	s_load_dwordx4 s[28:31], s[4:5], 0x0
	s_lshl_b64 s[38:39], s[8:9], 3
	s_load_dwordx4 s[8:11], s[4:5], 0x78
	s_mov_b32 s0, s7
	v_mov_b32_e32 v10, 0
	v_mov_b32_e32 v9, 0
	;; [unrolled: 1-line block ×4, first 2 shown]
	s_waitcnt lgkmcnt(0)
	s_add_u32 s2, s12, s38
	s_addc_u32 s3, s13, s39
	s_add_u32 s18, s18, s38
	s_addc_u32 s19, s19, s39
	s_load_dwordx2 s[12:13], s[2:3], 0x0
	s_load_dwordx2 s[18:19], s[18:19], 0x0
	v_cmp_lt_i64_e64 s2, s[34:35], 1
	s_ashr_i32 s7, s6, 31
	s_ashr_i32 s1, s0, 31
	s_lshl_b64 s[6:7], s[6:7], 5
	s_lshl_b64 s[36:37], s[0:1], 5
	s_and_b32 vcc_lo, exec_lo, s2
	s_cbranch_vccnz .LBB135_7
; %bb.1:
	s_clause 0x1
	s_load_dwordx8 s[20:27], s[4:5], 0x20
	s_load_dwordx4 s[0:3], s[4:5], 0x40
	v_lshl_add_u32 v2, v1, 4, v0
	v_mov_b32_e32 v3, s7
	v_and_b32_e32 v6, 7, v0
	v_mov_b32_e32 v7, 0
	v_lshrrev_b32_e32 v10, 3, v2
	v_and_b32_e32 v8, 31, v2
	v_lshrrev_b32_e32 v11, 5, v2
	v_lshlrev_b32_e32 v12, 2, v6
	v_add_co_u32 v4, s33, v10, s36
	v_add_co_ci_u32_e64 v5, null, 0, s37, s33
	v_or_b32_e32 v2, s6, v8
	v_lshlrev_b32_e32 v13, 2, v8
	v_lshl_or_b32 v10, v10, 5, v12
	s_waitcnt lgkmcnt(0)
	s_add_u32 s26, s26, s38
	v_mul_lo_u32 v14, s1, v4
	v_add_co_u32 v15, s1, s6, v8
	v_add_co_ci_u32_e64 v16, null, s7, 0, s1
	v_mul_lo_u32 v18, s0, v5
	v_mad_u64_u32 v[8:9], null, s0, v4, 0
	v_mul_lo_u32 v19, s23, v15
	v_mul_lo_u32 v20, s22, v16
	v_mad_u64_u32 v[16:17], null, s22, v15, 0
	s_addc_u32 s27, s27, s39
	s_add_u32 s20, s20, s38
	v_add3_u32 v9, v9, v18, v14
	s_load_dwordx2 s[26:27], s[26:27], 0x0
	s_addc_u32 s21, s21, s39
	v_cmp_gt_i64_e64 s0, s[28:29], v[2:3]
	v_add3_u32 v17, v17, v20, v19
	s_load_dwordx2 s[20:21], s[20:21], 0x0
	v_lshlrev_b64 v[2:3], 1, v[8:9]
	v_cmp_gt_i64_e64 s1, s[30:31], v[4:5]
	s_lshl_b64 s[2:3], s[2:3], 1
	v_lshlrev_b64 v[4:5], 1, v[16:17]
	v_lshlrev_b32_e32 v8, 1, v6
	v_lshlrev_b32_e32 v9, 1, v11
	v_add_co_u32 v2, vcc_lo, v2, s2
	v_add_co_ci_u32_e64 v3, null, s3, v3, vcc_lo
	s_lshl_b64 s[2:3], s[24:25], 1
	v_lshl_or_b32 v12, v11, 7, v13
	v_add_co_u32 v4, vcc_lo, v4, s2
	v_add_co_ci_u32_e64 v5, null, s3, v5, vcc_lo
	v_add_co_u32 v2, vcc_lo, v2, v8
	v_add_co_ci_u32_e64 v3, null, 0, v3, vcc_lo
	;; [unrolled: 2-line block ×3, first 2 shown]
	s_waitcnt lgkmcnt(0)
	v_add_co_u32 v2, vcc_lo, s26, v2
	v_add_co_ci_u32_e64 v3, null, s27, v3, vcc_lo
	v_add_co_u32 v4, vcc_lo, s20, v4
	v_add_nc_u32_e32 v13, 0x400, v10
	v_lshlrev_b32_e32 v14, 2, v0
	v_lshl_add_u32 v15, v1, 5, 0x400
	v_add_co_ci_u32_e64 v5, null, s21, v5, vcc_lo
	v_mov_b32_e32 v8, 0
	v_mov_b32_e32 v9, 0
	;; [unrolled: 1-line block ×3, first 2 shown]
	s_mov_b64 s[2:3], 0
	s_branch .LBB135_3
.LBB135_2:                              ;   in Loop: Header=BB135_3 Depth=1
	s_or_b32 exec_lo, exec_lo, s20
	ds_write_b32 v13, v17
	s_waitcnt lgkmcnt(0)
	s_barrier
	buffer_gl0_inv
	ds_read_b128 v[16:19], v15
	ds_read2_b32 v[32:33], v14 offset1:16
	ds_read_b128 v[20:23], v15 offset:512
	ds_read2_b32 v[34:35], v14 offset0:32 offset1:48
	ds_read2_b32 v[36:37], v14 offset0:64 offset1:80
	;; [unrolled: 1-line block ×3, first 2 shown]
	ds_read_b128 v[24:27], v15 offset:16
	ds_read2_b32 v[40:41], v14 offset0:128 offset1:144
	ds_read_b128 v[28:31], v15 offset:528
	ds_read2_b32 v[42:43], v14 offset0:160 offset1:176
	s_add_u32 s2, s2, 8
	s_addc_u32 s3, s3, 0
	v_add_co_u32 v2, vcc_lo, v2, 16
	v_cmp_lt_i64_e64 s20, s[2:3], s[34:35]
	v_add_co_ci_u32_e64 v3, null, 0, v3, vcc_lo
	v_add_co_u32 v4, vcc_lo, v4, 16
	v_add_co_ci_u32_e64 v5, null, 0, v5, vcc_lo
	s_waitcnt lgkmcnt(8)
	v_fmac_f32_e32 v10, v32, v16
	v_fmac_f32_e32 v9, v33, v16
	s_waitcnt lgkmcnt(7)
	v_fmac_f32_e32 v8, v32, v20
	v_fmac_f32_e32 v7, v33, v20
	ds_read2_b32 v[32:33], v14 offset0:192 offset1:208
	s_waitcnt lgkmcnt(7)
	v_fmac_f32_e32 v10, v34, v17
	v_fmac_f32_e32 v9, v35, v17
	;; [unrolled: 1-line block ×4, first 2 shown]
	ds_read2_b32 v[16:17], v14 offset0:224 offset1:240
	s_waitcnt lgkmcnt(7)
	v_fmac_f32_e32 v10, v36, v18
	v_fmac_f32_e32 v9, v37, v18
	;; [unrolled: 1-line block ×4, first 2 shown]
	s_and_b32 vcc_lo, exec_lo, s20
	s_waitcnt lgkmcnt(6)
	v_fmac_f32_e32 v10, v38, v19
	v_fmac_f32_e32 v9, v39, v19
	;; [unrolled: 1-line block ×4, first 2 shown]
	s_waitcnt lgkmcnt(0)
	v_fmac_f32_e32 v10, v40, v24
	v_fmac_f32_e32 v9, v41, v24
	;; [unrolled: 1-line block ×4, first 2 shown]
	s_barrier
	v_fmac_f32_e32 v10, v42, v25
	v_fmac_f32_e32 v9, v43, v25
	;; [unrolled: 1-line block ×4, first 2 shown]
	buffer_gl0_inv
	v_fmac_f32_e32 v10, v32, v26
	v_fmac_f32_e32 v9, v33, v26
	;; [unrolled: 1-line block ×8, first 2 shown]
	s_cbranch_vccz .LBB135_7
.LBB135_3:                              ; =>This Inner Loop Header: Depth=1
	v_add_co_u32 v16, s20, v11, s2
	v_add_co_ci_u32_e64 v17, null, 0, s3, s20
	v_cmp_gt_i64_e32 vcc_lo, s[34:35], v[16:17]
	v_mov_b32_e32 v16, 0
	s_and_b32 s21, s0, vcc_lo
	s_and_saveexec_b32 s20, s21
	s_cbranch_execz .LBB135_5
; %bb.4:                                ;   in Loop: Header=BB135_3 Depth=1
	flat_load_ushort v16, v[4:5]
	s_waitcnt vmcnt(0) lgkmcnt(0)
	v_cvt_f32_f16_e32 v16, v16
.LBB135_5:                              ;   in Loop: Header=BB135_3 Depth=1
	s_or_b32 exec_lo, exec_lo, s20
	v_add_co_u32 v17, s20, v6, s2
	v_add_co_ci_u32_e64 v18, null, 0, s3, s20
	ds_write_b32 v12, v16
	v_cmp_gt_i64_e32 vcc_lo, s[34:35], v[17:18]
	v_mov_b32_e32 v17, 0
	s_and_b32 s21, vcc_lo, s1
	s_and_saveexec_b32 s20, s21
	s_cbranch_execz .LBB135_2
; %bb.6:                                ;   in Loop: Header=BB135_3 Depth=1
	flat_load_ushort v16, v[2:3]
	s_waitcnt vmcnt(0) lgkmcnt(0)
	v_cvt_f32_f16_e32 v17, v16
	s_branch .LBB135_2
.LBB135_7:
	s_clause 0x1
	s_load_dword s20, s[4:5], 0x50
	s_load_dword s3, s[4:5], 0x18
	v_add_co_u32 v1, s2, s36, v1
	v_add_co_ci_u32_e64 v2, null, s37, 0, s2
	s_lshl_b64 s[0:1], s[10:11], 2
	s_waitcnt lgkmcnt(0)
	s_add_u32 s4, s18, s0
	v_cmp_gt_i64_e64 s0, s[30:31], v[1:2]
	s_addc_u32 s5, s19, s1
	v_cmp_neq_f32_e64 s2, s20, 0
	s_and_b32 vcc_lo, exec_lo, s2
	s_cbranch_vccnz .LBB135_20
; %bb.8:
	s_and_saveexec_b32 s10, s0
	s_cbranch_execz .LBB135_18
; %bb.9:
	v_mul_lo_u32 v5, v2, s8
	v_mul_lo_u32 v6, v1, s9
	v_mad_u64_u32 v[3:4], null, v1, s8, 0
	v_add3_u32 v4, v4, v6, v5
	v_add_co_u32 v5, s1, s6, v0
	v_add_co_ci_u32_e64 v6, null, s7, 0, s1
	v_lshlrev_b64 v[11:12], 2, v[3:4]
	v_cmp_gt_i64_e32 vcc_lo, s[28:29], v[5:6]
	v_lshlrev_b64 v[3:4], 2, v[5:6]
	v_add_co_u32 v11, s1, s4, v11
	v_add_co_ci_u32_e64 v12, null, s5, v12, s1
	s_and_saveexec_b32 s2, vcc_lo
	s_cbranch_execz .LBB135_11
; %bb.10:
	v_add_co_u32 v13, s1, v11, v3
	v_add_co_ci_u32_e64 v14, null, v12, v4, s1
	v_mul_f32_e32 v15, s3, v10
	flat_store_dword v[13:14], v15
.LBB135_11:
	s_or_b32 exec_lo, exec_lo, s2
	v_add_co_u32 v5, s1, v5, 16
	v_add_co_ci_u32_e64 v6, null, 0, v6, s1
	v_cmp_gt_i64_e64 s1, s[28:29], v[5:6]
	s_and_saveexec_b32 s11, s1
	s_cbranch_execz .LBB135_13
; %bb.12:
	v_add_co_u32 v5, s2, v11, v3
	v_add_co_ci_u32_e64 v6, null, v12, v4, s2
	v_mul_f32_e32 v13, s3, v9
	flat_store_dword v[5:6], v13 offset:64
.LBB135_13:
	s_or_b32 exec_lo, exec_lo, s11
	v_add_co_u32 v5, s2, v1, 16
	v_add_co_ci_u32_e64 v6, null, 0, v2, s2
	v_cmp_gt_i64_e64 s2, s[30:31], v[5:6]
	s_and_b32 exec_lo, exec_lo, s2
	s_cbranch_execz .LBB135_18
; %bb.14:
	s_lshl_b64 s[18:19], s[8:9], 6
	v_add_co_u32 v5, s2, v11, s18
	v_add_co_ci_u32_e64 v6, null, s19, v12, s2
	v_add_co_u32 v3, s2, v5, v3
	v_add_co_ci_u32_e64 v4, null, v6, v4, s2
	s_and_saveexec_b32 s2, vcc_lo
	s_cbranch_execz .LBB135_16
; %bb.15:
	v_mul_f32_e32 v5, s3, v8
	flat_store_dword v[3:4], v5
.LBB135_16:
	s_or_b32 exec_lo, exec_lo, s2
	s_and_b32 exec_lo, exec_lo, s1
	s_cbranch_execz .LBB135_18
; %bb.17:
	v_mul_f32_e32 v5, s3, v7
	flat_store_dword v[3:4], v5 offset:64
.LBB135_18:
	s_or_b32 exec_lo, exec_lo, s10
	s_cbranch_execz .LBB135_21
.LBB135_19:
	s_endpgm
.LBB135_20:
.LBB135_21:
	s_and_saveexec_b32 s1, s0
	s_cbranch_execz .LBB135_19
; %bb.22:
	v_mul_lo_u32 v5, v2, s14
	v_mul_lo_u32 v6, v1, s15
	v_mad_u64_u32 v[3:4], null, v1, s14, 0
	v_mul_lo_u32 v13, v2, s8
	v_mul_lo_u32 v14, v1, s9
	v_mad_u64_u32 v[11:12], null, v1, s8, 0
	s_lshl_b64 s[0:1], s[16:17], 2
	v_add3_u32 v4, v4, v6, v5
	v_add_co_u32 v5, s2, s6, v0
	v_add_co_ci_u32_e64 v6, null, s7, 0, s2
	v_add3_u32 v12, v12, v14, v13
	v_lshlrev_b64 v[3:4], 2, v[3:4]
	s_add_u32 s0, s12, s0
	s_addc_u32 s1, s13, s1
	v_cmp_gt_i64_e32 vcc_lo, s[28:29], v[5:6]
	v_lshlrev_b64 v[12:13], 2, v[11:12]
	v_add_co_u32 v0, s0, s0, v3
	v_add_co_ci_u32_e64 v11, null, s1, v4, s0
	v_add_co_u32 v12, s0, s4, v12
	v_lshlrev_b64 v[3:4], 2, v[5:6]
	v_add_co_ci_u32_e64 v13, null, s5, v13, s0
	s_and_saveexec_b32 s1, vcc_lo
	s_cbranch_execz .LBB135_24
; %bb.23:
	v_add_co_u32 v14, s0, v0, v3
	v_add_co_ci_u32_e64 v15, null, v11, v4, s0
	flat_load_dword v14, v[14:15]
	s_waitcnt vmcnt(0) lgkmcnt(0)
	v_mul_f32_e32 v16, s20, v14
	v_add_co_u32 v14, s0, v12, v3
	v_add_co_ci_u32_e64 v15, null, v13, v4, s0
	v_fmac_f32_e32 v16, s3, v10
	flat_store_dword v[14:15], v16
.LBB135_24:
	s_or_b32 exec_lo, exec_lo, s1
	v_add_co_u32 v5, s0, v5, 16
	v_add_co_ci_u32_e64 v6, null, 0, v6, s0
	v_cmp_gt_i64_e64 s0, s[28:29], v[5:6]
	s_and_saveexec_b32 s2, s0
	s_cbranch_execz .LBB135_26
; %bb.25:
	v_add_co_u32 v5, s1, v0, v3
	v_add_co_ci_u32_e64 v6, null, v11, v4, s1
	flat_load_dword v5, v[5:6] offset:64
	s_waitcnt vmcnt(0) lgkmcnt(0)
	v_mul_f32_e32 v10, s20, v5
	v_add_co_u32 v5, s1, v12, v3
	v_add_co_ci_u32_e64 v6, null, v13, v4, s1
	v_fmac_f32_e32 v10, s3, v9
	flat_store_dword v[5:6], v10 offset:64
.LBB135_26:
	s_or_b32 exec_lo, exec_lo, s2
	v_add_co_u32 v1, s1, v1, 16
	v_add_co_ci_u32_e64 v2, null, 0, v2, s1
	v_cmp_gt_i64_e64 s1, s[30:31], v[1:2]
	s_and_b32 exec_lo, exec_lo, s1
	s_cbranch_execz .LBB135_19
; %bb.27:
	s_lshl_b64 s[4:5], s[14:15], 6
	v_add_co_u32 v0, s1, v0, s4
	v_add_co_ci_u32_e64 v1, null, s5, v11, s1
	s_lshl_b64 s[4:5], s[8:9], 6
	v_add_co_u32 v2, s1, v12, s4
	v_add_co_ci_u32_e64 v5, null, s5, v13, s1
	v_add_co_u32 v0, s1, v0, v3
	v_add_co_ci_u32_e64 v1, null, v1, v4, s1
	;; [unrolled: 2-line block ×3, first 2 shown]
	s_and_saveexec_b32 s1, vcc_lo
	s_cbranch_execz .LBB135_29
; %bb.28:
	flat_load_dword v4, v[0:1]
	s_waitcnt vmcnt(0) lgkmcnt(0)
	v_mul_f32_e32 v4, s20, v4
	v_fmac_f32_e32 v4, s3, v8
	flat_store_dword v[2:3], v4
.LBB135_29:
	s_or_b32 exec_lo, exec_lo, s1
	s_and_b32 exec_lo, exec_lo, s0
	s_cbranch_execz .LBB135_19
; %bb.30:
	flat_load_dword v0, v[0:1] offset:64
	s_waitcnt vmcnt(0) lgkmcnt(0)
	v_mul_f32_e32 v0, s20, v0
	v_fmac_f32_e32 v0, s3, v7
	flat_store_dword v[2:3], v0 offset:64
	s_endpgm
	.section	.rodata,"a",@progbits
	.p2align	6, 0x0
	.amdhsa_kernel _ZN12_GLOBAL__N_135rocblas_gemm_batched_general_kernelIfLi16ELi16ELi32ELi32ELi8ELi32ELi8ELi8ELi32ELc67ELc78EKPKDF16_KPKfKPfEEvlllT_PT11_llSB_llS9_PT12_llPT13_lli
		.amdhsa_group_segment_fixed_size 2048
		.amdhsa_private_segment_fixed_size 0
		.amdhsa_kernarg_size 140
		.amdhsa_user_sgpr_count 6
		.amdhsa_user_sgpr_private_segment_buffer 1
		.amdhsa_user_sgpr_dispatch_ptr 0
		.amdhsa_user_sgpr_queue_ptr 0
		.amdhsa_user_sgpr_kernarg_segment_ptr 1
		.amdhsa_user_sgpr_dispatch_id 0
		.amdhsa_user_sgpr_flat_scratch_init 0
		.amdhsa_user_sgpr_private_segment_size 0
		.amdhsa_wavefront_size32 1
		.amdhsa_uses_dynamic_stack 0
		.amdhsa_system_sgpr_private_segment_wavefront_offset 0
		.amdhsa_system_sgpr_workgroup_id_x 1
		.amdhsa_system_sgpr_workgroup_id_y 1
		.amdhsa_system_sgpr_workgroup_id_z 1
		.amdhsa_system_sgpr_workgroup_info 0
		.amdhsa_system_vgpr_workitem_id 1
		.amdhsa_next_free_vgpr 44
		.amdhsa_next_free_sgpr 40
		.amdhsa_reserve_vcc 1
		.amdhsa_reserve_flat_scratch 0
		.amdhsa_float_round_mode_32 0
		.amdhsa_float_round_mode_16_64 0
		.amdhsa_float_denorm_mode_32 3
		.amdhsa_float_denorm_mode_16_64 3
		.amdhsa_dx10_clamp 1
		.amdhsa_ieee_mode 1
		.amdhsa_fp16_overflow 0
		.amdhsa_workgroup_processor_mode 1
		.amdhsa_memory_ordered 1
		.amdhsa_forward_progress 1
		.amdhsa_shared_vgpr_count 0
		.amdhsa_exception_fp_ieee_invalid_op 0
		.amdhsa_exception_fp_denorm_src 0
		.amdhsa_exception_fp_ieee_div_zero 0
		.amdhsa_exception_fp_ieee_overflow 0
		.amdhsa_exception_fp_ieee_underflow 0
		.amdhsa_exception_fp_ieee_inexact 0
		.amdhsa_exception_int_div_zero 0
	.end_amdhsa_kernel
	.section	.text._ZN12_GLOBAL__N_135rocblas_gemm_batched_general_kernelIfLi16ELi16ELi32ELi32ELi8ELi32ELi8ELi8ELi32ELc67ELc78EKPKDF16_KPKfKPfEEvlllT_PT11_llSB_llS9_PT12_llPT13_lli,"axG",@progbits,_ZN12_GLOBAL__N_135rocblas_gemm_batched_general_kernelIfLi16ELi16ELi32ELi32ELi8ELi32ELi8ELi8ELi32ELc67ELc78EKPKDF16_KPKfKPfEEvlllT_PT11_llSB_llS9_PT12_llPT13_lli,comdat
.Lfunc_end135:
	.size	_ZN12_GLOBAL__N_135rocblas_gemm_batched_general_kernelIfLi16ELi16ELi32ELi32ELi8ELi32ELi8ELi8ELi32ELc67ELc78EKPKDF16_KPKfKPfEEvlllT_PT11_llSB_llS9_PT12_llPT13_lli, .Lfunc_end135-_ZN12_GLOBAL__N_135rocblas_gemm_batched_general_kernelIfLi16ELi16ELi32ELi32ELi8ELi32ELi8ELi8ELi32ELc67ELc78EKPKDF16_KPKfKPfEEvlllT_PT11_llSB_llS9_PT12_llPT13_lli
                                        ; -- End function
	.set _ZN12_GLOBAL__N_135rocblas_gemm_batched_general_kernelIfLi16ELi16ELi32ELi32ELi8ELi32ELi8ELi8ELi32ELc67ELc78EKPKDF16_KPKfKPfEEvlllT_PT11_llSB_llS9_PT12_llPT13_lli.num_vgpr, 44
	.set _ZN12_GLOBAL__N_135rocblas_gemm_batched_general_kernelIfLi16ELi16ELi32ELi32ELi8ELi32ELi8ELi8ELi32ELc67ELc78EKPKDF16_KPKfKPfEEvlllT_PT11_llSB_llS9_PT12_llPT13_lli.num_agpr, 0
	.set _ZN12_GLOBAL__N_135rocblas_gemm_batched_general_kernelIfLi16ELi16ELi32ELi32ELi8ELi32ELi8ELi8ELi32ELc67ELc78EKPKDF16_KPKfKPfEEvlllT_PT11_llSB_llS9_PT12_llPT13_lli.numbered_sgpr, 40
	.set _ZN12_GLOBAL__N_135rocblas_gemm_batched_general_kernelIfLi16ELi16ELi32ELi32ELi8ELi32ELi8ELi8ELi32ELc67ELc78EKPKDF16_KPKfKPfEEvlllT_PT11_llSB_llS9_PT12_llPT13_lli.num_named_barrier, 0
	.set _ZN12_GLOBAL__N_135rocblas_gemm_batched_general_kernelIfLi16ELi16ELi32ELi32ELi8ELi32ELi8ELi8ELi32ELc67ELc78EKPKDF16_KPKfKPfEEvlllT_PT11_llSB_llS9_PT12_llPT13_lli.private_seg_size, 0
	.set _ZN12_GLOBAL__N_135rocblas_gemm_batched_general_kernelIfLi16ELi16ELi32ELi32ELi8ELi32ELi8ELi8ELi32ELc67ELc78EKPKDF16_KPKfKPfEEvlllT_PT11_llSB_llS9_PT12_llPT13_lli.uses_vcc, 1
	.set _ZN12_GLOBAL__N_135rocblas_gemm_batched_general_kernelIfLi16ELi16ELi32ELi32ELi8ELi32ELi8ELi8ELi32ELc67ELc78EKPKDF16_KPKfKPfEEvlllT_PT11_llSB_llS9_PT12_llPT13_lli.uses_flat_scratch, 0
	.set _ZN12_GLOBAL__N_135rocblas_gemm_batched_general_kernelIfLi16ELi16ELi32ELi32ELi8ELi32ELi8ELi8ELi32ELc67ELc78EKPKDF16_KPKfKPfEEvlllT_PT11_llSB_llS9_PT12_llPT13_lli.has_dyn_sized_stack, 0
	.set _ZN12_GLOBAL__N_135rocblas_gemm_batched_general_kernelIfLi16ELi16ELi32ELi32ELi8ELi32ELi8ELi8ELi32ELc67ELc78EKPKDF16_KPKfKPfEEvlllT_PT11_llSB_llS9_PT12_llPT13_lli.has_recursion, 0
	.set _ZN12_GLOBAL__N_135rocblas_gemm_batched_general_kernelIfLi16ELi16ELi32ELi32ELi8ELi32ELi8ELi8ELi32ELc67ELc78EKPKDF16_KPKfKPfEEvlllT_PT11_llSB_llS9_PT12_llPT13_lli.has_indirect_call, 0
	.section	.AMDGPU.csdata,"",@progbits
; Kernel info:
; codeLenInByte = 1908
; TotalNumSgprs: 42
; NumVgprs: 44
; ScratchSize: 0
; MemoryBound: 0
; FloatMode: 240
; IeeeMode: 1
; LDSByteSize: 2048 bytes/workgroup (compile time only)
; SGPRBlocks: 0
; VGPRBlocks: 5
; NumSGPRsForWavesPerEU: 42
; NumVGPRsForWavesPerEU: 44
; Occupancy: 16
; WaveLimiterHint : 1
; COMPUTE_PGM_RSRC2:SCRATCH_EN: 0
; COMPUTE_PGM_RSRC2:USER_SGPR: 6
; COMPUTE_PGM_RSRC2:TRAP_HANDLER: 0
; COMPUTE_PGM_RSRC2:TGID_X_EN: 1
; COMPUTE_PGM_RSRC2:TGID_Y_EN: 1
; COMPUTE_PGM_RSRC2:TGID_Z_EN: 1
; COMPUTE_PGM_RSRC2:TIDIG_COMP_CNT: 1
	.section	.text._ZN12_GLOBAL__N_135rocblas_gemm_batched_general_kernelIfLi16ELi16ELi32ELi32ELi8ELi32ELi8ELi8ELi32ELc67ELc84EKPKDF16_KPKfKPfEEvlllT_PT11_llSB_llS9_PT12_llPT13_lli,"axG",@progbits,_ZN12_GLOBAL__N_135rocblas_gemm_batched_general_kernelIfLi16ELi16ELi32ELi32ELi8ELi32ELi8ELi8ELi32ELc67ELc84EKPKDF16_KPKfKPfEEvlllT_PT11_llSB_llS9_PT12_llPT13_lli,comdat
	.globl	_ZN12_GLOBAL__N_135rocblas_gemm_batched_general_kernelIfLi16ELi16ELi32ELi32ELi8ELi32ELi8ELi8ELi32ELc67ELc84EKPKDF16_KPKfKPfEEvlllT_PT11_llSB_llS9_PT12_llPT13_lli ; -- Begin function _ZN12_GLOBAL__N_135rocblas_gemm_batched_general_kernelIfLi16ELi16ELi32ELi32ELi8ELi32ELi8ELi8ELi32ELc67ELc84EKPKDF16_KPKfKPfEEvlllT_PT11_llSB_llS9_PT12_llPT13_lli
	.p2align	8
	.type	_ZN12_GLOBAL__N_135rocblas_gemm_batched_general_kernelIfLi16ELi16ELi32ELi32ELi8ELi32ELi8ELi8ELi32ELc67ELc84EKPKDF16_KPKfKPfEEvlllT_PT11_llSB_llS9_PT12_llPT13_lli,@function
_ZN12_GLOBAL__N_135rocblas_gemm_batched_general_kernelIfLi16ELi16ELi32ELi32ELi8ELi32ELi8ELi8ELi32ELc67ELc84EKPKDF16_KPKfKPfEEvlllT_PT11_llSB_llS9_PT12_llPT13_lli: ; @_ZN12_GLOBAL__N_135rocblas_gemm_batched_general_kernelIfLi16ELi16ELi32ELi32ELi8ELi32ELi8ELi8ELi32ELc67ELc84EKPKDF16_KPKfKPfEEvlllT_PT11_llSB_llS9_PT12_llPT13_lli
; %bb.0:
	s_clause 0x1
	s_load_dwordx8 s[12:19], s[4:5], 0x58
	s_load_dwordx2 s[34:35], s[4:5], 0x10
	s_mov_b32 s9, 0
	s_load_dwordx4 s[28:31], s[4:5], 0x0
	s_lshl_b64 s[42:43], s[8:9], 3
	s_load_dwordx4 s[8:11], s[4:5], 0x78
	s_mov_b32 s40, s7
	v_mov_b32_e32 v10, 0
	v_mov_b32_e32 v9, 0
	;; [unrolled: 1-line block ×4, first 2 shown]
	s_waitcnt lgkmcnt(0)
	s_add_u32 s0, s12, s42
	s_addc_u32 s1, s13, s43
	s_add_u32 s2, s18, s42
	s_addc_u32 s3, s19, s43
	s_load_dwordx2 s[12:13], s[0:1], 0x0
	s_load_dwordx2 s[2:3], s[2:3], 0x0
	v_cmp_lt_i64_e64 s0, s[34:35], 1
	s_ashr_i32 s7, s6, 31
	s_ashr_i32 s41, s40, 31
	s_lshl_b64 s[6:7], s[6:7], 5
	s_lshl_b64 s[18:19], s[40:41], 5
	s_and_b32 vcc_lo, exec_lo, s0
	s_cbranch_vccnz .LBB136_7
; %bb.1:
	s_clause 0x1
	s_load_dwordx4 s[36:39], s[4:5], 0x40
	s_load_dwordx8 s[20:27], s[4:5], 0x20
	v_lshl_add_u32 v2, v1, 4, v0
	v_and_b32_e32 v6, 7, v0
	v_mov_b32_e32 v3, s7
	v_mov_b32_e32 v7, 0
	v_lshlrev_b32_e32 v11, 2, v0
	v_and_b32_e32 v14, 31, v2
	v_lshrrev_b32_e32 v10, 3, v2
	v_lshrrev_b32_e32 v13, 5, v2
	v_lshlrev_b32_e32 v15, 2, v6
	v_lshl_add_u32 v12, v1, 5, 0x400
	v_or_b32_e32 v2, s6, v14
	v_add_co_u32 v4, s0, v10, s18
	v_add_co_ci_u32_e64 v5, null, 0, s19, s0
	v_add_co_u32 v17, s0, s6, v14
	v_add_co_ci_u32_e64 v18, null, s7, 0, s0
	s_waitcnt lgkmcnt(0)
	v_mad_u64_u32 v[8:9], null, s36, v6, 0
	v_cmp_gt_i64_e64 s0, s[28:29], v[2:3]
	v_lshlrev_b32_e32 v16, 2, v14
	v_cmp_gt_i64_e64 s1, s[30:31], v[4:5]
	v_mul_lo_u32 v5, s23, v17
	s_add_u32 s26, s26, s42
	s_addc_u32 s27, s27, s43
	v_mov_b32_e32 v2, v9
	v_lshl_or_b32 v14, v13, 7, v16
	v_mul_lo_u32 v16, s22, v18
	s_add_u32 s20, s20, s42
	s_addc_u32 s21, s21, s43
	v_mad_u64_u32 v[2:3], null, s37, v6, v[2:3]
	v_mad_u64_u32 v[3:4], null, s22, v17, 0
	s_load_dwordx2 s[22:23], s[26:27], 0x0
	s_load_dwordx2 s[20:21], s[20:21], 0x0
	s_lshl_b64 s[26:27], s[40:41], 6
	s_lshl_b64 s[38:39], s[38:39], 1
	v_mov_b32_e32 v9, v2
	s_add_u32 s26, s38, s26
	v_add3_u32 v4, v4, v16, v5
	s_addc_u32 s27, s39, s27
	s_lshl_b64 s[24:25], s[24:25], 1
	v_lshlrev_b64 v[8:9], 1, v[8:9]
	v_lshl_or_b32 v15, v10, 5, v15
	v_lshlrev_b64 v[2:3], 1, v[3:4]
	v_add_nc_u32_e32 v15, 0x400, v15
	v_add_co_u32 v4, vcc_lo, s26, v8
	v_lshlrev_b32_e32 v8, 1, v10
	v_add_co_ci_u32_e64 v5, null, s27, v9, vcc_lo
	v_add_co_u32 v2, vcc_lo, v2, s24
	v_lshlrev_b32_e32 v9, 1, v13
	v_add_co_ci_u32_e64 v3, null, s25, v3, vcc_lo
	v_add_co_u32 v4, vcc_lo, v4, v8
	v_add_co_ci_u32_e64 v5, null, 0, v5, vcc_lo
	v_add_co_u32 v8, vcc_lo, v2, v9
	v_add_co_ci_u32_e64 v9, null, 0, v3, vcc_lo
	s_waitcnt lgkmcnt(0)
	v_add_co_u32 v2, vcc_lo, s22, v4
	v_add_co_ci_u32_e64 v3, null, s23, v5, vcc_lo
	v_add_co_u32 v4, vcc_lo, s20, v8
	v_add_co_ci_u32_e64 v5, null, s21, v9, vcc_lo
	v_mov_b32_e32 v8, 0
	v_mov_b32_e32 v9, 0
	;; [unrolled: 1-line block ×3, first 2 shown]
	s_lshl_b64 s[20:21], s[36:37], 4
	s_mov_b64 s[22:23], 0
	s_branch .LBB136_3
.LBB136_2:                              ;   in Loop: Header=BB136_3 Depth=1
	s_or_b32 exec_lo, exec_lo, s24
	ds_write_b32 v15, v17
	s_waitcnt lgkmcnt(0)
	s_barrier
	buffer_gl0_inv
	ds_read_b128 v[16:19], v12
	ds_read2_b32 v[32:33], v11 offset1:16
	ds_read_b128 v[20:23], v12 offset:512
	ds_read2_b32 v[34:35], v11 offset0:32 offset1:48
	ds_read2_b32 v[36:37], v11 offset0:64 offset1:80
	;; [unrolled: 1-line block ×3, first 2 shown]
	ds_read_b128 v[24:27], v12 offset:16
	ds_read2_b32 v[40:41], v11 offset0:128 offset1:144
	ds_read_b128 v[28:31], v12 offset:528
	ds_read2_b32 v[42:43], v11 offset0:160 offset1:176
	s_add_u32 s22, s22, 8
	s_addc_u32 s23, s23, 0
	v_add_co_u32 v2, vcc_lo, v2, s20
	v_cmp_lt_i64_e64 s24, s[22:23], s[34:35]
	v_add_co_ci_u32_e64 v3, null, s21, v3, vcc_lo
	v_add_co_u32 v4, vcc_lo, v4, 16
	v_add_co_ci_u32_e64 v5, null, 0, v5, vcc_lo
	s_waitcnt lgkmcnt(8)
	v_fmac_f32_e32 v10, v32, v16
	v_fmac_f32_e32 v9, v33, v16
	s_waitcnt lgkmcnt(7)
	v_fmac_f32_e32 v8, v32, v20
	v_fmac_f32_e32 v7, v33, v20
	ds_read2_b32 v[32:33], v11 offset0:192 offset1:208
	s_waitcnt lgkmcnt(7)
	v_fmac_f32_e32 v10, v34, v17
	v_fmac_f32_e32 v9, v35, v17
	;; [unrolled: 1-line block ×4, first 2 shown]
	ds_read2_b32 v[16:17], v11 offset0:224 offset1:240
	s_waitcnt lgkmcnt(7)
	v_fmac_f32_e32 v10, v36, v18
	v_fmac_f32_e32 v9, v37, v18
	;; [unrolled: 1-line block ×4, first 2 shown]
	s_and_b32 vcc_lo, exec_lo, s24
	s_waitcnt lgkmcnt(6)
	v_fmac_f32_e32 v10, v38, v19
	v_fmac_f32_e32 v9, v39, v19
	;; [unrolled: 1-line block ×4, first 2 shown]
	s_waitcnt lgkmcnt(0)
	v_fmac_f32_e32 v10, v40, v24
	v_fmac_f32_e32 v9, v41, v24
	;; [unrolled: 1-line block ×4, first 2 shown]
	s_barrier
	v_fmac_f32_e32 v10, v42, v25
	v_fmac_f32_e32 v9, v43, v25
	;; [unrolled: 1-line block ×4, first 2 shown]
	buffer_gl0_inv
	v_fmac_f32_e32 v10, v32, v26
	v_fmac_f32_e32 v9, v33, v26
	;; [unrolled: 1-line block ×8, first 2 shown]
	s_cbranch_vccz .LBB136_7
.LBB136_3:                              ; =>This Inner Loop Header: Depth=1
	v_add_co_u32 v16, s24, v13, s22
	v_add_co_ci_u32_e64 v17, null, 0, s23, s24
	v_cmp_gt_i64_e32 vcc_lo, s[34:35], v[16:17]
	v_mov_b32_e32 v16, 0
	s_and_b32 s25, s0, vcc_lo
	s_and_saveexec_b32 s24, s25
	s_cbranch_execz .LBB136_5
; %bb.4:                                ;   in Loop: Header=BB136_3 Depth=1
	flat_load_ushort v16, v[4:5]
	s_waitcnt vmcnt(0) lgkmcnt(0)
	v_cvt_f32_f16_e32 v16, v16
.LBB136_5:                              ;   in Loop: Header=BB136_3 Depth=1
	s_or_b32 exec_lo, exec_lo, s24
	v_add_co_u32 v17, s24, v6, s22
	v_add_co_ci_u32_e64 v18, null, 0, s23, s24
	ds_write_b32 v14, v16
	v_cmp_gt_i64_e32 vcc_lo, s[34:35], v[17:18]
	v_mov_b32_e32 v17, 0
	s_and_b32 s25, vcc_lo, s1
	s_and_saveexec_b32 s24, s25
	s_cbranch_execz .LBB136_2
; %bb.6:                                ;   in Loop: Header=BB136_3 Depth=1
	flat_load_ushort v16, v[2:3]
	s_waitcnt vmcnt(0) lgkmcnt(0)
	v_cvt_f32_f16_e32 v17, v16
	s_branch .LBB136_2
.LBB136_7:
	s_clause 0x1
	s_load_dword s20, s[4:5], 0x50
	s_load_dword s4, s[4:5], 0x18
	v_add_co_u32 v1, s5, s18, v1
	v_add_co_ci_u32_e64 v2, null, s19, 0, s5
	s_lshl_b64 s[0:1], s[10:11], 2
	s_waitcnt lgkmcnt(0)
	s_add_u32 s5, s2, s0
	v_cmp_gt_i64_e64 s0, s[30:31], v[1:2]
	s_addc_u32 s3, s3, s1
	v_cmp_neq_f32_e64 s10, s20, 0
	s_and_b32 vcc_lo, exec_lo, s10
	s_cbranch_vccnz .LBB136_20
; %bb.8:
	s_and_saveexec_b32 s10, s0
	s_cbranch_execz .LBB136_18
; %bb.9:
	v_mul_lo_u32 v5, v2, s8
	v_mul_lo_u32 v6, v1, s9
	v_mad_u64_u32 v[3:4], null, v1, s8, 0
	v_add3_u32 v4, v4, v6, v5
	v_add_co_u32 v5, s1, s6, v0
	v_add_co_ci_u32_e64 v6, null, s7, 0, s1
	v_lshlrev_b64 v[11:12], 2, v[3:4]
	v_cmp_gt_i64_e32 vcc_lo, s[28:29], v[5:6]
	v_lshlrev_b64 v[3:4], 2, v[5:6]
	v_add_co_u32 v11, s1, s5, v11
	v_add_co_ci_u32_e64 v12, null, s3, v12, s1
	s_and_saveexec_b32 s2, vcc_lo
	s_cbranch_execz .LBB136_11
; %bb.10:
	v_add_co_u32 v13, s1, v11, v3
	v_add_co_ci_u32_e64 v14, null, v12, v4, s1
	v_mul_f32_e32 v15, s4, v10
	flat_store_dword v[13:14], v15
.LBB136_11:
	s_or_b32 exec_lo, exec_lo, s2
	v_add_co_u32 v5, s1, v5, 16
	v_add_co_ci_u32_e64 v6, null, 0, v6, s1
	v_cmp_gt_i64_e64 s1, s[28:29], v[5:6]
	s_and_saveexec_b32 s11, s1
	s_cbranch_execz .LBB136_13
; %bb.12:
	v_add_co_u32 v5, s2, v11, v3
	v_add_co_ci_u32_e64 v6, null, v12, v4, s2
	v_mul_f32_e32 v13, s4, v9
	flat_store_dword v[5:6], v13 offset:64
.LBB136_13:
	s_or_b32 exec_lo, exec_lo, s11
	v_add_co_u32 v5, s2, v1, 16
	v_add_co_ci_u32_e64 v6, null, 0, v2, s2
	v_cmp_gt_i64_e64 s2, s[30:31], v[5:6]
	s_and_b32 exec_lo, exec_lo, s2
	s_cbranch_execz .LBB136_18
; %bb.14:
	s_lshl_b64 s[18:19], s[8:9], 6
	v_add_co_u32 v5, s2, v11, s18
	v_add_co_ci_u32_e64 v6, null, s19, v12, s2
	v_add_co_u32 v3, s2, v5, v3
	v_add_co_ci_u32_e64 v4, null, v6, v4, s2
	s_and_saveexec_b32 s2, vcc_lo
	s_cbranch_execz .LBB136_16
; %bb.15:
	v_mul_f32_e32 v5, s4, v8
	flat_store_dword v[3:4], v5
.LBB136_16:
	s_or_b32 exec_lo, exec_lo, s2
	s_and_b32 exec_lo, exec_lo, s1
	s_cbranch_execz .LBB136_18
; %bb.17:
	v_mul_f32_e32 v5, s4, v7
	flat_store_dword v[3:4], v5 offset:64
.LBB136_18:
	s_or_b32 exec_lo, exec_lo, s10
	s_cbranch_execz .LBB136_21
.LBB136_19:
	s_endpgm
.LBB136_20:
.LBB136_21:
	s_and_saveexec_b32 s1, s0
	s_cbranch_execz .LBB136_19
; %bb.22:
	v_mul_lo_u32 v5, v2, s14
	v_mul_lo_u32 v6, v1, s15
	v_mad_u64_u32 v[3:4], null, v1, s14, 0
	v_mul_lo_u32 v13, v2, s8
	v_mul_lo_u32 v14, v1, s9
	v_mad_u64_u32 v[11:12], null, v1, s8, 0
	s_lshl_b64 s[0:1], s[16:17], 2
	v_add3_u32 v4, v4, v6, v5
	v_add_co_u32 v5, s2, s6, v0
	v_add_co_ci_u32_e64 v6, null, s7, 0, s2
	v_add3_u32 v12, v12, v14, v13
	v_lshlrev_b64 v[3:4], 2, v[3:4]
	s_add_u32 s0, s12, s0
	s_addc_u32 s1, s13, s1
	v_cmp_gt_i64_e32 vcc_lo, s[28:29], v[5:6]
	v_lshlrev_b64 v[12:13], 2, v[11:12]
	v_add_co_u32 v0, s0, s0, v3
	v_add_co_ci_u32_e64 v11, null, s1, v4, s0
	v_add_co_u32 v12, s0, s5, v12
	v_lshlrev_b64 v[3:4], 2, v[5:6]
	v_add_co_ci_u32_e64 v13, null, s3, v13, s0
	s_and_saveexec_b32 s1, vcc_lo
	s_cbranch_execz .LBB136_24
; %bb.23:
	v_add_co_u32 v14, s0, v0, v3
	v_add_co_ci_u32_e64 v15, null, v11, v4, s0
	flat_load_dword v14, v[14:15]
	s_waitcnt vmcnt(0) lgkmcnt(0)
	v_mul_f32_e32 v16, s20, v14
	v_add_co_u32 v14, s0, v12, v3
	v_add_co_ci_u32_e64 v15, null, v13, v4, s0
	v_fmac_f32_e32 v16, s4, v10
	flat_store_dword v[14:15], v16
.LBB136_24:
	s_or_b32 exec_lo, exec_lo, s1
	v_add_co_u32 v5, s0, v5, 16
	v_add_co_ci_u32_e64 v6, null, 0, v6, s0
	v_cmp_gt_i64_e64 s0, s[28:29], v[5:6]
	s_and_saveexec_b32 s2, s0
	s_cbranch_execz .LBB136_26
; %bb.25:
	v_add_co_u32 v5, s1, v0, v3
	v_add_co_ci_u32_e64 v6, null, v11, v4, s1
	flat_load_dword v5, v[5:6] offset:64
	s_waitcnt vmcnt(0) lgkmcnt(0)
	v_mul_f32_e32 v10, s20, v5
	v_add_co_u32 v5, s1, v12, v3
	v_add_co_ci_u32_e64 v6, null, v13, v4, s1
	v_fmac_f32_e32 v10, s4, v9
	flat_store_dword v[5:6], v10 offset:64
.LBB136_26:
	s_or_b32 exec_lo, exec_lo, s2
	v_add_co_u32 v1, s1, v1, 16
	v_add_co_ci_u32_e64 v2, null, 0, v2, s1
	v_cmp_gt_i64_e64 s1, s[30:31], v[1:2]
	s_and_b32 exec_lo, exec_lo, s1
	s_cbranch_execz .LBB136_19
; %bb.27:
	s_lshl_b64 s[2:3], s[14:15], 6
	v_add_co_u32 v0, s1, v0, s2
	v_add_co_ci_u32_e64 v1, null, s3, v11, s1
	s_lshl_b64 s[2:3], s[8:9], 6
	v_add_co_u32 v2, s1, v12, s2
	v_add_co_ci_u32_e64 v5, null, s3, v13, s1
	v_add_co_u32 v0, s1, v0, v3
	v_add_co_ci_u32_e64 v1, null, v1, v4, s1
	;; [unrolled: 2-line block ×3, first 2 shown]
	s_and_saveexec_b32 s1, vcc_lo
	s_cbranch_execz .LBB136_29
; %bb.28:
	flat_load_dword v4, v[0:1]
	s_waitcnt vmcnt(0) lgkmcnt(0)
	v_mul_f32_e32 v4, s20, v4
	v_fmac_f32_e32 v4, s4, v8
	flat_store_dword v[2:3], v4
.LBB136_29:
	s_or_b32 exec_lo, exec_lo, s1
	s_and_b32 exec_lo, exec_lo, s0
	s_cbranch_execz .LBB136_19
; %bb.30:
	flat_load_dword v0, v[0:1] offset:64
	s_waitcnt vmcnt(0) lgkmcnt(0)
	v_mul_f32_e32 v0, s20, v0
	v_fmac_f32_e32 v0, s4, v7
	flat_store_dword v[2:3], v0 offset:64
	s_endpgm
	.section	.rodata,"a",@progbits
	.p2align	6, 0x0
	.amdhsa_kernel _ZN12_GLOBAL__N_135rocblas_gemm_batched_general_kernelIfLi16ELi16ELi32ELi32ELi8ELi32ELi8ELi8ELi32ELc67ELc84EKPKDF16_KPKfKPfEEvlllT_PT11_llSB_llS9_PT12_llPT13_lli
		.amdhsa_group_segment_fixed_size 2048
		.amdhsa_private_segment_fixed_size 0
		.amdhsa_kernarg_size 140
		.amdhsa_user_sgpr_count 6
		.amdhsa_user_sgpr_private_segment_buffer 1
		.amdhsa_user_sgpr_dispatch_ptr 0
		.amdhsa_user_sgpr_queue_ptr 0
		.amdhsa_user_sgpr_kernarg_segment_ptr 1
		.amdhsa_user_sgpr_dispatch_id 0
		.amdhsa_user_sgpr_flat_scratch_init 0
		.amdhsa_user_sgpr_private_segment_size 0
		.amdhsa_wavefront_size32 1
		.amdhsa_uses_dynamic_stack 0
		.amdhsa_system_sgpr_private_segment_wavefront_offset 0
		.amdhsa_system_sgpr_workgroup_id_x 1
		.amdhsa_system_sgpr_workgroup_id_y 1
		.amdhsa_system_sgpr_workgroup_id_z 1
		.amdhsa_system_sgpr_workgroup_info 0
		.amdhsa_system_vgpr_workitem_id 1
		.amdhsa_next_free_vgpr 44
		.amdhsa_next_free_sgpr 44
		.amdhsa_reserve_vcc 1
		.amdhsa_reserve_flat_scratch 0
		.amdhsa_float_round_mode_32 0
		.amdhsa_float_round_mode_16_64 0
		.amdhsa_float_denorm_mode_32 3
		.amdhsa_float_denorm_mode_16_64 3
		.amdhsa_dx10_clamp 1
		.amdhsa_ieee_mode 1
		.amdhsa_fp16_overflow 0
		.amdhsa_workgroup_processor_mode 1
		.amdhsa_memory_ordered 1
		.amdhsa_forward_progress 1
		.amdhsa_shared_vgpr_count 0
		.amdhsa_exception_fp_ieee_invalid_op 0
		.amdhsa_exception_fp_denorm_src 0
		.amdhsa_exception_fp_ieee_div_zero 0
		.amdhsa_exception_fp_ieee_overflow 0
		.amdhsa_exception_fp_ieee_underflow 0
		.amdhsa_exception_fp_ieee_inexact 0
		.amdhsa_exception_int_div_zero 0
	.end_amdhsa_kernel
	.section	.text._ZN12_GLOBAL__N_135rocblas_gemm_batched_general_kernelIfLi16ELi16ELi32ELi32ELi8ELi32ELi8ELi8ELi32ELc67ELc84EKPKDF16_KPKfKPfEEvlllT_PT11_llSB_llS9_PT12_llPT13_lli,"axG",@progbits,_ZN12_GLOBAL__N_135rocblas_gemm_batched_general_kernelIfLi16ELi16ELi32ELi32ELi8ELi32ELi8ELi8ELi32ELc67ELc84EKPKDF16_KPKfKPfEEvlllT_PT11_llSB_llS9_PT12_llPT13_lli,comdat
.Lfunc_end136:
	.size	_ZN12_GLOBAL__N_135rocblas_gemm_batched_general_kernelIfLi16ELi16ELi32ELi32ELi8ELi32ELi8ELi8ELi32ELc67ELc84EKPKDF16_KPKfKPfEEvlllT_PT11_llSB_llS9_PT12_llPT13_lli, .Lfunc_end136-_ZN12_GLOBAL__N_135rocblas_gemm_batched_general_kernelIfLi16ELi16ELi32ELi32ELi8ELi32ELi8ELi8ELi32ELc67ELc84EKPKDF16_KPKfKPfEEvlllT_PT11_llSB_llS9_PT12_llPT13_lli
                                        ; -- End function
	.set _ZN12_GLOBAL__N_135rocblas_gemm_batched_general_kernelIfLi16ELi16ELi32ELi32ELi8ELi32ELi8ELi8ELi32ELc67ELc84EKPKDF16_KPKfKPfEEvlllT_PT11_llSB_llS9_PT12_llPT13_lli.num_vgpr, 44
	.set _ZN12_GLOBAL__N_135rocblas_gemm_batched_general_kernelIfLi16ELi16ELi32ELi32ELi8ELi32ELi8ELi8ELi32ELc67ELc84EKPKDF16_KPKfKPfEEvlllT_PT11_llSB_llS9_PT12_llPT13_lli.num_agpr, 0
	.set _ZN12_GLOBAL__N_135rocblas_gemm_batched_general_kernelIfLi16ELi16ELi32ELi32ELi8ELi32ELi8ELi8ELi32ELc67ELc84EKPKDF16_KPKfKPfEEvlllT_PT11_llSB_llS9_PT12_llPT13_lli.numbered_sgpr, 44
	.set _ZN12_GLOBAL__N_135rocblas_gemm_batched_general_kernelIfLi16ELi16ELi32ELi32ELi8ELi32ELi8ELi8ELi32ELc67ELc84EKPKDF16_KPKfKPfEEvlllT_PT11_llSB_llS9_PT12_llPT13_lli.num_named_barrier, 0
	.set _ZN12_GLOBAL__N_135rocblas_gemm_batched_general_kernelIfLi16ELi16ELi32ELi32ELi8ELi32ELi8ELi8ELi32ELc67ELc84EKPKDF16_KPKfKPfEEvlllT_PT11_llSB_llS9_PT12_llPT13_lli.private_seg_size, 0
	.set _ZN12_GLOBAL__N_135rocblas_gemm_batched_general_kernelIfLi16ELi16ELi32ELi32ELi8ELi32ELi8ELi8ELi32ELc67ELc84EKPKDF16_KPKfKPfEEvlllT_PT11_llSB_llS9_PT12_llPT13_lli.uses_vcc, 1
	.set _ZN12_GLOBAL__N_135rocblas_gemm_batched_general_kernelIfLi16ELi16ELi32ELi32ELi8ELi32ELi8ELi8ELi32ELc67ELc84EKPKDF16_KPKfKPfEEvlllT_PT11_llSB_llS9_PT12_llPT13_lli.uses_flat_scratch, 0
	.set _ZN12_GLOBAL__N_135rocblas_gemm_batched_general_kernelIfLi16ELi16ELi32ELi32ELi8ELi32ELi8ELi8ELi32ELc67ELc84EKPKDF16_KPKfKPfEEvlllT_PT11_llSB_llS9_PT12_llPT13_lli.has_dyn_sized_stack, 0
	.set _ZN12_GLOBAL__N_135rocblas_gemm_batched_general_kernelIfLi16ELi16ELi32ELi32ELi8ELi32ELi8ELi8ELi32ELc67ELc84EKPKDF16_KPKfKPfEEvlllT_PT11_llSB_llS9_PT12_llPT13_lli.has_recursion, 0
	.set _ZN12_GLOBAL__N_135rocblas_gemm_batched_general_kernelIfLi16ELi16ELi32ELi32ELi8ELi32ELi8ELi8ELi32ELc67ELc84EKPKDF16_KPKfKPfEEvlllT_PT11_llSB_llS9_PT12_llPT13_lli.has_indirect_call, 0
	.section	.AMDGPU.csdata,"",@progbits
; Kernel info:
; codeLenInByte = 1916
; TotalNumSgprs: 46
; NumVgprs: 44
; ScratchSize: 0
; MemoryBound: 0
; FloatMode: 240
; IeeeMode: 1
; LDSByteSize: 2048 bytes/workgroup (compile time only)
; SGPRBlocks: 0
; VGPRBlocks: 5
; NumSGPRsForWavesPerEU: 46
; NumVGPRsForWavesPerEU: 44
; Occupancy: 16
; WaveLimiterHint : 1
; COMPUTE_PGM_RSRC2:SCRATCH_EN: 0
; COMPUTE_PGM_RSRC2:USER_SGPR: 6
; COMPUTE_PGM_RSRC2:TRAP_HANDLER: 0
; COMPUTE_PGM_RSRC2:TGID_X_EN: 1
; COMPUTE_PGM_RSRC2:TGID_Y_EN: 1
; COMPUTE_PGM_RSRC2:TGID_Z_EN: 1
; COMPUTE_PGM_RSRC2:TIDIG_COMP_CNT: 1
	.section	.text._ZN12_GLOBAL__N_135rocblas_gemm_batched_general_kernelIfLi16ELi16ELi32ELi32ELi8ELi32ELi8ELi8ELi32ELc78ELc67EKPKDF16_KPKfKPfEEvlllT_PT11_llSB_llS9_PT12_llPT13_lli,"axG",@progbits,_ZN12_GLOBAL__N_135rocblas_gemm_batched_general_kernelIfLi16ELi16ELi32ELi32ELi8ELi32ELi8ELi8ELi32ELc78ELc67EKPKDF16_KPKfKPfEEvlllT_PT11_llSB_llS9_PT12_llPT13_lli,comdat
	.globl	_ZN12_GLOBAL__N_135rocblas_gemm_batched_general_kernelIfLi16ELi16ELi32ELi32ELi8ELi32ELi8ELi8ELi32ELc78ELc67EKPKDF16_KPKfKPfEEvlllT_PT11_llSB_llS9_PT12_llPT13_lli ; -- Begin function _ZN12_GLOBAL__N_135rocblas_gemm_batched_general_kernelIfLi16ELi16ELi32ELi32ELi8ELi32ELi8ELi8ELi32ELc78ELc67EKPKDF16_KPKfKPfEEvlllT_PT11_llSB_llS9_PT12_llPT13_lli
	.p2align	8
	.type	_ZN12_GLOBAL__N_135rocblas_gemm_batched_general_kernelIfLi16ELi16ELi32ELi32ELi8ELi32ELi8ELi8ELi32ELc78ELc67EKPKDF16_KPKfKPfEEvlllT_PT11_llSB_llS9_PT12_llPT13_lli,@function
_ZN12_GLOBAL__N_135rocblas_gemm_batched_general_kernelIfLi16ELi16ELi32ELi32ELi8ELi32ELi8ELi8ELi32ELc78ELc67EKPKDF16_KPKfKPfEEvlllT_PT11_llSB_llS9_PT12_llPT13_lli: ; @_ZN12_GLOBAL__N_135rocblas_gemm_batched_general_kernelIfLi16ELi16ELi32ELi32ELi8ELi32ELi8ELi8ELi32ELc78ELc67EKPKDF16_KPKfKPfEEvlllT_PT11_llSB_llS9_PT12_llPT13_lli
; %bb.0:
	s_clause 0x1
	s_load_dwordx8 s[12:19], s[4:5], 0x58
	s_load_dwordx2 s[34:35], s[4:5], 0x10
	s_mov_b32 s9, 0
	s_load_dwordx4 s[28:31], s[4:5], 0x0
	s_lshl_b64 s[44:45], s[8:9], 3
	s_load_dwordx4 s[8:11], s[4:5], 0x78
	s_mov_b32 s42, s7
	v_mov_b32_e32 v10, 0
	v_mov_b32_e32 v9, 0
	;; [unrolled: 1-line block ×4, first 2 shown]
	s_waitcnt lgkmcnt(0)
	s_add_u32 s0, s12, s44
	s_addc_u32 s1, s13, s45
	s_add_u32 s2, s18, s44
	s_addc_u32 s3, s19, s45
	s_load_dwordx2 s[12:13], s[0:1], 0x0
	s_load_dwordx2 s[2:3], s[2:3], 0x0
	v_cmp_lt_i64_e64 s0, s[34:35], 1
	s_ashr_i32 s7, s6, 31
	s_ashr_i32 s43, s42, 31
	s_lshl_b64 s[18:19], s[6:7], 5
	s_lshl_b64 s[40:41], s[42:43], 5
	s_and_b32 vcc_lo, exec_lo, s0
	s_cbranch_vccnz .LBB137_7
; %bb.1:
	s_clause 0x1
	s_load_dwordx4 s[36:39], s[4:5], 0x40
	s_load_dwordx8 s[20:27], s[4:5], 0x20
	v_lshl_add_u32 v2, v1, 4, v0
	v_and_b32_e32 v6, 7, v0
	v_mov_b32_e32 v3, s19
	v_mov_b32_e32 v7, 0
	v_lshlrev_b32_e32 v11, 2, v0
	v_lshrrev_b32_e32 v13, 5, v2
	v_and_b32_e32 v18, 31, v2
	v_lshrrev_b32_e32 v10, 3, v2
	v_lshlrev_b32_e32 v14, 2, v6
	v_lshl_add_u32 v12, v1, 5, 0x400
	v_or_b32_e32 v2, s18, v18
	v_add_co_u32 v4, s0, v10, s40
	v_add_co_ci_u32_e64 v5, null, 0, s41, s0
	v_cmp_gt_i64_e64 s0, s[28:29], v[2:3]
	v_lshl_or_b32 v19, v10, 5, v14
	s_waitcnt lgkmcnt(0)
	v_mad_u64_u32 v[8:9], null, s36, v6, 0
	v_mad_u64_u32 v[16:17], null, s22, v13, 0
	v_cmp_gt_i64_e64 s1, s[30:31], v[4:5]
	s_add_u32 s26, s26, s44
	s_addc_u32 s27, s27, s45
	s_add_u32 s20, s20, s44
	v_mov_b32_e32 v2, v9
	s_load_dwordx2 s[26:27], s[26:27], 0x0
	v_mov_b32_e32 v3, v17
	s_addc_u32 s21, s21, s45
	s_lshl_b64 s[42:43], s[42:43], 6
	s_load_dwordx2 s[20:21], s[20:21], 0x0
	s_lshl_b64 s[38:39], s[38:39], 1
	v_mad_u64_u32 v[4:5], null, s37, v6, v[2:3]
	s_add_u32 s33, s38, s42
	s_addc_u32 s42, s39, s43
	s_lshl_b64 s[38:39], s[6:7], 6
	s_lshl_b64 s[24:25], s[24:25], 1
	;; [unrolled: 1-line block ×3, first 2 shown]
	v_lshlrev_b32_e32 v10, 1, v10
	v_mad_u64_u32 v[2:3], null, s23, v13, v[3:4]
	v_mov_b32_e32 v9, v4
	s_add_u32 s24, s24, s38
	s_addc_u32 s25, s25, s39
	v_lshlrev_b32_e32 v15, 2, v18
	v_mov_b32_e32 v17, v2
	v_lshlrev_b64 v[2:3], 1, v[8:9]
	v_lshlrev_b32_e32 v8, 1, v18
	v_lshl_or_b32 v14, v13, 7, v15
	v_add_nc_u32_e32 v15, 0x400, v19
	v_lshlrev_b64 v[4:5], 1, v[16:17]
	v_mov_b32_e32 v9, 0
	v_add_co_u32 v2, vcc_lo, s33, v2
	v_add_co_ci_u32_e64 v3, null, s42, v3, vcc_lo
	v_add_co_u32 v4, vcc_lo, s24, v4
	v_add_co_ci_u32_e64 v5, null, s25, v5, vcc_lo
	v_add_co_u32 v2, vcc_lo, v2, v10
	v_add_co_ci_u32_e64 v3, null, 0, v3, vcc_lo
	v_add_co_u32 v4, vcc_lo, v4, v8
	v_add_co_ci_u32_e64 v5, null, 0, v5, vcc_lo
	s_waitcnt lgkmcnt(0)
	v_add_co_u32 v2, vcc_lo, s26, v2
	v_add_co_ci_u32_e64 v3, null, s27, v3, vcc_lo
	v_add_co_u32 v4, vcc_lo, s20, v4
	v_add_co_ci_u32_e64 v5, null, s21, v5, vcc_lo
	v_mov_b32_e32 v8, 0
	v_mov_b32_e32 v10, 0
	s_lshl_b64 s[20:21], s[22:23], 4
	s_mov_b64 s[22:23], 0
	s_branch .LBB137_3
.LBB137_2:                              ;   in Loop: Header=BB137_3 Depth=1
	s_or_b32 exec_lo, exec_lo, s24
	ds_write_b32 v15, v17
	s_waitcnt lgkmcnt(0)
	s_barrier
	buffer_gl0_inv
	ds_read_b128 v[16:19], v12
	ds_read2_b32 v[32:33], v11 offset1:16
	ds_read_b128 v[20:23], v12 offset:512
	ds_read2_b32 v[34:35], v11 offset0:32 offset1:48
	ds_read2_b32 v[36:37], v11 offset0:64 offset1:80
	;; [unrolled: 1-line block ×3, first 2 shown]
	ds_read_b128 v[24:27], v12 offset:16
	ds_read2_b32 v[40:41], v11 offset0:128 offset1:144
	ds_read_b128 v[28:31], v12 offset:528
	ds_read2_b32 v[42:43], v11 offset0:160 offset1:176
	s_add_u32 s22, s22, 8
	s_addc_u32 s23, s23, 0
	v_add_co_u32 v2, vcc_lo, v2, s6
	v_cmp_lt_i64_e64 s24, s[22:23], s[34:35]
	v_add_co_ci_u32_e64 v3, null, s7, v3, vcc_lo
	v_add_co_u32 v4, vcc_lo, v4, s20
	v_add_co_ci_u32_e64 v5, null, s21, v5, vcc_lo
	s_waitcnt lgkmcnt(8)
	v_fmac_f32_e32 v10, v32, v16
	v_fmac_f32_e32 v9, v33, v16
	s_waitcnt lgkmcnt(7)
	v_fmac_f32_e32 v8, v32, v20
	v_fmac_f32_e32 v7, v33, v20
	ds_read2_b32 v[32:33], v11 offset0:192 offset1:208
	s_waitcnt lgkmcnt(7)
	v_fmac_f32_e32 v10, v34, v17
	v_fmac_f32_e32 v9, v35, v17
	;; [unrolled: 1-line block ×4, first 2 shown]
	ds_read2_b32 v[16:17], v11 offset0:224 offset1:240
	s_waitcnt lgkmcnt(7)
	v_fmac_f32_e32 v10, v36, v18
	v_fmac_f32_e32 v9, v37, v18
	;; [unrolled: 1-line block ×4, first 2 shown]
	s_and_b32 vcc_lo, exec_lo, s24
	s_waitcnt lgkmcnt(6)
	v_fmac_f32_e32 v10, v38, v19
	v_fmac_f32_e32 v9, v39, v19
	;; [unrolled: 1-line block ×4, first 2 shown]
	s_waitcnt lgkmcnt(0)
	v_fmac_f32_e32 v10, v40, v24
	v_fmac_f32_e32 v9, v41, v24
	v_fmac_f32_e32 v8, v40, v28
	v_fmac_f32_e32 v7, v41, v28
	s_barrier
	v_fmac_f32_e32 v10, v42, v25
	v_fmac_f32_e32 v9, v43, v25
	;; [unrolled: 1-line block ×4, first 2 shown]
	buffer_gl0_inv
	v_fmac_f32_e32 v10, v32, v26
	v_fmac_f32_e32 v9, v33, v26
	;; [unrolled: 1-line block ×8, first 2 shown]
	s_cbranch_vccz .LBB137_7
.LBB137_3:                              ; =>This Inner Loop Header: Depth=1
	v_add_co_u32 v16, s24, v13, s22
	v_add_co_ci_u32_e64 v17, null, 0, s23, s24
	v_cmp_gt_i64_e32 vcc_lo, s[34:35], v[16:17]
	v_mov_b32_e32 v16, 0
	s_and_b32 s25, s0, vcc_lo
	s_and_saveexec_b32 s24, s25
	s_cbranch_execz .LBB137_5
; %bb.4:                                ;   in Loop: Header=BB137_3 Depth=1
	flat_load_ushort v16, v[4:5]
	s_waitcnt vmcnt(0) lgkmcnt(0)
	v_cvt_f32_f16_e32 v16, v16
.LBB137_5:                              ;   in Loop: Header=BB137_3 Depth=1
	s_or_b32 exec_lo, exec_lo, s24
	v_add_co_u32 v17, s24, v6, s22
	v_add_co_ci_u32_e64 v18, null, 0, s23, s24
	ds_write_b32 v14, v16
	v_cmp_gt_i64_e32 vcc_lo, s[34:35], v[17:18]
	v_mov_b32_e32 v17, 0
	s_and_b32 s25, vcc_lo, s1
	s_and_saveexec_b32 s24, s25
	s_cbranch_execz .LBB137_2
; %bb.6:                                ;   in Loop: Header=BB137_3 Depth=1
	flat_load_ushort v16, v[2:3]
	s_waitcnt vmcnt(0) lgkmcnt(0)
	v_cvt_f32_f16_e32 v17, v16
	s_branch .LBB137_2
.LBB137_7:
	s_clause 0x1
	s_load_dword s6, s[4:5], 0x50
	s_load_dword s4, s[4:5], 0x18
	v_add_co_u32 v1, s5, s40, v1
	v_add_co_ci_u32_e64 v2, null, s41, 0, s5
	s_lshl_b64 s[0:1], s[10:11], 2
	s_waitcnt lgkmcnt(0)
	s_add_u32 s5, s2, s0
	v_cmp_gt_i64_e64 s0, s[30:31], v[1:2]
	s_addc_u32 s3, s3, s1
	v_cmp_neq_f32_e64 s7, s6, 0
	s_and_b32 vcc_lo, exec_lo, s7
	s_cbranch_vccnz .LBB137_20
; %bb.8:
	s_and_saveexec_b32 s7, s0
	s_cbranch_execz .LBB137_18
; %bb.9:
	v_mul_lo_u32 v5, v2, s8
	v_mul_lo_u32 v6, v1, s9
	v_mad_u64_u32 v[3:4], null, v1, s8, 0
	v_add3_u32 v4, v4, v6, v5
	v_add_co_u32 v5, s1, s18, v0
	v_add_co_ci_u32_e64 v6, null, s19, 0, s1
	v_lshlrev_b64 v[11:12], 2, v[3:4]
	v_cmp_gt_i64_e32 vcc_lo, s[28:29], v[5:6]
	v_lshlrev_b64 v[3:4], 2, v[5:6]
	v_add_co_u32 v11, s1, s5, v11
	v_add_co_ci_u32_e64 v12, null, s3, v12, s1
	s_and_saveexec_b32 s2, vcc_lo
	s_cbranch_execz .LBB137_11
; %bb.10:
	v_add_co_u32 v13, s1, v11, v3
	v_add_co_ci_u32_e64 v14, null, v12, v4, s1
	v_mul_f32_e32 v15, s4, v10
	flat_store_dword v[13:14], v15
.LBB137_11:
	s_or_b32 exec_lo, exec_lo, s2
	v_add_co_u32 v5, s1, v5, 16
	v_add_co_ci_u32_e64 v6, null, 0, v6, s1
	v_cmp_gt_i64_e64 s1, s[28:29], v[5:6]
	s_and_saveexec_b32 s10, s1
	s_cbranch_execz .LBB137_13
; %bb.12:
	v_add_co_u32 v5, s2, v11, v3
	v_add_co_ci_u32_e64 v6, null, v12, v4, s2
	v_mul_f32_e32 v13, s4, v9
	flat_store_dword v[5:6], v13 offset:64
.LBB137_13:
	s_or_b32 exec_lo, exec_lo, s10
	v_add_co_u32 v5, s2, v1, 16
	v_add_co_ci_u32_e64 v6, null, 0, v2, s2
	v_cmp_gt_i64_e64 s2, s[30:31], v[5:6]
	s_and_b32 exec_lo, exec_lo, s2
	s_cbranch_execz .LBB137_18
; %bb.14:
	s_lshl_b64 s[10:11], s[8:9], 6
	v_add_co_u32 v5, s2, v11, s10
	v_add_co_ci_u32_e64 v6, null, s11, v12, s2
	v_add_co_u32 v3, s2, v5, v3
	v_add_co_ci_u32_e64 v4, null, v6, v4, s2
	s_and_saveexec_b32 s2, vcc_lo
	s_cbranch_execz .LBB137_16
; %bb.15:
	v_mul_f32_e32 v5, s4, v8
	flat_store_dword v[3:4], v5
.LBB137_16:
	s_or_b32 exec_lo, exec_lo, s2
	s_and_b32 exec_lo, exec_lo, s1
	s_cbranch_execz .LBB137_18
; %bb.17:
	v_mul_f32_e32 v5, s4, v7
	flat_store_dword v[3:4], v5 offset:64
.LBB137_18:
	s_or_b32 exec_lo, exec_lo, s7
	s_cbranch_execz .LBB137_21
.LBB137_19:
	s_endpgm
.LBB137_20:
.LBB137_21:
	s_and_saveexec_b32 s1, s0
	s_cbranch_execz .LBB137_19
; %bb.22:
	v_mul_lo_u32 v5, v2, s14
	v_mul_lo_u32 v6, v1, s15
	v_mad_u64_u32 v[3:4], null, v1, s14, 0
	v_mul_lo_u32 v13, v2, s8
	v_mul_lo_u32 v14, v1, s9
	v_mad_u64_u32 v[11:12], null, v1, s8, 0
	s_lshl_b64 s[0:1], s[16:17], 2
	v_add3_u32 v4, v4, v6, v5
	v_add_co_u32 v5, s2, s18, v0
	v_add_co_ci_u32_e64 v6, null, s19, 0, s2
	v_add3_u32 v12, v12, v14, v13
	v_lshlrev_b64 v[3:4], 2, v[3:4]
	s_add_u32 s0, s12, s0
	s_addc_u32 s1, s13, s1
	v_cmp_gt_i64_e32 vcc_lo, s[28:29], v[5:6]
	v_lshlrev_b64 v[12:13], 2, v[11:12]
	v_add_co_u32 v0, s0, s0, v3
	v_add_co_ci_u32_e64 v11, null, s1, v4, s0
	v_add_co_u32 v12, s0, s5, v12
	v_lshlrev_b64 v[3:4], 2, v[5:6]
	v_add_co_ci_u32_e64 v13, null, s3, v13, s0
	s_and_saveexec_b32 s1, vcc_lo
	s_cbranch_execz .LBB137_24
; %bb.23:
	v_add_co_u32 v14, s0, v0, v3
	v_add_co_ci_u32_e64 v15, null, v11, v4, s0
	flat_load_dword v14, v[14:15]
	s_waitcnt vmcnt(0) lgkmcnt(0)
	v_mul_f32_e32 v16, s6, v14
	v_add_co_u32 v14, s0, v12, v3
	v_add_co_ci_u32_e64 v15, null, v13, v4, s0
	v_fmac_f32_e32 v16, s4, v10
	flat_store_dword v[14:15], v16
.LBB137_24:
	s_or_b32 exec_lo, exec_lo, s1
	v_add_co_u32 v5, s0, v5, 16
	v_add_co_ci_u32_e64 v6, null, 0, v6, s0
	v_cmp_gt_i64_e64 s0, s[28:29], v[5:6]
	s_and_saveexec_b32 s2, s0
	s_cbranch_execz .LBB137_26
; %bb.25:
	v_add_co_u32 v5, s1, v0, v3
	v_add_co_ci_u32_e64 v6, null, v11, v4, s1
	flat_load_dword v5, v[5:6] offset:64
	s_waitcnt vmcnt(0) lgkmcnt(0)
	v_mul_f32_e32 v10, s6, v5
	v_add_co_u32 v5, s1, v12, v3
	v_add_co_ci_u32_e64 v6, null, v13, v4, s1
	v_fmac_f32_e32 v10, s4, v9
	flat_store_dword v[5:6], v10 offset:64
.LBB137_26:
	s_or_b32 exec_lo, exec_lo, s2
	v_add_co_u32 v1, s1, v1, 16
	v_add_co_ci_u32_e64 v2, null, 0, v2, s1
	v_cmp_gt_i64_e64 s1, s[30:31], v[1:2]
	s_and_b32 exec_lo, exec_lo, s1
	s_cbranch_execz .LBB137_19
; %bb.27:
	s_lshl_b64 s[2:3], s[14:15], 6
	v_add_co_u32 v0, s1, v0, s2
	v_add_co_ci_u32_e64 v1, null, s3, v11, s1
	s_lshl_b64 s[2:3], s[8:9], 6
	v_add_co_u32 v2, s1, v12, s2
	v_add_co_ci_u32_e64 v5, null, s3, v13, s1
	v_add_co_u32 v0, s1, v0, v3
	v_add_co_ci_u32_e64 v1, null, v1, v4, s1
	;; [unrolled: 2-line block ×3, first 2 shown]
	s_and_saveexec_b32 s1, vcc_lo
	s_cbranch_execz .LBB137_29
; %bb.28:
	flat_load_dword v4, v[0:1]
	s_waitcnt vmcnt(0) lgkmcnt(0)
	v_mul_f32_e32 v4, s6, v4
	v_fmac_f32_e32 v4, s4, v8
	flat_store_dword v[2:3], v4
.LBB137_29:
	s_or_b32 exec_lo, exec_lo, s1
	s_and_b32 exec_lo, exec_lo, s0
	s_cbranch_execz .LBB137_19
; %bb.30:
	flat_load_dword v0, v[0:1] offset:64
	s_waitcnt vmcnt(0) lgkmcnt(0)
	v_mul_f32_e32 v0, s6, v0
	v_fmac_f32_e32 v0, s4, v7
	flat_store_dword v[2:3], v0 offset:64
	s_endpgm
	.section	.rodata,"a",@progbits
	.p2align	6, 0x0
	.amdhsa_kernel _ZN12_GLOBAL__N_135rocblas_gemm_batched_general_kernelIfLi16ELi16ELi32ELi32ELi8ELi32ELi8ELi8ELi32ELc78ELc67EKPKDF16_KPKfKPfEEvlllT_PT11_llSB_llS9_PT12_llPT13_lli
		.amdhsa_group_segment_fixed_size 2048
		.amdhsa_private_segment_fixed_size 0
		.amdhsa_kernarg_size 140
		.amdhsa_user_sgpr_count 6
		.amdhsa_user_sgpr_private_segment_buffer 1
		.amdhsa_user_sgpr_dispatch_ptr 0
		.amdhsa_user_sgpr_queue_ptr 0
		.amdhsa_user_sgpr_kernarg_segment_ptr 1
		.amdhsa_user_sgpr_dispatch_id 0
		.amdhsa_user_sgpr_flat_scratch_init 0
		.amdhsa_user_sgpr_private_segment_size 0
		.amdhsa_wavefront_size32 1
		.amdhsa_uses_dynamic_stack 0
		.amdhsa_system_sgpr_private_segment_wavefront_offset 0
		.amdhsa_system_sgpr_workgroup_id_x 1
		.amdhsa_system_sgpr_workgroup_id_y 1
		.amdhsa_system_sgpr_workgroup_id_z 1
		.amdhsa_system_sgpr_workgroup_info 0
		.amdhsa_system_vgpr_workitem_id 1
		.amdhsa_next_free_vgpr 44
		.amdhsa_next_free_sgpr 46
		.amdhsa_reserve_vcc 1
		.amdhsa_reserve_flat_scratch 0
		.amdhsa_float_round_mode_32 0
		.amdhsa_float_round_mode_16_64 0
		.amdhsa_float_denorm_mode_32 3
		.amdhsa_float_denorm_mode_16_64 3
		.amdhsa_dx10_clamp 1
		.amdhsa_ieee_mode 1
		.amdhsa_fp16_overflow 0
		.amdhsa_workgroup_processor_mode 1
		.amdhsa_memory_ordered 1
		.amdhsa_forward_progress 1
		.amdhsa_shared_vgpr_count 0
		.amdhsa_exception_fp_ieee_invalid_op 0
		.amdhsa_exception_fp_denorm_src 0
		.amdhsa_exception_fp_ieee_div_zero 0
		.amdhsa_exception_fp_ieee_overflow 0
		.amdhsa_exception_fp_ieee_underflow 0
		.amdhsa_exception_fp_ieee_inexact 0
		.amdhsa_exception_int_div_zero 0
	.end_amdhsa_kernel
	.section	.text._ZN12_GLOBAL__N_135rocblas_gemm_batched_general_kernelIfLi16ELi16ELi32ELi32ELi8ELi32ELi8ELi8ELi32ELc78ELc67EKPKDF16_KPKfKPfEEvlllT_PT11_llSB_llS9_PT12_llPT13_lli,"axG",@progbits,_ZN12_GLOBAL__N_135rocblas_gemm_batched_general_kernelIfLi16ELi16ELi32ELi32ELi8ELi32ELi8ELi8ELi32ELc78ELc67EKPKDF16_KPKfKPfEEvlllT_PT11_llSB_llS9_PT12_llPT13_lli,comdat
.Lfunc_end137:
	.size	_ZN12_GLOBAL__N_135rocblas_gemm_batched_general_kernelIfLi16ELi16ELi32ELi32ELi8ELi32ELi8ELi8ELi32ELc78ELc67EKPKDF16_KPKfKPfEEvlllT_PT11_llSB_llS9_PT12_llPT13_lli, .Lfunc_end137-_ZN12_GLOBAL__N_135rocblas_gemm_batched_general_kernelIfLi16ELi16ELi32ELi32ELi8ELi32ELi8ELi8ELi32ELc78ELc67EKPKDF16_KPKfKPfEEvlllT_PT11_llSB_llS9_PT12_llPT13_lli
                                        ; -- End function
	.set _ZN12_GLOBAL__N_135rocblas_gemm_batched_general_kernelIfLi16ELi16ELi32ELi32ELi8ELi32ELi8ELi8ELi32ELc78ELc67EKPKDF16_KPKfKPfEEvlllT_PT11_llSB_llS9_PT12_llPT13_lli.num_vgpr, 44
	.set _ZN12_GLOBAL__N_135rocblas_gemm_batched_general_kernelIfLi16ELi16ELi32ELi32ELi8ELi32ELi8ELi8ELi32ELc78ELc67EKPKDF16_KPKfKPfEEvlllT_PT11_llSB_llS9_PT12_llPT13_lli.num_agpr, 0
	.set _ZN12_GLOBAL__N_135rocblas_gemm_batched_general_kernelIfLi16ELi16ELi32ELi32ELi8ELi32ELi8ELi8ELi32ELc78ELc67EKPKDF16_KPKfKPfEEvlllT_PT11_llSB_llS9_PT12_llPT13_lli.numbered_sgpr, 46
	.set _ZN12_GLOBAL__N_135rocblas_gemm_batched_general_kernelIfLi16ELi16ELi32ELi32ELi8ELi32ELi8ELi8ELi32ELc78ELc67EKPKDF16_KPKfKPfEEvlllT_PT11_llSB_llS9_PT12_llPT13_lli.num_named_barrier, 0
	.set _ZN12_GLOBAL__N_135rocblas_gemm_batched_general_kernelIfLi16ELi16ELi32ELi32ELi8ELi32ELi8ELi8ELi32ELc78ELc67EKPKDF16_KPKfKPfEEvlllT_PT11_llSB_llS9_PT12_llPT13_lli.private_seg_size, 0
	.set _ZN12_GLOBAL__N_135rocblas_gemm_batched_general_kernelIfLi16ELi16ELi32ELi32ELi8ELi32ELi8ELi8ELi32ELc78ELc67EKPKDF16_KPKfKPfEEvlllT_PT11_llSB_llS9_PT12_llPT13_lli.uses_vcc, 1
	.set _ZN12_GLOBAL__N_135rocblas_gemm_batched_general_kernelIfLi16ELi16ELi32ELi32ELi8ELi32ELi8ELi8ELi32ELc78ELc67EKPKDF16_KPKfKPfEEvlllT_PT11_llSB_llS9_PT12_llPT13_lli.uses_flat_scratch, 0
	.set _ZN12_GLOBAL__N_135rocblas_gemm_batched_general_kernelIfLi16ELi16ELi32ELi32ELi8ELi32ELi8ELi8ELi32ELc78ELc67EKPKDF16_KPKfKPfEEvlllT_PT11_llSB_llS9_PT12_llPT13_lli.has_dyn_sized_stack, 0
	.set _ZN12_GLOBAL__N_135rocblas_gemm_batched_general_kernelIfLi16ELi16ELi32ELi32ELi8ELi32ELi8ELi8ELi32ELc78ELc67EKPKDF16_KPKfKPfEEvlllT_PT11_llSB_llS9_PT12_llPT13_lli.has_recursion, 0
	.set _ZN12_GLOBAL__N_135rocblas_gemm_batched_general_kernelIfLi16ELi16ELi32ELi32ELi8ELi32ELi8ELi8ELi32ELc78ELc67EKPKDF16_KPKfKPfEEvlllT_PT11_llSB_llS9_PT12_llPT13_lli.has_indirect_call, 0
	.section	.AMDGPU.csdata,"",@progbits
; Kernel info:
; codeLenInByte = 1908
; TotalNumSgprs: 48
; NumVgprs: 44
; ScratchSize: 0
; MemoryBound: 0
; FloatMode: 240
; IeeeMode: 1
; LDSByteSize: 2048 bytes/workgroup (compile time only)
; SGPRBlocks: 0
; VGPRBlocks: 5
; NumSGPRsForWavesPerEU: 48
; NumVGPRsForWavesPerEU: 44
; Occupancy: 16
; WaveLimiterHint : 1
; COMPUTE_PGM_RSRC2:SCRATCH_EN: 0
; COMPUTE_PGM_RSRC2:USER_SGPR: 6
; COMPUTE_PGM_RSRC2:TRAP_HANDLER: 0
; COMPUTE_PGM_RSRC2:TGID_X_EN: 1
; COMPUTE_PGM_RSRC2:TGID_Y_EN: 1
; COMPUTE_PGM_RSRC2:TGID_Z_EN: 1
; COMPUTE_PGM_RSRC2:TIDIG_COMP_CNT: 1
	.section	.text._ZN12_GLOBAL__N_135rocblas_gemm_batched_general_kernelIfLi16ELi16ELi32ELi32ELi8ELi32ELi8ELi8ELi32ELc84ELc67EKPKDF16_KPKfKPfEEvlllT_PT11_llSB_llS9_PT12_llPT13_lli,"axG",@progbits,_ZN12_GLOBAL__N_135rocblas_gemm_batched_general_kernelIfLi16ELi16ELi32ELi32ELi8ELi32ELi8ELi8ELi32ELc84ELc67EKPKDF16_KPKfKPfEEvlllT_PT11_llSB_llS9_PT12_llPT13_lli,comdat
	.globl	_ZN12_GLOBAL__N_135rocblas_gemm_batched_general_kernelIfLi16ELi16ELi32ELi32ELi8ELi32ELi8ELi8ELi32ELc84ELc67EKPKDF16_KPKfKPfEEvlllT_PT11_llSB_llS9_PT12_llPT13_lli ; -- Begin function _ZN12_GLOBAL__N_135rocblas_gemm_batched_general_kernelIfLi16ELi16ELi32ELi32ELi8ELi32ELi8ELi8ELi32ELc84ELc67EKPKDF16_KPKfKPfEEvlllT_PT11_llSB_llS9_PT12_llPT13_lli
	.p2align	8
	.type	_ZN12_GLOBAL__N_135rocblas_gemm_batched_general_kernelIfLi16ELi16ELi32ELi32ELi8ELi32ELi8ELi8ELi32ELc84ELc67EKPKDF16_KPKfKPfEEvlllT_PT11_llSB_llS9_PT12_llPT13_lli,@function
_ZN12_GLOBAL__N_135rocblas_gemm_batched_general_kernelIfLi16ELi16ELi32ELi32ELi8ELi32ELi8ELi8ELi32ELc84ELc67EKPKDF16_KPKfKPfEEvlllT_PT11_llSB_llS9_PT12_llPT13_lli: ; @_ZN12_GLOBAL__N_135rocblas_gemm_batched_general_kernelIfLi16ELi16ELi32ELi32ELi8ELi32ELi8ELi8ELi32ELc84ELc67EKPKDF16_KPKfKPfEEvlllT_PT11_llSB_llS9_PT12_llPT13_lli
; %bb.0:
	s_clause 0x1
	s_load_dwordx8 s[12:19], s[4:5], 0x58
	s_load_dwordx2 s[34:35], s[4:5], 0x10
	s_mov_b32 s9, 0
	s_load_dwordx4 s[28:31], s[4:5], 0x0
	s_lshl_b64 s[42:43], s[8:9], 3
	s_load_dwordx4 s[8:11], s[4:5], 0x78
	s_mov_b32 s40, s7
	v_mov_b32_e32 v10, 0
	v_mov_b32_e32 v9, 0
	;; [unrolled: 1-line block ×4, first 2 shown]
	s_waitcnt lgkmcnt(0)
	s_add_u32 s0, s12, s42
	s_addc_u32 s1, s13, s43
	s_add_u32 s2, s18, s42
	s_addc_u32 s3, s19, s43
	s_load_dwordx2 s[12:13], s[0:1], 0x0
	s_load_dwordx2 s[2:3], s[2:3], 0x0
	v_cmp_lt_i64_e64 s0, s[34:35], 1
	s_ashr_i32 s7, s6, 31
	s_ashr_i32 s41, s40, 31
	s_lshl_b64 s[6:7], s[6:7], 5
	s_lshl_b64 s[18:19], s[40:41], 5
	s_and_b32 vcc_lo, exec_lo, s0
	s_cbranch_vccnz .LBB138_7
; %bb.1:
	s_clause 0x1
	s_load_dwordx4 s[36:39], s[4:5], 0x40
	s_load_dwordx8 s[20:27], s[4:5], 0x20
	v_lshl_add_u32 v2, v1, 4, v0
	v_and_b32_e32 v6, 7, v0
	v_mov_b32_e32 v3, s7
	v_mov_b32_e32 v7, 0
	v_lshlrev_b32_e32 v11, 2, v0
	v_and_b32_e32 v14, 31, v2
	v_lshrrev_b32_e32 v10, 3, v2
	v_lshrrev_b32_e32 v13, 5, v2
	v_lshlrev_b32_e32 v15, 2, v6
	v_lshl_add_u32 v12, v1, 5, 0x400
	v_or_b32_e32 v2, s6, v14
	v_add_co_u32 v4, s0, v10, s18
	v_add_co_ci_u32_e64 v5, null, 0, s19, s0
	v_add_co_u32 v17, s0, s6, v14
	v_add_co_ci_u32_e64 v18, null, s7, 0, s0
	s_waitcnt lgkmcnt(0)
	v_mad_u64_u32 v[8:9], null, s36, v6, 0
	v_cmp_gt_i64_e64 s0, s[28:29], v[2:3]
	v_lshlrev_b32_e32 v16, 2, v14
	v_cmp_gt_i64_e64 s1, s[30:31], v[4:5]
	v_mul_lo_u32 v5, s23, v17
	s_add_u32 s26, s26, s42
	s_addc_u32 s27, s27, s43
	v_mov_b32_e32 v2, v9
	v_lshl_or_b32 v14, v13, 7, v16
	v_mul_lo_u32 v16, s22, v18
	s_add_u32 s20, s20, s42
	s_addc_u32 s21, s21, s43
	v_mad_u64_u32 v[2:3], null, s37, v6, v[2:3]
	v_mad_u64_u32 v[3:4], null, s22, v17, 0
	s_load_dwordx2 s[22:23], s[26:27], 0x0
	s_load_dwordx2 s[20:21], s[20:21], 0x0
	s_lshl_b64 s[26:27], s[40:41], 6
	s_lshl_b64 s[38:39], s[38:39], 1
	v_mov_b32_e32 v9, v2
	s_add_u32 s26, s38, s26
	v_add3_u32 v4, v4, v16, v5
	s_addc_u32 s27, s39, s27
	s_lshl_b64 s[24:25], s[24:25], 1
	v_lshlrev_b64 v[8:9], 1, v[8:9]
	v_lshl_or_b32 v15, v10, 5, v15
	v_lshlrev_b64 v[2:3], 1, v[3:4]
	v_add_nc_u32_e32 v15, 0x400, v15
	v_add_co_u32 v4, vcc_lo, s26, v8
	v_lshlrev_b32_e32 v8, 1, v10
	v_add_co_ci_u32_e64 v5, null, s27, v9, vcc_lo
	v_add_co_u32 v2, vcc_lo, v2, s24
	v_lshlrev_b32_e32 v9, 1, v13
	v_add_co_ci_u32_e64 v3, null, s25, v3, vcc_lo
	v_add_co_u32 v4, vcc_lo, v4, v8
	v_add_co_ci_u32_e64 v5, null, 0, v5, vcc_lo
	v_add_co_u32 v8, vcc_lo, v2, v9
	v_add_co_ci_u32_e64 v9, null, 0, v3, vcc_lo
	s_waitcnt lgkmcnt(0)
	v_add_co_u32 v2, vcc_lo, s22, v4
	v_add_co_ci_u32_e64 v3, null, s23, v5, vcc_lo
	v_add_co_u32 v4, vcc_lo, s20, v8
	v_add_co_ci_u32_e64 v5, null, s21, v9, vcc_lo
	v_mov_b32_e32 v8, 0
	v_mov_b32_e32 v9, 0
	;; [unrolled: 1-line block ×3, first 2 shown]
	s_lshl_b64 s[20:21], s[36:37], 4
	s_mov_b64 s[22:23], 0
	s_branch .LBB138_3
.LBB138_2:                              ;   in Loop: Header=BB138_3 Depth=1
	s_or_b32 exec_lo, exec_lo, s24
	ds_write_b32 v15, v17
	s_waitcnt lgkmcnt(0)
	s_barrier
	buffer_gl0_inv
	ds_read_b128 v[16:19], v12
	ds_read2_b32 v[32:33], v11 offset1:16
	ds_read_b128 v[20:23], v12 offset:512
	ds_read2_b32 v[34:35], v11 offset0:32 offset1:48
	ds_read2_b32 v[36:37], v11 offset0:64 offset1:80
	;; [unrolled: 1-line block ×3, first 2 shown]
	ds_read_b128 v[24:27], v12 offset:16
	ds_read2_b32 v[40:41], v11 offset0:128 offset1:144
	ds_read_b128 v[28:31], v12 offset:528
	ds_read2_b32 v[42:43], v11 offset0:160 offset1:176
	s_add_u32 s22, s22, 8
	s_addc_u32 s23, s23, 0
	v_add_co_u32 v2, vcc_lo, v2, s20
	v_cmp_lt_i64_e64 s24, s[22:23], s[34:35]
	v_add_co_ci_u32_e64 v3, null, s21, v3, vcc_lo
	v_add_co_u32 v4, vcc_lo, v4, 16
	v_add_co_ci_u32_e64 v5, null, 0, v5, vcc_lo
	s_waitcnt lgkmcnt(8)
	v_fmac_f32_e32 v10, v32, v16
	v_fmac_f32_e32 v9, v33, v16
	s_waitcnt lgkmcnt(7)
	v_fmac_f32_e32 v8, v32, v20
	v_fmac_f32_e32 v7, v33, v20
	ds_read2_b32 v[32:33], v11 offset0:192 offset1:208
	s_waitcnt lgkmcnt(7)
	v_fmac_f32_e32 v10, v34, v17
	v_fmac_f32_e32 v9, v35, v17
	;; [unrolled: 1-line block ×4, first 2 shown]
	ds_read2_b32 v[16:17], v11 offset0:224 offset1:240
	s_waitcnt lgkmcnt(7)
	v_fmac_f32_e32 v10, v36, v18
	v_fmac_f32_e32 v9, v37, v18
	;; [unrolled: 1-line block ×4, first 2 shown]
	s_and_b32 vcc_lo, exec_lo, s24
	s_waitcnt lgkmcnt(6)
	v_fmac_f32_e32 v10, v38, v19
	v_fmac_f32_e32 v9, v39, v19
	v_fmac_f32_e32 v8, v38, v23
	v_fmac_f32_e32 v7, v39, v23
	s_waitcnt lgkmcnt(0)
	v_fmac_f32_e32 v10, v40, v24
	v_fmac_f32_e32 v9, v41, v24
	;; [unrolled: 1-line block ×4, first 2 shown]
	s_barrier
	v_fmac_f32_e32 v10, v42, v25
	v_fmac_f32_e32 v9, v43, v25
	;; [unrolled: 1-line block ×4, first 2 shown]
	buffer_gl0_inv
	v_fmac_f32_e32 v10, v32, v26
	v_fmac_f32_e32 v9, v33, v26
	;; [unrolled: 1-line block ×8, first 2 shown]
	s_cbranch_vccz .LBB138_7
.LBB138_3:                              ; =>This Inner Loop Header: Depth=1
	v_add_co_u32 v16, s24, v13, s22
	v_add_co_ci_u32_e64 v17, null, 0, s23, s24
	v_cmp_gt_i64_e32 vcc_lo, s[34:35], v[16:17]
	v_mov_b32_e32 v16, 0
	s_and_b32 s25, s0, vcc_lo
	s_and_saveexec_b32 s24, s25
	s_cbranch_execz .LBB138_5
; %bb.4:                                ;   in Loop: Header=BB138_3 Depth=1
	flat_load_ushort v16, v[4:5]
	s_waitcnt vmcnt(0) lgkmcnt(0)
	v_cvt_f32_f16_e32 v16, v16
.LBB138_5:                              ;   in Loop: Header=BB138_3 Depth=1
	s_or_b32 exec_lo, exec_lo, s24
	v_add_co_u32 v17, s24, v6, s22
	v_add_co_ci_u32_e64 v18, null, 0, s23, s24
	ds_write_b32 v14, v16
	v_cmp_gt_i64_e32 vcc_lo, s[34:35], v[17:18]
	v_mov_b32_e32 v17, 0
	s_and_b32 s25, vcc_lo, s1
	s_and_saveexec_b32 s24, s25
	s_cbranch_execz .LBB138_2
; %bb.6:                                ;   in Loop: Header=BB138_3 Depth=1
	flat_load_ushort v16, v[2:3]
	s_waitcnt vmcnt(0) lgkmcnt(0)
	v_cvt_f32_f16_e32 v17, v16
	s_branch .LBB138_2
.LBB138_7:
	s_clause 0x1
	s_load_dword s20, s[4:5], 0x50
	s_load_dword s4, s[4:5], 0x18
	v_add_co_u32 v1, s5, s18, v1
	v_add_co_ci_u32_e64 v2, null, s19, 0, s5
	s_lshl_b64 s[0:1], s[10:11], 2
	s_waitcnt lgkmcnt(0)
	s_add_u32 s5, s2, s0
	v_cmp_gt_i64_e64 s0, s[30:31], v[1:2]
	s_addc_u32 s3, s3, s1
	v_cmp_neq_f32_e64 s10, s20, 0
	s_and_b32 vcc_lo, exec_lo, s10
	s_cbranch_vccnz .LBB138_20
; %bb.8:
	s_and_saveexec_b32 s10, s0
	s_cbranch_execz .LBB138_18
; %bb.9:
	v_mul_lo_u32 v5, v2, s8
	v_mul_lo_u32 v6, v1, s9
	v_mad_u64_u32 v[3:4], null, v1, s8, 0
	v_add3_u32 v4, v4, v6, v5
	v_add_co_u32 v5, s1, s6, v0
	v_add_co_ci_u32_e64 v6, null, s7, 0, s1
	v_lshlrev_b64 v[11:12], 2, v[3:4]
	v_cmp_gt_i64_e32 vcc_lo, s[28:29], v[5:6]
	v_lshlrev_b64 v[3:4], 2, v[5:6]
	v_add_co_u32 v11, s1, s5, v11
	v_add_co_ci_u32_e64 v12, null, s3, v12, s1
	s_and_saveexec_b32 s2, vcc_lo
	s_cbranch_execz .LBB138_11
; %bb.10:
	v_add_co_u32 v13, s1, v11, v3
	v_add_co_ci_u32_e64 v14, null, v12, v4, s1
	v_mul_f32_e32 v15, s4, v10
	flat_store_dword v[13:14], v15
.LBB138_11:
	s_or_b32 exec_lo, exec_lo, s2
	v_add_co_u32 v5, s1, v5, 16
	v_add_co_ci_u32_e64 v6, null, 0, v6, s1
	v_cmp_gt_i64_e64 s1, s[28:29], v[5:6]
	s_and_saveexec_b32 s11, s1
	s_cbranch_execz .LBB138_13
; %bb.12:
	v_add_co_u32 v5, s2, v11, v3
	v_add_co_ci_u32_e64 v6, null, v12, v4, s2
	v_mul_f32_e32 v13, s4, v9
	flat_store_dword v[5:6], v13 offset:64
.LBB138_13:
	s_or_b32 exec_lo, exec_lo, s11
	v_add_co_u32 v5, s2, v1, 16
	v_add_co_ci_u32_e64 v6, null, 0, v2, s2
	v_cmp_gt_i64_e64 s2, s[30:31], v[5:6]
	s_and_b32 exec_lo, exec_lo, s2
	s_cbranch_execz .LBB138_18
; %bb.14:
	s_lshl_b64 s[18:19], s[8:9], 6
	v_add_co_u32 v5, s2, v11, s18
	v_add_co_ci_u32_e64 v6, null, s19, v12, s2
	v_add_co_u32 v3, s2, v5, v3
	v_add_co_ci_u32_e64 v4, null, v6, v4, s2
	s_and_saveexec_b32 s2, vcc_lo
	s_cbranch_execz .LBB138_16
; %bb.15:
	v_mul_f32_e32 v5, s4, v8
	flat_store_dword v[3:4], v5
.LBB138_16:
	s_or_b32 exec_lo, exec_lo, s2
	s_and_b32 exec_lo, exec_lo, s1
	s_cbranch_execz .LBB138_18
; %bb.17:
	v_mul_f32_e32 v5, s4, v7
	flat_store_dword v[3:4], v5 offset:64
.LBB138_18:
	s_or_b32 exec_lo, exec_lo, s10
	s_cbranch_execz .LBB138_21
.LBB138_19:
	s_endpgm
.LBB138_20:
.LBB138_21:
	s_and_saveexec_b32 s1, s0
	s_cbranch_execz .LBB138_19
; %bb.22:
	v_mul_lo_u32 v5, v2, s14
	v_mul_lo_u32 v6, v1, s15
	v_mad_u64_u32 v[3:4], null, v1, s14, 0
	v_mul_lo_u32 v13, v2, s8
	v_mul_lo_u32 v14, v1, s9
	v_mad_u64_u32 v[11:12], null, v1, s8, 0
	s_lshl_b64 s[0:1], s[16:17], 2
	v_add3_u32 v4, v4, v6, v5
	v_add_co_u32 v5, s2, s6, v0
	v_add_co_ci_u32_e64 v6, null, s7, 0, s2
	v_add3_u32 v12, v12, v14, v13
	v_lshlrev_b64 v[3:4], 2, v[3:4]
	s_add_u32 s0, s12, s0
	s_addc_u32 s1, s13, s1
	v_cmp_gt_i64_e32 vcc_lo, s[28:29], v[5:6]
	v_lshlrev_b64 v[12:13], 2, v[11:12]
	v_add_co_u32 v0, s0, s0, v3
	v_add_co_ci_u32_e64 v11, null, s1, v4, s0
	v_add_co_u32 v12, s0, s5, v12
	v_lshlrev_b64 v[3:4], 2, v[5:6]
	v_add_co_ci_u32_e64 v13, null, s3, v13, s0
	s_and_saveexec_b32 s1, vcc_lo
	s_cbranch_execz .LBB138_24
; %bb.23:
	v_add_co_u32 v14, s0, v0, v3
	v_add_co_ci_u32_e64 v15, null, v11, v4, s0
	flat_load_dword v14, v[14:15]
	s_waitcnt vmcnt(0) lgkmcnt(0)
	v_mul_f32_e32 v16, s20, v14
	v_add_co_u32 v14, s0, v12, v3
	v_add_co_ci_u32_e64 v15, null, v13, v4, s0
	v_fmac_f32_e32 v16, s4, v10
	flat_store_dword v[14:15], v16
.LBB138_24:
	s_or_b32 exec_lo, exec_lo, s1
	v_add_co_u32 v5, s0, v5, 16
	v_add_co_ci_u32_e64 v6, null, 0, v6, s0
	v_cmp_gt_i64_e64 s0, s[28:29], v[5:6]
	s_and_saveexec_b32 s2, s0
	s_cbranch_execz .LBB138_26
; %bb.25:
	v_add_co_u32 v5, s1, v0, v3
	v_add_co_ci_u32_e64 v6, null, v11, v4, s1
	flat_load_dword v5, v[5:6] offset:64
	s_waitcnt vmcnt(0) lgkmcnt(0)
	v_mul_f32_e32 v10, s20, v5
	v_add_co_u32 v5, s1, v12, v3
	v_add_co_ci_u32_e64 v6, null, v13, v4, s1
	v_fmac_f32_e32 v10, s4, v9
	flat_store_dword v[5:6], v10 offset:64
.LBB138_26:
	s_or_b32 exec_lo, exec_lo, s2
	v_add_co_u32 v1, s1, v1, 16
	v_add_co_ci_u32_e64 v2, null, 0, v2, s1
	v_cmp_gt_i64_e64 s1, s[30:31], v[1:2]
	s_and_b32 exec_lo, exec_lo, s1
	s_cbranch_execz .LBB138_19
; %bb.27:
	s_lshl_b64 s[2:3], s[14:15], 6
	v_add_co_u32 v0, s1, v0, s2
	v_add_co_ci_u32_e64 v1, null, s3, v11, s1
	s_lshl_b64 s[2:3], s[8:9], 6
	v_add_co_u32 v2, s1, v12, s2
	v_add_co_ci_u32_e64 v5, null, s3, v13, s1
	v_add_co_u32 v0, s1, v0, v3
	v_add_co_ci_u32_e64 v1, null, v1, v4, s1
	;; [unrolled: 2-line block ×3, first 2 shown]
	s_and_saveexec_b32 s1, vcc_lo
	s_cbranch_execz .LBB138_29
; %bb.28:
	flat_load_dword v4, v[0:1]
	s_waitcnt vmcnt(0) lgkmcnt(0)
	v_mul_f32_e32 v4, s20, v4
	v_fmac_f32_e32 v4, s4, v8
	flat_store_dword v[2:3], v4
.LBB138_29:
	s_or_b32 exec_lo, exec_lo, s1
	s_and_b32 exec_lo, exec_lo, s0
	s_cbranch_execz .LBB138_19
; %bb.30:
	flat_load_dword v0, v[0:1] offset:64
	s_waitcnt vmcnt(0) lgkmcnt(0)
	v_mul_f32_e32 v0, s20, v0
	v_fmac_f32_e32 v0, s4, v7
	flat_store_dword v[2:3], v0 offset:64
	s_endpgm
	.section	.rodata,"a",@progbits
	.p2align	6, 0x0
	.amdhsa_kernel _ZN12_GLOBAL__N_135rocblas_gemm_batched_general_kernelIfLi16ELi16ELi32ELi32ELi8ELi32ELi8ELi8ELi32ELc84ELc67EKPKDF16_KPKfKPfEEvlllT_PT11_llSB_llS9_PT12_llPT13_lli
		.amdhsa_group_segment_fixed_size 2048
		.amdhsa_private_segment_fixed_size 0
		.amdhsa_kernarg_size 140
		.amdhsa_user_sgpr_count 6
		.amdhsa_user_sgpr_private_segment_buffer 1
		.amdhsa_user_sgpr_dispatch_ptr 0
		.amdhsa_user_sgpr_queue_ptr 0
		.amdhsa_user_sgpr_kernarg_segment_ptr 1
		.amdhsa_user_sgpr_dispatch_id 0
		.amdhsa_user_sgpr_flat_scratch_init 0
		.amdhsa_user_sgpr_private_segment_size 0
		.amdhsa_wavefront_size32 1
		.amdhsa_uses_dynamic_stack 0
		.amdhsa_system_sgpr_private_segment_wavefront_offset 0
		.amdhsa_system_sgpr_workgroup_id_x 1
		.amdhsa_system_sgpr_workgroup_id_y 1
		.amdhsa_system_sgpr_workgroup_id_z 1
		.amdhsa_system_sgpr_workgroup_info 0
		.amdhsa_system_vgpr_workitem_id 1
		.amdhsa_next_free_vgpr 44
		.amdhsa_next_free_sgpr 44
		.amdhsa_reserve_vcc 1
		.amdhsa_reserve_flat_scratch 0
		.amdhsa_float_round_mode_32 0
		.amdhsa_float_round_mode_16_64 0
		.amdhsa_float_denorm_mode_32 3
		.amdhsa_float_denorm_mode_16_64 3
		.amdhsa_dx10_clamp 1
		.amdhsa_ieee_mode 1
		.amdhsa_fp16_overflow 0
		.amdhsa_workgroup_processor_mode 1
		.amdhsa_memory_ordered 1
		.amdhsa_forward_progress 1
		.amdhsa_shared_vgpr_count 0
		.amdhsa_exception_fp_ieee_invalid_op 0
		.amdhsa_exception_fp_denorm_src 0
		.amdhsa_exception_fp_ieee_div_zero 0
		.amdhsa_exception_fp_ieee_overflow 0
		.amdhsa_exception_fp_ieee_underflow 0
		.amdhsa_exception_fp_ieee_inexact 0
		.amdhsa_exception_int_div_zero 0
	.end_amdhsa_kernel
	.section	.text._ZN12_GLOBAL__N_135rocblas_gemm_batched_general_kernelIfLi16ELi16ELi32ELi32ELi8ELi32ELi8ELi8ELi32ELc84ELc67EKPKDF16_KPKfKPfEEvlllT_PT11_llSB_llS9_PT12_llPT13_lli,"axG",@progbits,_ZN12_GLOBAL__N_135rocblas_gemm_batched_general_kernelIfLi16ELi16ELi32ELi32ELi8ELi32ELi8ELi8ELi32ELc84ELc67EKPKDF16_KPKfKPfEEvlllT_PT11_llSB_llS9_PT12_llPT13_lli,comdat
.Lfunc_end138:
	.size	_ZN12_GLOBAL__N_135rocblas_gemm_batched_general_kernelIfLi16ELi16ELi32ELi32ELi8ELi32ELi8ELi8ELi32ELc84ELc67EKPKDF16_KPKfKPfEEvlllT_PT11_llSB_llS9_PT12_llPT13_lli, .Lfunc_end138-_ZN12_GLOBAL__N_135rocblas_gemm_batched_general_kernelIfLi16ELi16ELi32ELi32ELi8ELi32ELi8ELi8ELi32ELc84ELc67EKPKDF16_KPKfKPfEEvlllT_PT11_llSB_llS9_PT12_llPT13_lli
                                        ; -- End function
	.set _ZN12_GLOBAL__N_135rocblas_gemm_batched_general_kernelIfLi16ELi16ELi32ELi32ELi8ELi32ELi8ELi8ELi32ELc84ELc67EKPKDF16_KPKfKPfEEvlllT_PT11_llSB_llS9_PT12_llPT13_lli.num_vgpr, 44
	.set _ZN12_GLOBAL__N_135rocblas_gemm_batched_general_kernelIfLi16ELi16ELi32ELi32ELi8ELi32ELi8ELi8ELi32ELc84ELc67EKPKDF16_KPKfKPfEEvlllT_PT11_llSB_llS9_PT12_llPT13_lli.num_agpr, 0
	.set _ZN12_GLOBAL__N_135rocblas_gemm_batched_general_kernelIfLi16ELi16ELi32ELi32ELi8ELi32ELi8ELi8ELi32ELc84ELc67EKPKDF16_KPKfKPfEEvlllT_PT11_llSB_llS9_PT12_llPT13_lli.numbered_sgpr, 44
	.set _ZN12_GLOBAL__N_135rocblas_gemm_batched_general_kernelIfLi16ELi16ELi32ELi32ELi8ELi32ELi8ELi8ELi32ELc84ELc67EKPKDF16_KPKfKPfEEvlllT_PT11_llSB_llS9_PT12_llPT13_lli.num_named_barrier, 0
	.set _ZN12_GLOBAL__N_135rocblas_gemm_batched_general_kernelIfLi16ELi16ELi32ELi32ELi8ELi32ELi8ELi8ELi32ELc84ELc67EKPKDF16_KPKfKPfEEvlllT_PT11_llSB_llS9_PT12_llPT13_lli.private_seg_size, 0
	.set _ZN12_GLOBAL__N_135rocblas_gemm_batched_general_kernelIfLi16ELi16ELi32ELi32ELi8ELi32ELi8ELi8ELi32ELc84ELc67EKPKDF16_KPKfKPfEEvlllT_PT11_llSB_llS9_PT12_llPT13_lli.uses_vcc, 1
	.set _ZN12_GLOBAL__N_135rocblas_gemm_batched_general_kernelIfLi16ELi16ELi32ELi32ELi8ELi32ELi8ELi8ELi32ELc84ELc67EKPKDF16_KPKfKPfEEvlllT_PT11_llSB_llS9_PT12_llPT13_lli.uses_flat_scratch, 0
	.set _ZN12_GLOBAL__N_135rocblas_gemm_batched_general_kernelIfLi16ELi16ELi32ELi32ELi8ELi32ELi8ELi8ELi32ELc84ELc67EKPKDF16_KPKfKPfEEvlllT_PT11_llSB_llS9_PT12_llPT13_lli.has_dyn_sized_stack, 0
	.set _ZN12_GLOBAL__N_135rocblas_gemm_batched_general_kernelIfLi16ELi16ELi32ELi32ELi8ELi32ELi8ELi8ELi32ELc84ELc67EKPKDF16_KPKfKPfEEvlllT_PT11_llSB_llS9_PT12_llPT13_lli.has_recursion, 0
	.set _ZN12_GLOBAL__N_135rocblas_gemm_batched_general_kernelIfLi16ELi16ELi32ELi32ELi8ELi32ELi8ELi8ELi32ELc84ELc67EKPKDF16_KPKfKPfEEvlllT_PT11_llSB_llS9_PT12_llPT13_lli.has_indirect_call, 0
	.section	.AMDGPU.csdata,"",@progbits
; Kernel info:
; codeLenInByte = 1916
; TotalNumSgprs: 46
; NumVgprs: 44
; ScratchSize: 0
; MemoryBound: 0
; FloatMode: 240
; IeeeMode: 1
; LDSByteSize: 2048 bytes/workgroup (compile time only)
; SGPRBlocks: 0
; VGPRBlocks: 5
; NumSGPRsForWavesPerEU: 46
; NumVGPRsForWavesPerEU: 44
; Occupancy: 16
; WaveLimiterHint : 1
; COMPUTE_PGM_RSRC2:SCRATCH_EN: 0
; COMPUTE_PGM_RSRC2:USER_SGPR: 6
; COMPUTE_PGM_RSRC2:TRAP_HANDLER: 0
; COMPUTE_PGM_RSRC2:TGID_X_EN: 1
; COMPUTE_PGM_RSRC2:TGID_Y_EN: 1
; COMPUTE_PGM_RSRC2:TGID_Z_EN: 1
; COMPUTE_PGM_RSRC2:TIDIG_COMP_CNT: 1
	.section	.text._ZN12_GLOBAL__N_120gemm_ex_scale_kernelILi32ELi32EfPKPK16rocblas_bfloat16PKPS1_EEviiT1_T2_lllT3_llli,"axG",@progbits,_ZN12_GLOBAL__N_120gemm_ex_scale_kernelILi32ELi32EfPKPK16rocblas_bfloat16PKPS1_EEviiT1_T2_lllT3_llli,comdat
	.globl	_ZN12_GLOBAL__N_120gemm_ex_scale_kernelILi32ELi32EfPKPK16rocblas_bfloat16PKPS1_EEviiT1_T2_lllT3_llli ; -- Begin function _ZN12_GLOBAL__N_120gemm_ex_scale_kernelILi32ELi32EfPKPK16rocblas_bfloat16PKPS1_EEviiT1_T2_lllT3_llli
	.p2align	8
	.type	_ZN12_GLOBAL__N_120gemm_ex_scale_kernelILi32ELi32EfPKPK16rocblas_bfloat16PKPS1_EEviiT1_T2_lllT3_llli,@function
_ZN12_GLOBAL__N_120gemm_ex_scale_kernelILi32ELi32EfPKPK16rocblas_bfloat16PKPS1_EEviiT1_T2_lllT3_llli: ; @_ZN12_GLOBAL__N_120gemm_ex_scale_kernelILi32ELi32EfPKPK16rocblas_bfloat16PKPS1_EEviiT1_T2_lllT3_llli
; %bb.0:
	s_clause 0x1
	s_load_dwordx8 s[12:19], s[4:5], 0x0
	s_load_dwordx2 s[10:11], s[4:5], 0x20
	s_mov_b32 s9, 0
	s_waitcnt lgkmcnt(0)
	v_cmp_eq_f32_e64 s15, s14, 0
	s_and_b32 vcc_lo, exec_lo, s15
	s_cbranch_vccnz .LBB139_2
; %bb.1:
	s_lshl_b64 s[0:1], s[8:9], 3
	s_add_u32 s0, s16, s0
	s_addc_u32 s1, s17, s1
	s_lshl_b64 s[2:3], s[18:19], 1
	s_load_dwordx2 s[0:1], s[0:1], 0x0
	s_waitcnt lgkmcnt(0)
	s_add_u32 s16, s0, s2
	s_addc_u32 s17, s1, s3
	s_branch .LBB139_3
.LBB139_2:
	s_mov_b64 s[16:17], 0
.LBB139_3:
	v_lshl_add_u32 v0, s6, 5, v0
	v_lshl_add_u32 v2, s7, 5, v1
	v_cmp_gt_u32_e32 vcc_lo, s12, v0
	v_cmp_gt_u32_e64 s0, s13, v2
	s_and_b32 s0, vcc_lo, s0
	s_and_saveexec_b32 s1, s0
	s_cbranch_execz .LBB139_13
; %bb.4:
	s_clause 0x1
	s_load_dwordx4 s[0:3], s[4:5], 0x30
	s_load_dwordx2 s[4:5], s[4:5], 0x40
	s_lshl_b64 s[6:7], s[8:9], 3
	v_mov_b32_e32 v3, 0
	s_waitcnt lgkmcnt(0)
	s_add_u32 s0, s0, s6
	s_addc_u32 s1, s1, s7
	s_andn2_b32 vcc_lo, exec_lo, s15
	s_cbranch_vccnz .LBB139_6
; %bb.5:
	v_mov_b32_e32 v1, 0
	s_load_dwordx2 s[0:1], s[0:1], 0x0
	s_cbranch_execz .LBB139_7
	s_branch .LBB139_12
.LBB139_6:
	s_load_dwordx2 s[0:1], s[0:1], 0x0
.LBB139_7:
	v_mad_u64_u32 v[3:4], null, s10, v2, 0
	v_mov_b32_e32 v1, v4
	v_mad_u64_u32 v[4:5], null, s11, v2, v[1:2]
	v_mov_b32_e32 v1, 0
	v_lshlrev_b64 v[5:6], 1, v[0:1]
	v_lshlrev_b64 v[3:4], 1, v[3:4]
	v_add_co_u32 v3, vcc_lo, s16, v3
	v_add_co_ci_u32_e64 v4, null, s17, v4, vcc_lo
	v_add_co_u32 v3, vcc_lo, v3, v5
	v_add_co_ci_u32_e64 v4, null, v4, v6, vcc_lo
	flat_load_ushort v3, v[3:4]
	s_waitcnt vmcnt(0) lgkmcnt(0)
	v_lshlrev_b32_e32 v3, 16, v3
	v_mul_f32_e32 v3, s14, v3
	v_and_b32_e32 v4, 0x7f800000, v3
	v_cmp_ne_u32_e32 vcc_lo, 0x7f800000, v4
                                        ; implicit-def: $vgpr4
	s_and_saveexec_b32 s6, vcc_lo
	s_xor_b32 s6, exec_lo, s6
; %bb.8:
	v_bfe_u32 v4, v3, 16, 1
	v_add3_u32 v4, v3, v4, 0x7fff
                                        ; implicit-def: $vgpr3
; %bb.9:
	s_andn2_saveexec_b32 s6, s6
; %bb.10:
	v_mov_b32_e32 v4, 0
	v_or_b32_e32 v5, 0x10000, v3
	v_cmp_eq_u32_sdwa vcc_lo, v3, v4 src0_sel:WORD_0 src1_sel:DWORD
	v_cndmask_b32_e32 v4, v5, v3, vcc_lo
; %bb.11:
	s_or_b32 exec_lo, exec_lo, s6
	v_lshrrev_b32_e32 v3, 16, v4
.LBB139_12:
	v_mad_u64_u32 v[4:5], null, s4, v2, 0
	s_lshl_b64 s[2:3], s[2:3], 1
	v_lshlrev_b64 v[0:1], 1, v[0:1]
	s_waitcnt lgkmcnt(0)
	s_add_u32 s0, s0, s2
	s_addc_u32 s1, s1, s3
	v_mad_u64_u32 v[5:6], null, s5, v2, v[5:6]
	v_lshlrev_b64 v[4:5], 1, v[4:5]
	v_add_co_u32 v2, vcc_lo, s0, v4
	v_add_co_ci_u32_e64 v4, null, s1, v5, vcc_lo
	v_add_co_u32 v0, vcc_lo, v2, v0
	v_add_co_ci_u32_e64 v1, null, v4, v1, vcc_lo
	flat_store_short v[0:1], v3
.LBB139_13:
	s_endpgm
	.section	.rodata,"a",@progbits
	.p2align	6, 0x0
	.amdhsa_kernel _ZN12_GLOBAL__N_120gemm_ex_scale_kernelILi32ELi32EfPKPK16rocblas_bfloat16PKPS1_EEviiT1_T2_lllT3_llli
		.amdhsa_group_segment_fixed_size 0
		.amdhsa_private_segment_fixed_size 0
		.amdhsa_kernarg_size 84
		.amdhsa_user_sgpr_count 6
		.amdhsa_user_sgpr_private_segment_buffer 1
		.amdhsa_user_sgpr_dispatch_ptr 0
		.amdhsa_user_sgpr_queue_ptr 0
		.amdhsa_user_sgpr_kernarg_segment_ptr 1
		.amdhsa_user_sgpr_dispatch_id 0
		.amdhsa_user_sgpr_flat_scratch_init 0
		.amdhsa_user_sgpr_private_segment_size 0
		.amdhsa_wavefront_size32 1
		.amdhsa_uses_dynamic_stack 0
		.amdhsa_system_sgpr_private_segment_wavefront_offset 0
		.amdhsa_system_sgpr_workgroup_id_x 1
		.amdhsa_system_sgpr_workgroup_id_y 1
		.amdhsa_system_sgpr_workgroup_id_z 1
		.amdhsa_system_sgpr_workgroup_info 0
		.amdhsa_system_vgpr_workitem_id 1
		.amdhsa_next_free_vgpr 7
		.amdhsa_next_free_sgpr 20
		.amdhsa_reserve_vcc 1
		.amdhsa_reserve_flat_scratch 0
		.amdhsa_float_round_mode_32 0
		.amdhsa_float_round_mode_16_64 0
		.amdhsa_float_denorm_mode_32 3
		.amdhsa_float_denorm_mode_16_64 3
		.amdhsa_dx10_clamp 1
		.amdhsa_ieee_mode 1
		.amdhsa_fp16_overflow 0
		.amdhsa_workgroup_processor_mode 1
		.amdhsa_memory_ordered 1
		.amdhsa_forward_progress 1
		.amdhsa_shared_vgpr_count 0
		.amdhsa_exception_fp_ieee_invalid_op 0
		.amdhsa_exception_fp_denorm_src 0
		.amdhsa_exception_fp_ieee_div_zero 0
		.amdhsa_exception_fp_ieee_overflow 0
		.amdhsa_exception_fp_ieee_underflow 0
		.amdhsa_exception_fp_ieee_inexact 0
		.amdhsa_exception_int_div_zero 0
	.end_amdhsa_kernel
	.section	.text._ZN12_GLOBAL__N_120gemm_ex_scale_kernelILi32ELi32EfPKPK16rocblas_bfloat16PKPS1_EEviiT1_T2_lllT3_llli,"axG",@progbits,_ZN12_GLOBAL__N_120gemm_ex_scale_kernelILi32ELi32EfPKPK16rocblas_bfloat16PKPS1_EEviiT1_T2_lllT3_llli,comdat
.Lfunc_end139:
	.size	_ZN12_GLOBAL__N_120gemm_ex_scale_kernelILi32ELi32EfPKPK16rocblas_bfloat16PKPS1_EEviiT1_T2_lllT3_llli, .Lfunc_end139-_ZN12_GLOBAL__N_120gemm_ex_scale_kernelILi32ELi32EfPKPK16rocblas_bfloat16PKPS1_EEviiT1_T2_lllT3_llli
                                        ; -- End function
	.set _ZN12_GLOBAL__N_120gemm_ex_scale_kernelILi32ELi32EfPKPK16rocblas_bfloat16PKPS1_EEviiT1_T2_lllT3_llli.num_vgpr, 7
	.set _ZN12_GLOBAL__N_120gemm_ex_scale_kernelILi32ELi32EfPKPK16rocblas_bfloat16PKPS1_EEviiT1_T2_lllT3_llli.num_agpr, 0
	.set _ZN12_GLOBAL__N_120gemm_ex_scale_kernelILi32ELi32EfPKPK16rocblas_bfloat16PKPS1_EEviiT1_T2_lllT3_llli.numbered_sgpr, 20
	.set _ZN12_GLOBAL__N_120gemm_ex_scale_kernelILi32ELi32EfPKPK16rocblas_bfloat16PKPS1_EEviiT1_T2_lllT3_llli.num_named_barrier, 0
	.set _ZN12_GLOBAL__N_120gemm_ex_scale_kernelILi32ELi32EfPKPK16rocblas_bfloat16PKPS1_EEviiT1_T2_lllT3_llli.private_seg_size, 0
	.set _ZN12_GLOBAL__N_120gemm_ex_scale_kernelILi32ELi32EfPKPK16rocblas_bfloat16PKPS1_EEviiT1_T2_lllT3_llli.uses_vcc, 1
	.set _ZN12_GLOBAL__N_120gemm_ex_scale_kernelILi32ELi32EfPKPK16rocblas_bfloat16PKPS1_EEviiT1_T2_lllT3_llli.uses_flat_scratch, 0
	.set _ZN12_GLOBAL__N_120gemm_ex_scale_kernelILi32ELi32EfPKPK16rocblas_bfloat16PKPS1_EEviiT1_T2_lllT3_llli.has_dyn_sized_stack, 0
	.set _ZN12_GLOBAL__N_120gemm_ex_scale_kernelILi32ELi32EfPKPK16rocblas_bfloat16PKPS1_EEviiT1_T2_lllT3_llli.has_recursion, 0
	.set _ZN12_GLOBAL__N_120gemm_ex_scale_kernelILi32ELi32EfPKPK16rocblas_bfloat16PKPS1_EEviiT1_T2_lllT3_llli.has_indirect_call, 0
	.section	.AMDGPU.csdata,"",@progbits
; Kernel info:
; codeLenInByte = 468
; TotalNumSgprs: 22
; NumVgprs: 7
; ScratchSize: 0
; MemoryBound: 0
; FloatMode: 240
; IeeeMode: 1
; LDSByteSize: 0 bytes/workgroup (compile time only)
; SGPRBlocks: 0
; VGPRBlocks: 0
; NumSGPRsForWavesPerEU: 22
; NumVGPRsForWavesPerEU: 7
; Occupancy: 16
; WaveLimiterHint : 1
; COMPUTE_PGM_RSRC2:SCRATCH_EN: 0
; COMPUTE_PGM_RSRC2:USER_SGPR: 6
; COMPUTE_PGM_RSRC2:TRAP_HANDLER: 0
; COMPUTE_PGM_RSRC2:TGID_X_EN: 1
; COMPUTE_PGM_RSRC2:TGID_Y_EN: 1
; COMPUTE_PGM_RSRC2:TGID_Z_EN: 1
; COMPUTE_PGM_RSRC2:TIDIG_COMP_CNT: 1
	.section	.text._ZN12_GLOBAL__N_127rocblas_gemm_batched_kernelIfLi16ELi16ELi64ELi64ELi4ELi64ELi4ELi4ELi64ELc78ELc78EKPK16rocblas_bfloat16S4_KPS1_EEvlllT_PT11_llS9_llS7_PT12_llPT13_lli,"axG",@progbits,_ZN12_GLOBAL__N_127rocblas_gemm_batched_kernelIfLi16ELi16ELi64ELi64ELi4ELi64ELi4ELi4ELi64ELc78ELc78EKPK16rocblas_bfloat16S4_KPS1_EEvlllT_PT11_llS9_llS7_PT12_llPT13_lli,comdat
	.globl	_ZN12_GLOBAL__N_127rocblas_gemm_batched_kernelIfLi16ELi16ELi64ELi64ELi4ELi64ELi4ELi4ELi64ELc78ELc78EKPK16rocblas_bfloat16S4_KPS1_EEvlllT_PT11_llS9_llS7_PT12_llPT13_lli ; -- Begin function _ZN12_GLOBAL__N_127rocblas_gemm_batched_kernelIfLi16ELi16ELi64ELi64ELi4ELi64ELi4ELi4ELi64ELc78ELc78EKPK16rocblas_bfloat16S4_KPS1_EEvlllT_PT11_llS9_llS7_PT12_llPT13_lli
	.p2align	8
	.type	_ZN12_GLOBAL__N_127rocblas_gemm_batched_kernelIfLi16ELi16ELi64ELi64ELi4ELi64ELi4ELi4ELi64ELc78ELc78EKPK16rocblas_bfloat16S4_KPS1_EEvlllT_PT11_llS9_llS7_PT12_llPT13_lli,@function
_ZN12_GLOBAL__N_127rocblas_gemm_batched_kernelIfLi16ELi16ELi64ELi64ELi4ELi64ELi4ELi4ELi64ELc78ELc78EKPK16rocblas_bfloat16S4_KPS1_EEvlllT_PT11_llS9_llS7_PT12_llPT13_lli: ; @_ZN12_GLOBAL__N_127rocblas_gemm_batched_kernelIfLi16ELi16ELi64ELi64ELi4ELi64ELi4ELi4ELi64ELc78ELc78EKPK16rocblas_bfloat16S4_KPS1_EEvlllT_PT11_llS9_llS7_PT12_llPT13_lli
; %bb.0:
	s_clause 0x1
	s_load_dwordx8 s[12:19], s[4:5], 0x58
	s_load_dwordx2 s[28:29], s[4:5], 0x10
	s_mov_b32 s9, 0
	s_load_dwordx4 s[0:3], s[4:5], 0x78
	s_lshl_b64 s[34:35], s[8:9], 3
	s_mov_b32 s10, s7
	v_mov_b32_e32 v21, 0
	v_mov_b32_e32 v20, 0
	;; [unrolled: 1-line block ×14, first 2 shown]
	s_waitcnt lgkmcnt(0)
	s_add_u32 s8, s12, s34
	s_addc_u32 s9, s13, s35
	s_add_u32 s18, s18, s34
	s_addc_u32 s19, s19, s35
	s_load_dwordx2 s[12:13], s[8:9], 0x0
	s_load_dwordx2 s[18:19], s[18:19], 0x0
	v_cmp_lt_i64_e64 s20, s[28:29], 1
	v_mov_b32_e32 v7, 0
	v_mov_b32_e32 v6, 0
	s_ashr_i32 s7, s6, 31
	s_ashr_i32 s11, s10, 31
	s_lshl_b64 s[6:7], s[6:7], 6
	s_and_b32 vcc_lo, exec_lo, s20
	s_lshl_b64 s[30:31], s[10:11], 6
	s_cbranch_vccnz .LBB140_3
; %bb.1:
	s_load_dwordx8 s[20:27], s[4:5], 0x20
	v_lshlrev_b32_e32 v7, 4, v1
	s_load_dwordx4 s[8:11], s[4:5], 0x40
	v_and_b32_e32 v10, 3, v0
	v_mov_b32_e32 v6, 0
	v_lshlrev_b32_e32 v22, 2, v0
	v_add_nc_u32_e32 v2, v7, v0
	v_add_nc_u32_e32 v23, 0x400, v7
	v_lshlrev_b32_e32 v9, 2, v10
	v_mov_b32_e32 v16, 0
	v_mov_b32_e32 v17, 0
	v_lshrrev_b32_e32 v8, 2, v2
	v_lshrrev_b32_e32 v12, 6, v2
	v_and_b32_e32 v11, 63, v2
	v_mov_b32_e32 v18, 0
	v_mov_b32_e32 v19, 0
	v_add_co_u32 v4, s33, v8, s30
	v_add_co_ci_u32_e64 v5, null, 0, s31, s33
	s_waitcnt lgkmcnt(0)
	s_add_u32 s20, s20, s34
	s_addc_u32 s21, s21, s35
	v_mad_u64_u32 v[2:3], null, s22, v12, s[6:7]
	s_load_dwordx2 s[20:21], s[20:21], 0x0
	v_mul_lo_u32 v14, s9, v4
	v_mul_lo_u32 v15, s8, v5
	v_mad_u64_u32 v[4:5], null, s8, v4, 0
	v_lshl_or_b32 v8, v8, 4, v9
	s_add_u32 s8, s26, s34
	s_addc_u32 s9, s27, s35
	s_lshl_b64 s[24:25], s[24:25], 1
	s_load_dwordx2 s[8:9], s[8:9], 0x0
	v_add_nc_u32_e32 v25, 0x400, v8
	v_add3_u32 v5, v5, v15, v14
	v_mad_u64_u32 v[7:8], null, s23, v12, v[3:4]
	v_add_co_u32 v8, vcc_lo, v2, v11
	v_lshlrev_b64 v[3:4], 1, v[4:5]
	v_lshlrev_b32_e32 v5, 1, v10
	v_lshlrev_b32_e32 v13, 2, v11
	v_mov_b32_e32 v10, 0
	v_add_co_ci_u32_e64 v9, null, 0, v7, vcc_lo
	s_waitcnt lgkmcnt(0)
	s_add_u32 s20, s20, s24
	s_addc_u32 s21, s21, s25
	s_lshl_b64 s[10:11], s[10:11], 1
	v_lshl_or_b32 v24, v12, 8, v13
	v_add_co_u32 v7, vcc_lo, v3, s10
	v_add_co_ci_u32_e64 v4, null, s11, v4, vcc_lo
	v_lshlrev_b64 v[2:3], 1, v[8:9]
	v_add_co_u32 v5, vcc_lo, v7, v5
	v_add_co_ci_u32_e64 v7, null, 0, v4, vcc_lo
	v_mov_b32_e32 v8, 0
	v_add_co_u32 v2, vcc_lo, s20, v2
	v_add_co_ci_u32_e64 v3, null, s21, v3, vcc_lo
	v_add_co_u32 v4, vcc_lo, s8, v5
	v_add_co_ci_u32_e64 v5, null, s9, v7, vcc_lo
	v_mov_b32_e32 v7, 0
	v_mov_b32_e32 v9, 0
	;; [unrolled: 1-line block ×9, first 2 shown]
	s_lshl_b64 s[8:9], s[22:23], 3
	s_mov_b64 s[10:11], 0
.LBB140_2:                              ; =>This Inner Loop Header: Depth=1
	flat_load_ushort v26, v[2:3]
	flat_load_ushort v27, v[4:5]
	s_add_u32 s10, s10, 4
	s_addc_u32 s11, s11, 0
	v_add_co_u32 v2, vcc_lo, v2, s8
	v_cmp_lt_i64_e64 s20, s[10:11], s[28:29]
	v_add_co_ci_u32_e64 v3, null, s9, v3, vcc_lo
	v_add_co_u32 v4, vcc_lo, v4, 8
	v_add_co_ci_u32_e64 v5, null, 0, v5, vcc_lo
	s_and_b32 vcc_lo, exec_lo, s20
	s_waitcnt vmcnt(1) lgkmcnt(1)
	v_lshlrev_b32_e32 v26, 16, v26
	s_waitcnt vmcnt(0) lgkmcnt(0)
	v_lshlrev_b32_e32 v27, 16, v27
	ds_write_b32 v24, v26
	ds_write_b32 v25, v27
	s_waitcnt lgkmcnt(0)
	s_barrier
	buffer_gl0_inv
	ds_read_b128 v[26:29], v23
	ds_read2_b32 v[42:43], v22 offset1:16
	ds_read2_b32 v[44:45], v22 offset0:32 offset1:48
	ds_read_b128 v[30:33], v23 offset:256
	ds_read_b128 v[34:37], v23 offset:512
	;; [unrolled: 1-line block ×3, first 2 shown]
	ds_read2_b32 v[46:47], v22 offset0:64 offset1:80
	ds_read2_b32 v[48:49], v22 offset0:96 offset1:112
	;; [unrolled: 1-line block ×6, first 2 shown]
	s_waitcnt lgkmcnt(0)
	s_barrier
	buffer_gl0_inv
	v_fmac_f32_e32 v21, v42, v26
	v_fmac_f32_e32 v20, v43, v26
	v_fmac_f32_e32 v19, v44, v26
	v_fmac_f32_e32 v18, v45, v26
	v_fmac_f32_e32 v17, v42, v30
	v_fmac_f32_e32 v16, v43, v30
	v_fmac_f32_e32 v15, v44, v30
	v_fmac_f32_e32 v14, v45, v30
	v_fmac_f32_e32 v13, v42, v34
	v_fmac_f32_e32 v12, v43, v34
	v_fmac_f32_e32 v11, v44, v34
	v_fmac_f32_e32 v10, v45, v34
	v_fmac_f32_e32 v9, v42, v38
	v_fmac_f32_e32 v8, v43, v38
	v_fmac_f32_e32 v7, v44, v38
	v_fmac_f32_e32 v6, v45, v38
	v_fmac_f32_e32 v21, v46, v27
	v_fmac_f32_e32 v20, v47, v27
	v_fmac_f32_e32 v19, v48, v27
	v_fmac_f32_e32 v18, v49, v27
	v_fmac_f32_e32 v17, v46, v31
	v_fmac_f32_e32 v16, v47, v31
	v_fmac_f32_e32 v15, v48, v31
	v_fmac_f32_e32 v14, v49, v31
	v_fmac_f32_e32 v13, v46, v35
	v_fmac_f32_e32 v12, v47, v35
	v_fmac_f32_e32 v11, v48, v35
	v_fmac_f32_e32 v10, v49, v35
	v_fmac_f32_e32 v9, v46, v39
	v_fmac_f32_e32 v8, v47, v39
	v_fmac_f32_e32 v7, v48, v39
	v_fmac_f32_e32 v6, v49, v39
	v_fmac_f32_e32 v21, v50, v28
	v_fmac_f32_e32 v20, v51, v28
	v_fmac_f32_e32 v19, v52, v28
	v_fmac_f32_e32 v18, v53, v28
	v_fmac_f32_e32 v17, v50, v32
	v_fmac_f32_e32 v16, v51, v32
	v_fmac_f32_e32 v15, v52, v32
	v_fmac_f32_e32 v14, v53, v32
	v_fmac_f32_e32 v13, v50, v36
	v_fmac_f32_e32 v12, v51, v36
	v_fmac_f32_e32 v11, v52, v36
	v_fmac_f32_e32 v10, v53, v36
	v_fmac_f32_e32 v9, v50, v40
	v_fmac_f32_e32 v8, v51, v40
	v_fmac_f32_e32 v7, v52, v40
	v_fmac_f32_e32 v6, v53, v40
	v_fmac_f32_e32 v21, v54, v29
	v_fmac_f32_e32 v20, v55, v29
	v_fmac_f32_e32 v19, v56, v29
	v_fmac_f32_e32 v18, v57, v29
	v_fmac_f32_e32 v17, v54, v33
	v_fmac_f32_e32 v16, v55, v33
	v_fmac_f32_e32 v15, v56, v33
	v_fmac_f32_e32 v14, v57, v33
	v_fmac_f32_e32 v13, v54, v37
	v_fmac_f32_e32 v12, v55, v37
	v_fmac_f32_e32 v11, v56, v37
	v_fmac_f32_e32 v10, v57, v37
	v_fmac_f32_e32 v9, v54, v41
	v_fmac_f32_e32 v8, v55, v41
	v_fmac_f32_e32 v7, v56, v41
	v_fmac_f32_e32 v6, v57, v41
	s_cbranch_vccnz .LBB140_2
.LBB140_3:
	s_clause 0x1
	s_load_dword s8, s[4:5], 0x50
	s_load_dword s4, s[4:5], 0x18
	s_lshl_b64 s[2:3], s[2:3], 1
	s_waitcnt lgkmcnt(0)
	s_add_u32 s5, s18, s2
	v_add_co_u32 v22, s2, s30, v1
	s_addc_u32 s9, s19, s3
	v_add_co_ci_u32_e64 v23, null, s31, 0, s2
	v_add_co_u32 v0, s3, s6, v0
	v_add_co_ci_u32_e64 v1, null, s7, 0, s3
	v_cmp_neq_f32_e64 s2, s8, 0
	s_and_b32 vcc_lo, exec_lo, s2
	s_cbranch_vccnz .LBB140_196
; %bb.4:
	v_mul_f32_e32 v2, s4, v21
	s_mov_b32 s2, exec_lo
                                        ; implicit-def: $vgpr26
	v_and_b32_e32 v3, 0x7f800000, v2
	v_cmpx_ne_u32_e32 0x7f800000, v3
	s_xor_b32 s2, exec_lo, s2
; %bb.5:
	v_bfe_u32 v3, v2, 16, 1
	v_add3_u32 v26, v2, v3, 0x7fff
                                        ; implicit-def: $vgpr2
; %bb.6:
	s_andn2_saveexec_b32 s2, s2
; %bb.7:
	v_mov_b32_e32 v3, 0
	v_or_b32_e32 v4, 0x10000, v2
	v_cmp_eq_u32_sdwa vcc_lo, v2, v3 src0_sel:WORD_0 src1_sel:DWORD
	v_cndmask_b32_e32 v26, v4, v2, vcc_lo
; %bb.8:
	s_or_b32 exec_lo, exec_lo, s2
	v_mul_lo_u32 v4, v23, s0
	v_mul_lo_u32 v5, v22, s1
	v_mad_u64_u32 v[2:3], null, v22, s0, 0
	v_mul_f32_e32 v27, s4, v20
	v_and_b32_e32 v28, 0x7f800000, v27
	v_add3_u32 v3, v3, v5, v4
	v_lshlrev_b64 v[4:5], 1, v[2:3]
	v_lshlrev_b64 v[2:3], 1, v[0:1]
	v_add_co_u32 v24, vcc_lo, s5, v4
	v_add_co_ci_u32_e64 v25, null, s9, v5, vcc_lo
	v_add_co_u32 v4, vcc_lo, v24, v2
	v_add_co_ci_u32_e64 v5, null, v25, v3, vcc_lo
	v_cmp_ne_u32_e32 vcc_lo, 0x7f800000, v28
                                        ; implicit-def: $vgpr28
	flat_store_short_d16_hi v[4:5], v26
	s_and_saveexec_b32 s2, vcc_lo
	s_xor_b32 s2, exec_lo, s2
; %bb.9:
	v_bfe_u32 v26, v27, 16, 1
	v_add3_u32 v28, v27, v26, 0x7fff
                                        ; implicit-def: $vgpr27
; %bb.10:
	s_andn2_saveexec_b32 s2, s2
; %bb.11:
	v_mov_b32_e32 v26, 0
	v_or_b32_e32 v28, 0x10000, v27
	v_cmp_eq_u32_sdwa vcc_lo, v27, v26 src0_sel:WORD_0 src1_sel:DWORD
	v_cndmask_b32_e32 v28, v28, v27, vcc_lo
; %bb.12:
	s_or_b32 exec_lo, exec_lo, s2
	v_mul_f32_e32 v26, s4, v19
	flat_store_short_d16_hi v[4:5], v28 offset:32
	v_and_b32_e32 v27, 0x7f800000, v26
	v_cmp_ne_u32_e32 vcc_lo, 0x7f800000, v27
                                        ; implicit-def: $vgpr27
	s_and_saveexec_b32 s2, vcc_lo
	s_xor_b32 s2, exec_lo, s2
; %bb.13:
	v_bfe_u32 v27, v26, 16, 1
	v_add3_u32 v27, v26, v27, 0x7fff
                                        ; implicit-def: $vgpr26
; %bb.14:
	s_andn2_saveexec_b32 s2, s2
; %bb.15:
	v_mov_b32_e32 v27, 0
	v_or_b32_e32 v28, 0x10000, v26
	v_cmp_eq_u32_sdwa vcc_lo, v26, v27 src0_sel:WORD_0 src1_sel:DWORD
	v_cndmask_b32_e32 v27, v28, v26, vcc_lo
; %bb.16:
	s_or_b32 exec_lo, exec_lo, s2
	v_mul_f32_e32 v26, s4, v18
	flat_store_short_d16_hi v[4:5], v27 offset:64
	v_and_b32_e32 v28, 0x7f800000, v26
	v_cmp_ne_u32_e32 vcc_lo, 0x7f800000, v28
                                        ; implicit-def: $vgpr28
	s_and_saveexec_b32 s2, vcc_lo
	s_xor_b32 s2, exec_lo, s2
; %bb.17:
	v_bfe_u32 v27, v26, 16, 1
	v_add3_u32 v28, v26, v27, 0x7fff
                                        ; implicit-def: $vgpr26
; %bb.18:
	s_andn2_saveexec_b32 s2, s2
; %bb.19:
	v_mov_b32_e32 v27, 0
	v_or_b32_e32 v28, 0x10000, v26
	v_cmp_eq_u32_sdwa vcc_lo, v26, v27 src0_sel:WORD_0 src1_sel:DWORD
	v_cndmask_b32_e32 v28, v28, v26, vcc_lo
; %bb.20:
	s_or_b32 exec_lo, exec_lo, s2
	v_mul_f32_e32 v27, s4, v17
	flat_store_short_d16_hi v[4:5], v28 offset:96
	v_and_b32_e32 v26, 0x7f800000, v27
	v_cmp_ne_u32_e32 vcc_lo, 0x7f800000, v26
                                        ; implicit-def: $vgpr26
	s_and_saveexec_b32 s2, vcc_lo
	s_xor_b32 s2, exec_lo, s2
; %bb.21:
	v_bfe_u32 v4, v27, 16, 1
	v_add3_u32 v26, v27, v4, 0x7fff
                                        ; implicit-def: $vgpr27
; %bb.22:
	s_andn2_saveexec_b32 s2, s2
; %bb.23:
	v_mov_b32_e32 v4, 0
	v_or_b32_e32 v5, 0x10000, v27
	v_cmp_eq_u32_sdwa vcc_lo, v27, v4 src0_sel:WORD_0 src1_sel:DWORD
	v_cndmask_b32_e32 v26, v5, v27, vcc_lo
; %bb.24:
	s_or_b32 exec_lo, exec_lo, s2
	v_mul_f32_e32 v27, s4, v16
	s_lshl_b64 s[2:3], s[0:1], 5
	v_add_co_u32 v24, vcc_lo, v24, s2
	v_add_co_ci_u32_e64 v25, null, s3, v25, vcc_lo
	v_and_b32_e32 v28, 0x7f800000, v27
	v_add_co_u32 v4, vcc_lo, v24, v2
	v_add_co_ci_u32_e64 v5, null, v25, v3, vcc_lo
	v_cmp_ne_u32_e32 vcc_lo, 0x7f800000, v28
                                        ; implicit-def: $vgpr28
	flat_store_short_d16_hi v[4:5], v26
	s_and_saveexec_b32 s2, vcc_lo
	s_xor_b32 s2, exec_lo, s2
; %bb.25:
	v_bfe_u32 v26, v27, 16, 1
	v_add3_u32 v28, v27, v26, 0x7fff
                                        ; implicit-def: $vgpr27
; %bb.26:
	s_andn2_saveexec_b32 s2, s2
; %bb.27:
	v_mov_b32_e32 v26, 0
	v_or_b32_e32 v28, 0x10000, v27
	v_cmp_eq_u32_sdwa vcc_lo, v27, v26 src0_sel:WORD_0 src1_sel:DWORD
	v_cndmask_b32_e32 v28, v28, v27, vcc_lo
; %bb.28:
	s_or_b32 exec_lo, exec_lo, s2
	v_mul_f32_e32 v26, s4, v15
	flat_store_short_d16_hi v[4:5], v28 offset:32
	v_and_b32_e32 v27, 0x7f800000, v26
	v_cmp_ne_u32_e32 vcc_lo, 0x7f800000, v27
                                        ; implicit-def: $vgpr27
	s_and_saveexec_b32 s2, vcc_lo
	s_xor_b32 s2, exec_lo, s2
; %bb.29:
	v_bfe_u32 v27, v26, 16, 1
	v_add3_u32 v27, v26, v27, 0x7fff
                                        ; implicit-def: $vgpr26
; %bb.30:
	s_andn2_saveexec_b32 s2, s2
; %bb.31:
	v_mov_b32_e32 v27, 0
	v_or_b32_e32 v28, 0x10000, v26
	v_cmp_eq_u32_sdwa vcc_lo, v26, v27 src0_sel:WORD_0 src1_sel:DWORD
	v_cndmask_b32_e32 v27, v28, v26, vcc_lo
; %bb.32:
	s_or_b32 exec_lo, exec_lo, s2
	v_mul_f32_e32 v26, s4, v14
	flat_store_short_d16_hi v[4:5], v27 offset:64
	v_and_b32_e32 v28, 0x7f800000, v26
	v_cmp_ne_u32_e32 vcc_lo, 0x7f800000, v28
                                        ; implicit-def: $vgpr28
	s_and_saveexec_b32 s2, vcc_lo
	s_xor_b32 s2, exec_lo, s2
; %bb.33:
	v_bfe_u32 v27, v26, 16, 1
	v_add3_u32 v28, v26, v27, 0x7fff
                                        ; implicit-def: $vgpr26
; %bb.34:
	s_andn2_saveexec_b32 s2, s2
; %bb.35:
	v_mov_b32_e32 v27, 0
	v_or_b32_e32 v28, 0x10000, v26
	v_cmp_eq_u32_sdwa vcc_lo, v26, v27 src0_sel:WORD_0 src1_sel:DWORD
	v_cndmask_b32_e32 v28, v28, v26, vcc_lo
; %bb.36:
	s_or_b32 exec_lo, exec_lo, s2
	v_mul_f32_e32 v27, s4, v13
	flat_store_short_d16_hi v[4:5], v28 offset:96
	v_and_b32_e32 v26, 0x7f800000, v27
	v_cmp_ne_u32_e32 vcc_lo, 0x7f800000, v26
                                        ; implicit-def: $vgpr26
	s_and_saveexec_b32 s2, vcc_lo
	s_xor_b32 s2, exec_lo, s2
; %bb.37:
	v_bfe_u32 v4, v27, 16, 1
	v_add3_u32 v26, v27, v4, 0x7fff
                                        ; implicit-def: $vgpr27
; %bb.38:
	s_or_saveexec_b32 s6, s2
	s_lshl_b64 s[2:3], s[0:1], 4
	s_xor_b32 exec_lo, exec_lo, s6
; %bb.39:
	v_mov_b32_e32 v4, 0
	v_or_b32_e32 v5, 0x10000, v27
	v_cmp_eq_u32_sdwa vcc_lo, v27, v4 src0_sel:WORD_0 src1_sel:DWORD
	v_cndmask_b32_e32 v26, v5, v27, vcc_lo
; %bb.40:
	s_or_b32 exec_lo, exec_lo, s6
	v_mul_f32_e32 v27, s4, v12
	s_lshl_b64 s[2:3], s[2:3], 1
	v_add_co_u32 v24, vcc_lo, v24, s2
	v_add_co_ci_u32_e64 v25, null, s3, v25, vcc_lo
	v_and_b32_e32 v28, 0x7f800000, v27
	v_add_co_u32 v4, vcc_lo, v24, v2
	v_add_co_ci_u32_e64 v5, null, v25, v3, vcc_lo
	v_cmp_ne_u32_e32 vcc_lo, 0x7f800000, v28
                                        ; implicit-def: $vgpr28
	flat_store_short_d16_hi v[4:5], v26
	s_and_saveexec_b32 s6, vcc_lo
	s_xor_b32 s6, exec_lo, s6
; %bb.41:
	v_bfe_u32 v26, v27, 16, 1
	v_add3_u32 v28, v27, v26, 0x7fff
                                        ; implicit-def: $vgpr27
; %bb.42:
	s_andn2_saveexec_b32 s6, s6
; %bb.43:
	v_mov_b32_e32 v26, 0
	v_or_b32_e32 v28, 0x10000, v27
	v_cmp_eq_u32_sdwa vcc_lo, v27, v26 src0_sel:WORD_0 src1_sel:DWORD
	v_cndmask_b32_e32 v28, v28, v27, vcc_lo
; %bb.44:
	s_or_b32 exec_lo, exec_lo, s6
	v_mul_f32_e32 v26, s4, v11
	flat_store_short_d16_hi v[4:5], v28 offset:32
	v_and_b32_e32 v27, 0x7f800000, v26
	v_cmp_ne_u32_e32 vcc_lo, 0x7f800000, v27
                                        ; implicit-def: $vgpr27
	s_and_saveexec_b32 s6, vcc_lo
	s_xor_b32 s6, exec_lo, s6
; %bb.45:
	v_bfe_u32 v27, v26, 16, 1
	v_add3_u32 v27, v26, v27, 0x7fff
                                        ; implicit-def: $vgpr26
; %bb.46:
	s_andn2_saveexec_b32 s6, s6
; %bb.47:
	v_mov_b32_e32 v27, 0
	v_or_b32_e32 v28, 0x10000, v26
	v_cmp_eq_u32_sdwa vcc_lo, v26, v27 src0_sel:WORD_0 src1_sel:DWORD
	v_cndmask_b32_e32 v27, v28, v26, vcc_lo
; %bb.48:
	s_or_b32 exec_lo, exec_lo, s6
	v_mul_f32_e32 v26, s4, v10
	s_mov_b32 s6, exec_lo
	flat_store_short_d16_hi v[4:5], v27 offset:64
                                        ; implicit-def: $vgpr27
	v_and_b32_e32 v28, 0x7f800000, v26
	v_cmpx_ne_u32_e32 0x7f800000, v28
	s_xor_b32 s6, exec_lo, s6
; %bb.49:
	v_bfe_u32 v27, v26, 16, 1
	v_add3_u32 v27, v26, v27, 0x7fff
                                        ; implicit-def: $vgpr26
; %bb.50:
	s_andn2_saveexec_b32 s6, s6
; %bb.51:
	v_mov_b32_e32 v27, 0
	v_or_b32_e32 v28, 0x10000, v26
	v_cmp_eq_u32_sdwa vcc_lo, v26, v27 src0_sel:WORD_0 src1_sel:DWORD
	v_cndmask_b32_e32 v27, v28, v26, vcc_lo
; %bb.52:
	s_or_b32 exec_lo, exec_lo, s6
	v_mul_f32_e32 v26, s4, v9
	s_mov_b32 s6, exec_lo
	flat_store_short_d16_hi v[4:5], v27 offset:96
                                        ; implicit-def: $vgpr4
	v_and_b32_e32 v28, 0x7f800000, v26
	v_cmpx_ne_u32_e32 0x7f800000, v28
	s_xor_b32 s6, exec_lo, s6
; %bb.53:
	v_bfe_u32 v4, v26, 16, 1
	v_add3_u32 v4, v26, v4, 0x7fff
                                        ; implicit-def: $vgpr26
; %bb.54:
	s_andn2_saveexec_b32 s6, s6
; %bb.55:
	v_mov_b32_e32 v4, 0
	v_or_b32_e32 v5, 0x10000, v26
	v_cmp_eq_u32_sdwa vcc_lo, v26, v4 src0_sel:WORD_0 src1_sel:DWORD
	v_cndmask_b32_e32 v4, v5, v26, vcc_lo
; %bb.56:
	s_or_b32 exec_lo, exec_lo, s6
	v_add_co_u32 v24, vcc_lo, v24, s2
	v_mul_f32_e32 v5, s4, v8
	v_add_co_ci_u32_e64 v25, null, s3, v25, vcc_lo
	v_add_co_u32 v2, vcc_lo, v24, v2
	v_and_b32_e32 v26, 0x7f800000, v5
	v_add_co_ci_u32_e64 v3, null, v25, v3, vcc_lo
	s_mov_b32 s2, exec_lo
                                        ; implicit-def: $vgpr24
	flat_store_short_d16_hi v[2:3], v4
	v_cmpx_ne_u32_e32 0x7f800000, v26
	s_xor_b32 s2, exec_lo, s2
; %bb.57:
	v_bfe_u32 v4, v5, 16, 1
	v_add3_u32 v24, v5, v4, 0x7fff
                                        ; implicit-def: $vgpr5
; %bb.58:
	s_andn2_saveexec_b32 s2, s2
; %bb.59:
	v_mov_b32_e32 v4, 0
	v_or_b32_e32 v24, 0x10000, v5
	v_cmp_eq_u32_sdwa vcc_lo, v5, v4 src0_sel:WORD_0 src1_sel:DWORD
	v_cndmask_b32_e32 v24, v24, v5, vcc_lo
; %bb.60:
	s_or_b32 exec_lo, exec_lo, s2
	v_mul_f32_e32 v4, s4, v7
	flat_store_short_d16_hi v[2:3], v24 offset:32
	v_and_b32_e32 v5, 0x7f800000, v4
	v_cmp_ne_u32_e32 vcc_lo, 0x7f800000, v5
                                        ; implicit-def: $vgpr5
	s_and_saveexec_b32 s2, vcc_lo
	s_xor_b32 s2, exec_lo, s2
; %bb.61:
	v_bfe_u32 v5, v4, 16, 1
	v_add3_u32 v5, v4, v5, 0x7fff
                                        ; implicit-def: $vgpr4
; %bb.62:
	s_andn2_saveexec_b32 s2, s2
; %bb.63:
	v_mov_b32_e32 v5, 0
	v_or_b32_e32 v24, 0x10000, v4
	v_cmp_eq_u32_sdwa vcc_lo, v4, v5 src0_sel:WORD_0 src1_sel:DWORD
	v_cndmask_b32_e32 v5, v24, v4, vcc_lo
; %bb.64:
	s_or_b32 exec_lo, exec_lo, s2
	v_mul_f32_e32 v4, s4, v6
	s_mov_b32 s2, exec_lo
	flat_store_short_d16_hi v[2:3], v5 offset:64
                                        ; implicit-def: $vgpr5
	v_and_b32_e32 v24, 0x7f800000, v4
	v_cmpx_ne_u32_e32 0x7f800000, v24
	s_xor_b32 s2, exec_lo, s2
; %bb.65:
	v_bfe_u32 v5, v4, 16, 1
	v_add3_u32 v5, v4, v5, 0x7fff
                                        ; implicit-def: $vgpr4
; %bb.66:
	s_andn2_saveexec_b32 s2, s2
; %bb.67:
	v_mov_b32_e32 v5, 0
	v_or_b32_e32 v24, 0x10000, v4
	v_cmp_eq_u32_sdwa vcc_lo, v4, v5 src0_sel:WORD_0 src1_sel:DWORD
	v_cndmask_b32_e32 v5, v24, v4, vcc_lo
; %bb.68:
	s_or_b32 exec_lo, exec_lo, s2
	flat_store_short_d16_hi v[2:3], v5 offset:96
	s_branch .LBB140_197
.LBB140_69:
	v_mul_lo_u32 v4, v23, s14
	v_mul_lo_u32 v5, v22, s15
	v_mad_u64_u32 v[2:3], null, v22, s14, 0
	s_lshl_b64 s[2:3], s[16:17], 1
	v_lshlrev_b64 v[0:1], 1, v[0:1]
	s_add_u32 s2, s12, s2
	s_addc_u32 s3, s13, s3
	v_add3_u32 v3, v3, v5, v4
	v_lshlrev_b64 v[2:3], 1, v[2:3]
	v_add_co_u32 v24, vcc_lo, s2, v2
	v_add_co_ci_u32_e64 v25, null, s3, v3, vcc_lo
	v_add_co_u32 v2, vcc_lo, v24, v0
	v_add_co_ci_u32_e64 v3, null, v25, v1, vcc_lo
	flat_load_ushort v4, v[2:3]
	s_waitcnt vmcnt(0) lgkmcnt(0)
	v_lshlrev_b32_e32 v4, 16, v4
	v_mul_f32_e32 v4, s8, v4
	v_and_b32_e32 v5, 0x7f800000, v4
	v_cmp_ne_u32_e32 vcc_lo, 0x7f800000, v5
                                        ; implicit-def: $vgpr5
	s_and_saveexec_b32 s2, vcc_lo
	s_xor_b32 s2, exec_lo, s2
; %bb.70:
	v_bfe_u32 v5, v4, 16, 1
	v_add3_u32 v5, v4, v5, 0x7fff
                                        ; implicit-def: $vgpr4
; %bb.71:
	s_andn2_saveexec_b32 s2, s2
; %bb.72:
	v_mov_b32_e32 v5, 0
	v_or_b32_e32 v26, 0x10000, v4
	v_cmp_eq_u32_sdwa vcc_lo, v4, v5 src0_sel:WORD_0 src1_sel:DWORD
	v_cndmask_b32_e32 v5, v26, v4, vcc_lo
; %bb.73:
	s_or_b32 exec_lo, exec_lo, s2
	v_and_b32_e32 v4, 0xffff0000, v5
	s_mov_b32 s2, exec_lo
                                        ; implicit-def: $vgpr26
	v_fmac_f32_e32 v4, s4, v21
	v_and_b32_e32 v5, 0x7f800000, v4
	v_cmpx_ne_u32_e32 0x7f800000, v5
	s_xor_b32 s2, exec_lo, s2
; %bb.74:
	v_bfe_u32 v5, v4, 16, 1
	v_add3_u32 v26, v4, v5, 0x7fff
                                        ; implicit-def: $vgpr4
; %bb.75:
	s_andn2_saveexec_b32 s2, s2
; %bb.76:
	v_mov_b32_e32 v5, 0
	v_or_b32_e32 v21, 0x10000, v4
	v_cmp_eq_u32_sdwa vcc_lo, v4, v5 src0_sel:WORD_0 src1_sel:DWORD
	v_cndmask_b32_e32 v26, v21, v4, vcc_lo
; %bb.77:
	s_or_b32 exec_lo, exec_lo, s2
	v_mul_lo_u32 v21, v23, s0
	v_mul_lo_u32 v23, v22, s1
	v_mad_u64_u32 v[4:5], null, v22, s0, 0
	v_add3_u32 v5, v5, v23, v21
	v_lshlrev_b64 v[4:5], 1, v[4:5]
	v_add_co_u32 v21, vcc_lo, s5, v4
	v_add_co_ci_u32_e64 v22, null, s9, v5, vcc_lo
	v_add_co_u32 v4, vcc_lo, v21, v0
	v_add_co_ci_u32_e64 v5, null, v22, v1, vcc_lo
	flat_store_short_d16_hi v[4:5], v26
	flat_load_ushort v23, v[2:3] offset:32
	s_waitcnt vmcnt(0) lgkmcnt(0)
	v_lshlrev_b32_e32 v23, 16, v23
	v_mul_f32_e32 v23, s8, v23
	v_and_b32_e32 v26, 0x7f800000, v23
	v_cmp_ne_u32_e32 vcc_lo, 0x7f800000, v26
                                        ; implicit-def: $vgpr26
	s_and_saveexec_b32 s2, vcc_lo
	s_xor_b32 s2, exec_lo, s2
; %bb.78:
	v_bfe_u32 v26, v23, 16, 1
	v_add3_u32 v26, v23, v26, 0x7fff
                                        ; implicit-def: $vgpr23
; %bb.79:
	s_andn2_saveexec_b32 s2, s2
; %bb.80:
	v_mov_b32_e32 v26, 0
	v_or_b32_e32 v27, 0x10000, v23
	v_cmp_eq_u32_sdwa vcc_lo, v23, v26 src0_sel:WORD_0 src1_sel:DWORD
	v_cndmask_b32_e32 v26, v27, v23, vcc_lo
; %bb.81:
	s_or_b32 exec_lo, exec_lo, s2
	v_and_b32_e32 v23, 0xffff0000, v26
	v_fmac_f32_e32 v23, s4, v20
	v_and_b32_e32 v20, 0x7f800000, v23
	v_cmp_ne_u32_e32 vcc_lo, 0x7f800000, v20
                                        ; implicit-def: $vgpr20
	s_and_saveexec_b32 s2, vcc_lo
	s_xor_b32 s2, exec_lo, s2
; %bb.82:
	v_bfe_u32 v20, v23, 16, 1
	v_add3_u32 v20, v23, v20, 0x7fff
                                        ; implicit-def: $vgpr23
; %bb.83:
	s_andn2_saveexec_b32 s2, s2
; %bb.84:
	v_mov_b32_e32 v20, 0
	v_or_b32_e32 v26, 0x10000, v23
	v_cmp_eq_u32_sdwa vcc_lo, v23, v20 src0_sel:WORD_0 src1_sel:DWORD
	v_cndmask_b32_e32 v20, v26, v23, vcc_lo
; %bb.85:
	s_or_b32 exec_lo, exec_lo, s2
	flat_store_short_d16_hi v[4:5], v20 offset:32
	flat_load_ushort v20, v[2:3] offset:64
	s_waitcnt vmcnt(0) lgkmcnt(0)
	v_lshlrev_b32_e32 v20, 16, v20
	v_mul_f32_e32 v20, s8, v20
	v_and_b32_e32 v23, 0x7f800000, v20
	v_cmp_ne_u32_e32 vcc_lo, 0x7f800000, v23
                                        ; implicit-def: $vgpr23
	s_and_saveexec_b32 s2, vcc_lo
	s_xor_b32 s2, exec_lo, s2
; %bb.86:
	v_bfe_u32 v23, v20, 16, 1
	v_add3_u32 v23, v20, v23, 0x7fff
                                        ; implicit-def: $vgpr20
; %bb.87:
	s_andn2_saveexec_b32 s2, s2
; %bb.88:
	v_mov_b32_e32 v23, 0
	v_or_b32_e32 v26, 0x10000, v20
	v_cmp_eq_u32_sdwa vcc_lo, v20, v23 src0_sel:WORD_0 src1_sel:DWORD
	v_cndmask_b32_e32 v23, v26, v20, vcc_lo
; %bb.89:
	s_or_b32 exec_lo, exec_lo, s2
	v_and_b32_e32 v20, 0xffff0000, v23
	v_fmac_f32_e32 v20, s4, v19
	v_and_b32_e32 v19, 0x7f800000, v20
	v_cmp_ne_u32_e32 vcc_lo, 0x7f800000, v19
                                        ; implicit-def: $vgpr19
	s_and_saveexec_b32 s2, vcc_lo
	s_xor_b32 s2, exec_lo, s2
; %bb.90:
	v_bfe_u32 v19, v20, 16, 1
	v_add3_u32 v19, v20, v19, 0x7fff
                                        ; implicit-def: $vgpr20
; %bb.91:
	s_andn2_saveexec_b32 s2, s2
; %bb.92:
	v_mov_b32_e32 v19, 0
	v_or_b32_e32 v23, 0x10000, v20
	v_cmp_eq_u32_sdwa vcc_lo, v20, v19 src0_sel:WORD_0 src1_sel:DWORD
	v_cndmask_b32_e32 v19, v23, v20, vcc_lo
; %bb.93:
	s_or_b32 exec_lo, exec_lo, s2
	flat_store_short_d16_hi v[4:5], v19 offset:64
	flat_load_ushort v2, v[2:3] offset:96
	s_waitcnt vmcnt(0) lgkmcnt(0)
	v_lshlrev_b32_e32 v2, 16, v2
	v_mul_f32_e32 v2, s8, v2
	v_and_b32_e32 v3, 0x7f800000, v2
	v_cmp_ne_u32_e32 vcc_lo, 0x7f800000, v3
                                        ; implicit-def: $vgpr3
	s_and_saveexec_b32 s2, vcc_lo
	s_xor_b32 s2, exec_lo, s2
; %bb.94:
	v_bfe_u32 v3, v2, 16, 1
	v_add3_u32 v3, v2, v3, 0x7fff
                                        ; implicit-def: $vgpr2
; %bb.95:
	s_andn2_saveexec_b32 s2, s2
; %bb.96:
	v_mov_b32_e32 v3, 0
	v_or_b32_e32 v19, 0x10000, v2
	v_cmp_eq_u32_sdwa vcc_lo, v2, v3 src0_sel:WORD_0 src1_sel:DWORD
	v_cndmask_b32_e32 v3, v19, v2, vcc_lo
; %bb.97:
	s_or_b32 exec_lo, exec_lo, s2
	v_and_b32_e32 v2, 0xffff0000, v3
	s_mov_b32 s2, exec_lo
	v_fmac_f32_e32 v2, s4, v18
                                        ; implicit-def: $vgpr18
	v_and_b32_e32 v3, 0x7f800000, v2
	v_cmpx_ne_u32_e32 0x7f800000, v3
	s_xor_b32 s2, exec_lo, s2
; %bb.98:
	v_bfe_u32 v3, v2, 16, 1
	v_add3_u32 v18, v2, v3, 0x7fff
                                        ; implicit-def: $vgpr2
; %bb.99:
	s_andn2_saveexec_b32 s2, s2
; %bb.100:
	v_mov_b32_e32 v3, 0
	v_or_b32_e32 v18, 0x10000, v2
	v_cmp_eq_u32_sdwa vcc_lo, v2, v3 src0_sel:WORD_0 src1_sel:DWORD
	v_cndmask_b32_e32 v18, v18, v2, vcc_lo
; %bb.101:
	s_or_b32 exec_lo, exec_lo, s2
	s_lshl_b64 s[2:3], s[14:15], 5
	flat_store_short_d16_hi v[4:5], v18 offset:96
	v_add_co_u32 v19, vcc_lo, v24, s2
	v_add_co_ci_u32_e64 v20, null, s3, v25, vcc_lo
	v_add_co_u32 v2, vcc_lo, v19, v0
	v_add_co_ci_u32_e64 v3, null, v20, v1, vcc_lo
	flat_load_ushort v4, v[2:3]
	s_waitcnt vmcnt(0) lgkmcnt(0)
	v_lshlrev_b32_e32 v4, 16, v4
	v_mul_f32_e32 v4, s8, v4
	v_and_b32_e32 v5, 0x7f800000, v4
	v_cmp_ne_u32_e32 vcc_lo, 0x7f800000, v5
                                        ; implicit-def: $vgpr5
	s_and_saveexec_b32 s2, vcc_lo
	s_xor_b32 s2, exec_lo, s2
; %bb.102:
	v_bfe_u32 v5, v4, 16, 1
	v_add3_u32 v5, v4, v5, 0x7fff
                                        ; implicit-def: $vgpr4
; %bb.103:
	s_andn2_saveexec_b32 s2, s2
; %bb.104:
	v_mov_b32_e32 v5, 0
	v_or_b32_e32 v18, 0x10000, v4
	v_cmp_eq_u32_sdwa vcc_lo, v4, v5 src0_sel:WORD_0 src1_sel:DWORD
	v_cndmask_b32_e32 v5, v18, v4, vcc_lo
; %bb.105:
	s_or_b32 exec_lo, exec_lo, s2
	v_and_b32_e32 v4, 0xffff0000, v5
	s_mov_b32 s2, exec_lo
                                        ; implicit-def: $vgpr23
	v_fmac_f32_e32 v4, s4, v17
	v_and_b32_e32 v5, 0x7f800000, v4
	v_cmpx_ne_u32_e32 0x7f800000, v5
	s_xor_b32 s2, exec_lo, s2
; %bb.106:
	v_bfe_u32 v5, v4, 16, 1
	v_add3_u32 v23, v4, v5, 0x7fff
                                        ; implicit-def: $vgpr4
; %bb.107:
	s_andn2_saveexec_b32 s2, s2
; %bb.108:
	v_mov_b32_e32 v5, 0
	v_or_b32_e32 v17, 0x10000, v4
	v_cmp_eq_u32_sdwa vcc_lo, v4, v5 src0_sel:WORD_0 src1_sel:DWORD
	v_cndmask_b32_e32 v23, v17, v4, vcc_lo
; %bb.109:
	s_or_b32 exec_lo, exec_lo, s2
	s_lshl_b64 s[2:3], s[0:1], 5
	v_add_co_u32 v17, vcc_lo, v21, s2
	v_add_co_ci_u32_e64 v18, null, s3, v22, vcc_lo
	v_add_co_u32 v4, vcc_lo, v17, v0
	v_add_co_ci_u32_e64 v5, null, v18, v1, vcc_lo
	flat_store_short_d16_hi v[4:5], v23
	flat_load_ushort v21, v[2:3] offset:32
	s_waitcnt vmcnt(0) lgkmcnt(0)
	v_lshlrev_b32_e32 v21, 16, v21
	v_mul_f32_e32 v21, s8, v21
	v_and_b32_e32 v22, 0x7f800000, v21
	v_cmp_ne_u32_e32 vcc_lo, 0x7f800000, v22
                                        ; implicit-def: $vgpr22
	s_and_saveexec_b32 s2, vcc_lo
	s_xor_b32 s2, exec_lo, s2
; %bb.110:
	v_bfe_u32 v22, v21, 16, 1
	v_add3_u32 v22, v21, v22, 0x7fff
                                        ; implicit-def: $vgpr21
; %bb.111:
	s_andn2_saveexec_b32 s2, s2
; %bb.112:
	v_mov_b32_e32 v22, 0
	v_or_b32_e32 v23, 0x10000, v21
	v_cmp_eq_u32_sdwa vcc_lo, v21, v22 src0_sel:WORD_0 src1_sel:DWORD
	v_cndmask_b32_e32 v22, v23, v21, vcc_lo
; %bb.113:
	s_or_b32 exec_lo, exec_lo, s2
	v_and_b32_e32 v21, 0xffff0000, v22
	v_fmac_f32_e32 v21, s4, v16
	v_and_b32_e32 v16, 0x7f800000, v21
	v_cmp_ne_u32_e32 vcc_lo, 0x7f800000, v16
                                        ; implicit-def: $vgpr16
	s_and_saveexec_b32 s2, vcc_lo
	s_xor_b32 s2, exec_lo, s2
; %bb.114:
	v_bfe_u32 v16, v21, 16, 1
	v_add3_u32 v16, v21, v16, 0x7fff
                                        ; implicit-def: $vgpr21
; %bb.115:
	s_andn2_saveexec_b32 s2, s2
; %bb.116:
	v_mov_b32_e32 v16, 0
	v_or_b32_e32 v22, 0x10000, v21
	v_cmp_eq_u32_sdwa vcc_lo, v21, v16 src0_sel:WORD_0 src1_sel:DWORD
	v_cndmask_b32_e32 v16, v22, v21, vcc_lo
; %bb.117:
	s_or_b32 exec_lo, exec_lo, s2
	flat_store_short_d16_hi v[4:5], v16 offset:32
	flat_load_ushort v16, v[2:3] offset:64
	s_waitcnt vmcnt(0) lgkmcnt(0)
	v_lshlrev_b32_e32 v16, 16, v16
	v_mul_f32_e32 v16, s8, v16
	v_and_b32_e32 v21, 0x7f800000, v16
	v_cmp_ne_u32_e32 vcc_lo, 0x7f800000, v21
                                        ; implicit-def: $vgpr21
	s_and_saveexec_b32 s2, vcc_lo
	s_xor_b32 s2, exec_lo, s2
; %bb.118:
	v_bfe_u32 v21, v16, 16, 1
	v_add3_u32 v21, v16, v21, 0x7fff
                                        ; implicit-def: $vgpr16
; %bb.119:
	s_andn2_saveexec_b32 s2, s2
; %bb.120:
	v_mov_b32_e32 v21, 0
	v_or_b32_e32 v22, 0x10000, v16
	v_cmp_eq_u32_sdwa vcc_lo, v16, v21 src0_sel:WORD_0 src1_sel:DWORD
	v_cndmask_b32_e32 v21, v22, v16, vcc_lo
; %bb.121:
	s_or_b32 exec_lo, exec_lo, s2
	v_and_b32_e32 v16, 0xffff0000, v21
	v_fmac_f32_e32 v16, s4, v15
	v_and_b32_e32 v15, 0x7f800000, v16
	v_cmp_ne_u32_e32 vcc_lo, 0x7f800000, v15
                                        ; implicit-def: $vgpr15
	s_and_saveexec_b32 s2, vcc_lo
	s_xor_b32 s2, exec_lo, s2
; %bb.122:
	v_bfe_u32 v15, v16, 16, 1
	v_add3_u32 v15, v16, v15, 0x7fff
                                        ; implicit-def: $vgpr16
; %bb.123:
	s_andn2_saveexec_b32 s2, s2
; %bb.124:
	v_mov_b32_e32 v15, 0
	v_or_b32_e32 v21, 0x10000, v16
	v_cmp_eq_u32_sdwa vcc_lo, v16, v15 src0_sel:WORD_0 src1_sel:DWORD
	v_cndmask_b32_e32 v15, v21, v16, vcc_lo
; %bb.125:
	s_or_b32 exec_lo, exec_lo, s2
	flat_store_short_d16_hi v[4:5], v15 offset:64
	flat_load_ushort v2, v[2:3] offset:96
	s_waitcnt vmcnt(0) lgkmcnt(0)
	v_lshlrev_b32_e32 v2, 16, v2
	v_mul_f32_e32 v2, s8, v2
	v_and_b32_e32 v3, 0x7f800000, v2
	v_cmp_ne_u32_e32 vcc_lo, 0x7f800000, v3
                                        ; implicit-def: $vgpr3
	s_and_saveexec_b32 s2, vcc_lo
	s_xor_b32 s2, exec_lo, s2
; %bb.126:
	v_bfe_u32 v3, v2, 16, 1
	v_add3_u32 v3, v2, v3, 0x7fff
                                        ; implicit-def: $vgpr2
; %bb.127:
	s_andn2_saveexec_b32 s2, s2
; %bb.128:
	v_mov_b32_e32 v3, 0
	v_or_b32_e32 v15, 0x10000, v2
	v_cmp_eq_u32_sdwa vcc_lo, v2, v3 src0_sel:WORD_0 src1_sel:DWORD
	v_cndmask_b32_e32 v3, v15, v2, vcc_lo
; %bb.129:
	s_or_b32 exec_lo, exec_lo, s2
	v_and_b32_e32 v2, 0xffff0000, v3
	s_mov_b32 s2, exec_lo
                                        ; implicit-def: $vgpr16
	v_fmac_f32_e32 v2, s4, v14
	v_and_b32_e32 v3, 0x7f800000, v2
	v_cmpx_ne_u32_e32 0x7f800000, v3
	s_xor_b32 s2, exec_lo, s2
; %bb.130:
	v_bfe_u32 v3, v2, 16, 1
	v_add3_u32 v16, v2, v3, 0x7fff
                                        ; implicit-def: $vgpr2
; %bb.131:
	s_or_saveexec_b32 s5, s2
	s_lshl_b64 s[2:3], s[14:15], 4
	s_xor_b32 exec_lo, exec_lo, s5
; %bb.132:
	v_mov_b32_e32 v3, 0
	v_or_b32_e32 v14, 0x10000, v2
	v_cmp_eq_u32_sdwa vcc_lo, v2, v3 src0_sel:WORD_0 src1_sel:DWORD
	v_cndmask_b32_e32 v16, v14, v2, vcc_lo
; %bb.133:
	s_or_b32 exec_lo, exec_lo, s5
	s_lshl_b64 s[2:3], s[2:3], 1
	flat_store_short_d16_hi v[4:5], v16 offset:96
	v_add_co_u32 v14, vcc_lo, v19, s2
	v_add_co_ci_u32_e64 v15, null, s3, v20, vcc_lo
	v_add_co_u32 v2, vcc_lo, v14, v0
	v_add_co_ci_u32_e64 v3, null, v15, v1, vcc_lo
	flat_load_ushort v4, v[2:3]
	s_waitcnt vmcnt(0) lgkmcnt(0)
	v_lshlrev_b32_e32 v4, 16, v4
	v_mul_f32_e32 v4, s8, v4
	v_and_b32_e32 v5, 0x7f800000, v4
	v_cmp_ne_u32_e32 vcc_lo, 0x7f800000, v5
                                        ; implicit-def: $vgpr5
	s_and_saveexec_b32 s5, vcc_lo
	s_xor_b32 s5, exec_lo, s5
; %bb.134:
	v_bfe_u32 v5, v4, 16, 1
	v_add3_u32 v5, v4, v5, 0x7fff
                                        ; implicit-def: $vgpr4
; %bb.135:
	s_andn2_saveexec_b32 s5, s5
; %bb.136:
	v_mov_b32_e32 v5, 0
	v_or_b32_e32 v16, 0x10000, v4
	v_cmp_eq_u32_sdwa vcc_lo, v4, v5 src0_sel:WORD_0 src1_sel:DWORD
	v_cndmask_b32_e32 v5, v16, v4, vcc_lo
; %bb.137:
	s_or_b32 exec_lo, exec_lo, s5
	v_and_b32_e32 v4, 0xffff0000, v5
	s_mov_b32 s5, exec_lo
                                        ; implicit-def: $vgpr19
	v_fmac_f32_e32 v4, s4, v13
	v_and_b32_e32 v5, 0x7f800000, v4
	v_cmpx_ne_u32_e32 0x7f800000, v5
	s_xor_b32 s5, exec_lo, s5
; %bb.138:
	v_bfe_u32 v5, v4, 16, 1
	v_add3_u32 v19, v4, v5, 0x7fff
                                        ; implicit-def: $vgpr4
; %bb.139:
	s_or_saveexec_b32 s5, s5
	s_lshl_b64 s[0:1], s[0:1], 4
	s_xor_b32 exec_lo, exec_lo, s5
; %bb.140:
	v_mov_b32_e32 v5, 0
	v_or_b32_e32 v13, 0x10000, v4
	v_cmp_eq_u32_sdwa vcc_lo, v4, v5 src0_sel:WORD_0 src1_sel:DWORD
	v_cndmask_b32_e32 v19, v13, v4, vcc_lo
; %bb.141:
	s_or_b32 exec_lo, exec_lo, s5
	s_lshl_b64 s[0:1], s[0:1], 1
	v_add_co_u32 v13, vcc_lo, v17, s0
	v_add_co_ci_u32_e64 v16, null, s1, v18, vcc_lo
	v_add_co_u32 v4, vcc_lo, v13, v0
	v_add_co_ci_u32_e64 v5, null, v16, v1, vcc_lo
	flat_store_short_d16_hi v[4:5], v19
	flat_load_ushort v17, v[2:3] offset:32
	s_waitcnt vmcnt(0) lgkmcnt(0)
	v_lshlrev_b32_e32 v17, 16, v17
	v_mul_f32_e32 v17, s8, v17
	v_and_b32_e32 v18, 0x7f800000, v17
	v_cmp_ne_u32_e32 vcc_lo, 0x7f800000, v18
                                        ; implicit-def: $vgpr18
	s_and_saveexec_b32 s5, vcc_lo
	s_xor_b32 s5, exec_lo, s5
; %bb.142:
	v_bfe_u32 v18, v17, 16, 1
	v_add3_u32 v18, v17, v18, 0x7fff
                                        ; implicit-def: $vgpr17
; %bb.143:
	s_andn2_saveexec_b32 s5, s5
; %bb.144:
	v_mov_b32_e32 v18, 0
	v_or_b32_e32 v19, 0x10000, v17
	v_cmp_eq_u32_sdwa vcc_lo, v17, v18 src0_sel:WORD_0 src1_sel:DWORD
	v_cndmask_b32_e32 v18, v19, v17, vcc_lo
; %bb.145:
	s_or_b32 exec_lo, exec_lo, s5
	v_and_b32_e32 v17, 0xffff0000, v18
	v_fmac_f32_e32 v17, s4, v12
	v_and_b32_e32 v12, 0x7f800000, v17
	v_cmp_ne_u32_e32 vcc_lo, 0x7f800000, v12
                                        ; implicit-def: $vgpr12
	s_and_saveexec_b32 s5, vcc_lo
	s_xor_b32 s5, exec_lo, s5
; %bb.146:
	v_bfe_u32 v12, v17, 16, 1
	v_add3_u32 v12, v17, v12, 0x7fff
                                        ; implicit-def: $vgpr17
; %bb.147:
	s_andn2_saveexec_b32 s5, s5
; %bb.148:
	v_mov_b32_e32 v12, 0
	v_or_b32_e32 v18, 0x10000, v17
	v_cmp_eq_u32_sdwa vcc_lo, v17, v12 src0_sel:WORD_0 src1_sel:DWORD
	v_cndmask_b32_e32 v12, v18, v17, vcc_lo
; %bb.149:
	s_or_b32 exec_lo, exec_lo, s5
	flat_store_short_d16_hi v[4:5], v12 offset:32
	flat_load_ushort v12, v[2:3] offset:64
	s_waitcnt vmcnt(0) lgkmcnt(0)
	v_lshlrev_b32_e32 v12, 16, v12
	v_mul_f32_e32 v12, s8, v12
	v_and_b32_e32 v17, 0x7f800000, v12
	v_cmp_ne_u32_e32 vcc_lo, 0x7f800000, v17
                                        ; implicit-def: $vgpr17
	s_and_saveexec_b32 s5, vcc_lo
	s_xor_b32 s5, exec_lo, s5
; %bb.150:
	v_bfe_u32 v17, v12, 16, 1
	v_add3_u32 v17, v12, v17, 0x7fff
                                        ; implicit-def: $vgpr12
; %bb.151:
	s_andn2_saveexec_b32 s5, s5
; %bb.152:
	v_mov_b32_e32 v17, 0
	v_or_b32_e32 v18, 0x10000, v12
	v_cmp_eq_u32_sdwa vcc_lo, v12, v17 src0_sel:WORD_0 src1_sel:DWORD
	v_cndmask_b32_e32 v17, v18, v12, vcc_lo
; %bb.153:
	s_or_b32 exec_lo, exec_lo, s5
	v_and_b32_e32 v12, 0xffff0000, v17
	v_fmac_f32_e32 v12, s4, v11
	v_and_b32_e32 v11, 0x7f800000, v12
	v_cmp_ne_u32_e32 vcc_lo, 0x7f800000, v11
                                        ; implicit-def: $vgpr11
	s_and_saveexec_b32 s5, vcc_lo
	s_xor_b32 s5, exec_lo, s5
; %bb.154:
	v_bfe_u32 v11, v12, 16, 1
	v_add3_u32 v11, v12, v11, 0x7fff
                                        ; implicit-def: $vgpr12
; %bb.155:
	s_andn2_saveexec_b32 s5, s5
; %bb.156:
	v_mov_b32_e32 v11, 0
	v_or_b32_e32 v17, 0x10000, v12
	v_cmp_eq_u32_sdwa vcc_lo, v12, v11 src0_sel:WORD_0 src1_sel:DWORD
	v_cndmask_b32_e32 v11, v17, v12, vcc_lo
; %bb.157:
	s_or_b32 exec_lo, exec_lo, s5
	flat_store_short_d16_hi v[4:5], v11 offset:64
	flat_load_ushort v2, v[2:3] offset:96
	s_waitcnt vmcnt(0) lgkmcnt(0)
	v_lshlrev_b32_e32 v2, 16, v2
	v_mul_f32_e32 v2, s8, v2
	v_and_b32_e32 v3, 0x7f800000, v2
	v_cmp_ne_u32_e32 vcc_lo, 0x7f800000, v3
                                        ; implicit-def: $vgpr3
	s_and_saveexec_b32 s5, vcc_lo
	s_xor_b32 s5, exec_lo, s5
; %bb.158:
	v_bfe_u32 v3, v2, 16, 1
	v_add3_u32 v3, v2, v3, 0x7fff
                                        ; implicit-def: $vgpr2
; %bb.159:
	s_andn2_saveexec_b32 s5, s5
; %bb.160:
	v_mov_b32_e32 v3, 0
	v_or_b32_e32 v11, 0x10000, v2
	v_cmp_eq_u32_sdwa vcc_lo, v2, v3 src0_sel:WORD_0 src1_sel:DWORD
	v_cndmask_b32_e32 v3, v11, v2, vcc_lo
; %bb.161:
	s_or_b32 exec_lo, exec_lo, s5
	v_and_b32_e32 v2, 0xffff0000, v3
	s_mov_b32 s5, exec_lo
	v_fmac_f32_e32 v2, s4, v10
                                        ; implicit-def: $vgpr10
	v_and_b32_e32 v3, 0x7f800000, v2
	v_cmpx_ne_u32_e32 0x7f800000, v3
	s_xor_b32 s5, exec_lo, s5
; %bb.162:
	v_bfe_u32 v3, v2, 16, 1
	v_add3_u32 v10, v2, v3, 0x7fff
                                        ; implicit-def: $vgpr2
; %bb.163:
	s_andn2_saveexec_b32 s5, s5
; %bb.164:
	v_mov_b32_e32 v3, 0
	v_or_b32_e32 v10, 0x10000, v2
	v_cmp_eq_u32_sdwa vcc_lo, v2, v3 src0_sel:WORD_0 src1_sel:DWORD
	v_cndmask_b32_e32 v10, v10, v2, vcc_lo
; %bb.165:
	s_or_b32 exec_lo, exec_lo, s5
	v_add_co_u32 v2, vcc_lo, v14, s2
	v_add_co_ci_u32_e64 v3, null, s3, v15, vcc_lo
	flat_store_short_d16_hi v[4:5], v10 offset:96
	v_add_co_u32 v2, vcc_lo, v2, v0
	v_add_co_ci_u32_e64 v3, null, v3, v1, vcc_lo
	flat_load_ushort v4, v[2:3]
	s_waitcnt vmcnt(0) lgkmcnt(0)
	v_lshlrev_b32_e32 v4, 16, v4
	v_mul_f32_e32 v4, s8, v4
	v_and_b32_e32 v5, 0x7f800000, v4
	v_cmp_ne_u32_e32 vcc_lo, 0x7f800000, v5
                                        ; implicit-def: $vgpr5
	s_and_saveexec_b32 s2, vcc_lo
	s_xor_b32 s2, exec_lo, s2
; %bb.166:
	v_bfe_u32 v5, v4, 16, 1
	v_add3_u32 v5, v4, v5, 0x7fff
                                        ; implicit-def: $vgpr4
; %bb.167:
	s_andn2_saveexec_b32 s2, s2
; %bb.168:
	v_mov_b32_e32 v5, 0
	v_or_b32_e32 v10, 0x10000, v4
	v_cmp_eq_u32_sdwa vcc_lo, v4, v5 src0_sel:WORD_0 src1_sel:DWORD
	v_cndmask_b32_e32 v5, v10, v4, vcc_lo
; %bb.169:
	s_or_b32 exec_lo, exec_lo, s2
	v_and_b32_e32 v5, 0xffff0000, v5
	v_fmac_f32_e32 v5, s4, v9
	v_and_b32_e32 v4, 0x7f800000, v5
	v_cmp_ne_u32_e32 vcc_lo, 0x7f800000, v4
                                        ; implicit-def: $vgpr4
	s_and_saveexec_b32 s2, vcc_lo
	s_xor_b32 s2, exec_lo, s2
; %bb.170:
	v_bfe_u32 v4, v5, 16, 1
	v_add3_u32 v4, v5, v4, 0x7fff
                                        ; implicit-def: $vgpr5
; %bb.171:
	s_andn2_saveexec_b32 s2, s2
; %bb.172:
	v_mov_b32_e32 v4, 0
	v_or_b32_e32 v9, 0x10000, v5
	v_cmp_eq_u32_sdwa vcc_lo, v5, v4 src0_sel:WORD_0 src1_sel:DWORD
	v_cndmask_b32_e32 v4, v9, v5, vcc_lo
; %bb.173:
	s_or_b32 exec_lo, exec_lo, s2
	v_add_co_u32 v5, vcc_lo, v13, s0
	v_add_co_ci_u32_e64 v9, null, s1, v16, vcc_lo
	v_add_co_u32 v0, vcc_lo, v5, v0
	v_add_co_ci_u32_e64 v1, null, v9, v1, vcc_lo
	flat_store_short_d16_hi v[0:1], v4
	flat_load_ushort v4, v[2:3] offset:32
	s_waitcnt vmcnt(0) lgkmcnt(0)
	v_lshlrev_b32_e32 v4, 16, v4
	v_mul_f32_e32 v4, s8, v4
	v_and_b32_e32 v5, 0x7f800000, v4
	v_cmp_ne_u32_e32 vcc_lo, 0x7f800000, v5
                                        ; implicit-def: $vgpr5
	s_and_saveexec_b32 s0, vcc_lo
	s_xor_b32 s0, exec_lo, s0
; %bb.174:
	v_bfe_u32 v5, v4, 16, 1
	v_add3_u32 v5, v4, v5, 0x7fff
                                        ; implicit-def: $vgpr4
; %bb.175:
	s_andn2_saveexec_b32 s0, s0
; %bb.176:
	v_mov_b32_e32 v5, 0
	v_or_b32_e32 v9, 0x10000, v4
	v_cmp_eq_u32_sdwa vcc_lo, v4, v5 src0_sel:WORD_0 src1_sel:DWORD
	v_cndmask_b32_e32 v5, v9, v4, vcc_lo
; %bb.177:
	s_or_b32 exec_lo, exec_lo, s0
	v_and_b32_e32 v4, 0xffff0000, v5
	v_fmac_f32_e32 v4, s4, v8
	v_and_b32_e32 v5, 0x7f800000, v4
	v_cmp_ne_u32_e32 vcc_lo, 0x7f800000, v5
                                        ; implicit-def: $vgpr5
	s_and_saveexec_b32 s0, vcc_lo
	s_xor_b32 s0, exec_lo, s0
; %bb.178:
	v_bfe_u32 v5, v4, 16, 1
	v_add3_u32 v5, v4, v5, 0x7fff
                                        ; implicit-def: $vgpr4
; %bb.179:
	s_andn2_saveexec_b32 s0, s0
; %bb.180:
	v_mov_b32_e32 v5, 0
	v_or_b32_e32 v8, 0x10000, v4
	v_cmp_eq_u32_sdwa vcc_lo, v4, v5 src0_sel:WORD_0 src1_sel:DWORD
	v_cndmask_b32_e32 v5, v8, v4, vcc_lo
; %bb.181:
	s_or_b32 exec_lo, exec_lo, s0
	flat_store_short_d16_hi v[0:1], v5 offset:32
	flat_load_ushort v4, v[2:3] offset:64
	s_waitcnt vmcnt(0) lgkmcnt(0)
	v_lshlrev_b32_e32 v4, 16, v4
	v_mul_f32_e32 v4, s8, v4
	v_and_b32_e32 v5, 0x7f800000, v4
	v_cmp_ne_u32_e32 vcc_lo, 0x7f800000, v5
                                        ; implicit-def: $vgpr5
	s_and_saveexec_b32 s0, vcc_lo
	s_xor_b32 s0, exec_lo, s0
; %bb.182:
	v_bfe_u32 v5, v4, 16, 1
	v_add3_u32 v5, v4, v5, 0x7fff
                                        ; implicit-def: $vgpr4
; %bb.183:
	s_andn2_saveexec_b32 s0, s0
; %bb.184:
	v_mov_b32_e32 v5, 0
	v_or_b32_e32 v8, 0x10000, v4
	v_cmp_eq_u32_sdwa vcc_lo, v4, v5 src0_sel:WORD_0 src1_sel:DWORD
	v_cndmask_b32_e32 v5, v8, v4, vcc_lo
; %bb.185:
	s_or_b32 exec_lo, exec_lo, s0
	v_and_b32_e32 v4, 0xffff0000, v5
	v_fmac_f32_e32 v4, s4, v7
	v_and_b32_e32 v5, 0x7f800000, v4
	v_cmp_ne_u32_e32 vcc_lo, 0x7f800000, v5
                                        ; implicit-def: $vgpr5
	s_and_saveexec_b32 s0, vcc_lo
	s_xor_b32 s0, exec_lo, s0
; %bb.186:
	v_bfe_u32 v5, v4, 16, 1
	v_add3_u32 v5, v4, v5, 0x7fff
                                        ; implicit-def: $vgpr4
; %bb.187:
	s_andn2_saveexec_b32 s0, s0
; %bb.188:
	v_mov_b32_e32 v5, 0
	v_or_b32_e32 v7, 0x10000, v4
	v_cmp_eq_u32_sdwa vcc_lo, v4, v5 src0_sel:WORD_0 src1_sel:DWORD
	v_cndmask_b32_e32 v5, v7, v4, vcc_lo
; %bb.189:
	s_or_b32 exec_lo, exec_lo, s0
	flat_store_short_d16_hi v[0:1], v5 offset:64
	flat_load_ushort v2, v[2:3] offset:96
	s_waitcnt vmcnt(0) lgkmcnt(0)
	v_lshlrev_b32_e32 v2, 16, v2
	v_mul_f32_e32 v2, s8, v2
	v_and_b32_e32 v3, 0x7f800000, v2
	v_cmp_ne_u32_e32 vcc_lo, 0x7f800000, v3
                                        ; implicit-def: $vgpr3
	s_and_saveexec_b32 s0, vcc_lo
	s_xor_b32 s0, exec_lo, s0
; %bb.190:
	v_bfe_u32 v3, v2, 16, 1
	v_add3_u32 v3, v2, v3, 0x7fff
                                        ; implicit-def: $vgpr2
; %bb.191:
	s_andn2_saveexec_b32 s0, s0
; %bb.192:
	v_mov_b32_e32 v3, 0
	v_or_b32_e32 v4, 0x10000, v2
	v_cmp_eq_u32_sdwa vcc_lo, v2, v3 src0_sel:WORD_0 src1_sel:DWORD
	v_cndmask_b32_e32 v3, v4, v2, vcc_lo
; %bb.193:
	s_or_b32 exec_lo, exec_lo, s0
	v_and_b32_e32 v2, 0xffff0000, v3
	v_fmac_f32_e32 v2, s4, v6
	v_and_b32_e32 v3, 0x7f800000, v2
	v_cmp_ne_u32_e32 vcc_lo, 0x7f800000, v3
                                        ; implicit-def: $vgpr3
	s_and_saveexec_b32 s0, vcc_lo
	s_xor_b32 s0, exec_lo, s0
	s_cbranch_execnz .LBB140_198
; %bb.194:
	s_andn2_saveexec_b32 s0, s0
	s_cbranch_execnz .LBB140_199
.LBB140_195:
	s_or_b32 exec_lo, exec_lo, s0
	flat_store_short_d16_hi v[0:1], v3 offset:96
	s_endpgm
.LBB140_196:
	s_cbranch_execnz .LBB140_69
.LBB140_197:
	s_endpgm
.LBB140_198:
	v_bfe_u32 v3, v2, 16, 1
	v_add3_u32 v3, v2, v3, 0x7fff
                                        ; implicit-def: $vgpr2
	s_andn2_saveexec_b32 s0, s0
	s_cbranch_execz .LBB140_195
.LBB140_199:
	v_mov_b32_e32 v3, 0
	v_or_b32_e32 v4, 0x10000, v2
	v_cmp_eq_u32_sdwa vcc_lo, v2, v3 src0_sel:WORD_0 src1_sel:DWORD
	v_cndmask_b32_e32 v3, v4, v2, vcc_lo
	s_or_b32 exec_lo, exec_lo, s0
	flat_store_short_d16_hi v[0:1], v3 offset:96
	s_endpgm
	.section	.rodata,"a",@progbits
	.p2align	6, 0x0
	.amdhsa_kernel _ZN12_GLOBAL__N_127rocblas_gemm_batched_kernelIfLi16ELi16ELi64ELi64ELi4ELi64ELi4ELi4ELi64ELc78ELc78EKPK16rocblas_bfloat16S4_KPS1_EEvlllT_PT11_llS9_llS7_PT12_llPT13_lli
		.amdhsa_group_segment_fixed_size 2048
		.amdhsa_private_segment_fixed_size 0
		.amdhsa_kernarg_size 140
		.amdhsa_user_sgpr_count 6
		.amdhsa_user_sgpr_private_segment_buffer 1
		.amdhsa_user_sgpr_dispatch_ptr 0
		.amdhsa_user_sgpr_queue_ptr 0
		.amdhsa_user_sgpr_kernarg_segment_ptr 1
		.amdhsa_user_sgpr_dispatch_id 0
		.amdhsa_user_sgpr_flat_scratch_init 0
		.amdhsa_user_sgpr_private_segment_size 0
		.amdhsa_wavefront_size32 1
		.amdhsa_uses_dynamic_stack 0
		.amdhsa_system_sgpr_private_segment_wavefront_offset 0
		.amdhsa_system_sgpr_workgroup_id_x 1
		.amdhsa_system_sgpr_workgroup_id_y 1
		.amdhsa_system_sgpr_workgroup_id_z 1
		.amdhsa_system_sgpr_workgroup_info 0
		.amdhsa_system_vgpr_workitem_id 1
		.amdhsa_next_free_vgpr 58
		.amdhsa_next_free_sgpr 36
		.amdhsa_reserve_vcc 1
		.amdhsa_reserve_flat_scratch 0
		.amdhsa_float_round_mode_32 0
		.amdhsa_float_round_mode_16_64 0
		.amdhsa_float_denorm_mode_32 3
		.amdhsa_float_denorm_mode_16_64 3
		.amdhsa_dx10_clamp 1
		.amdhsa_ieee_mode 1
		.amdhsa_fp16_overflow 0
		.amdhsa_workgroup_processor_mode 1
		.amdhsa_memory_ordered 1
		.amdhsa_forward_progress 1
		.amdhsa_shared_vgpr_count 0
		.amdhsa_exception_fp_ieee_invalid_op 0
		.amdhsa_exception_fp_denorm_src 0
		.amdhsa_exception_fp_ieee_div_zero 0
		.amdhsa_exception_fp_ieee_overflow 0
		.amdhsa_exception_fp_ieee_underflow 0
		.amdhsa_exception_fp_ieee_inexact 0
		.amdhsa_exception_int_div_zero 0
	.end_amdhsa_kernel
	.section	.text._ZN12_GLOBAL__N_127rocblas_gemm_batched_kernelIfLi16ELi16ELi64ELi64ELi4ELi64ELi4ELi4ELi64ELc78ELc78EKPK16rocblas_bfloat16S4_KPS1_EEvlllT_PT11_llS9_llS7_PT12_llPT13_lli,"axG",@progbits,_ZN12_GLOBAL__N_127rocblas_gemm_batched_kernelIfLi16ELi16ELi64ELi64ELi4ELi64ELi4ELi4ELi64ELc78ELc78EKPK16rocblas_bfloat16S4_KPS1_EEvlllT_PT11_llS9_llS7_PT12_llPT13_lli,comdat
.Lfunc_end140:
	.size	_ZN12_GLOBAL__N_127rocblas_gemm_batched_kernelIfLi16ELi16ELi64ELi64ELi4ELi64ELi4ELi4ELi64ELc78ELc78EKPK16rocblas_bfloat16S4_KPS1_EEvlllT_PT11_llS9_llS7_PT12_llPT13_lli, .Lfunc_end140-_ZN12_GLOBAL__N_127rocblas_gemm_batched_kernelIfLi16ELi16ELi64ELi64ELi4ELi64ELi4ELi4ELi64ELc78ELc78EKPK16rocblas_bfloat16S4_KPS1_EEvlllT_PT11_llS9_llS7_PT12_llPT13_lli
                                        ; -- End function
	.set _ZN12_GLOBAL__N_127rocblas_gemm_batched_kernelIfLi16ELi16ELi64ELi64ELi4ELi64ELi4ELi4ELi64ELc78ELc78EKPK16rocblas_bfloat16S4_KPS1_EEvlllT_PT11_llS9_llS7_PT12_llPT13_lli.num_vgpr, 58
	.set _ZN12_GLOBAL__N_127rocblas_gemm_batched_kernelIfLi16ELi16ELi64ELi64ELi4ELi64ELi4ELi4ELi64ELc78ELc78EKPK16rocblas_bfloat16S4_KPS1_EEvlllT_PT11_llS9_llS7_PT12_llPT13_lli.num_agpr, 0
	.set _ZN12_GLOBAL__N_127rocblas_gemm_batched_kernelIfLi16ELi16ELi64ELi64ELi4ELi64ELi4ELi4ELi64ELc78ELc78EKPK16rocblas_bfloat16S4_KPS1_EEvlllT_PT11_llS9_llS7_PT12_llPT13_lli.numbered_sgpr, 36
	.set _ZN12_GLOBAL__N_127rocblas_gemm_batched_kernelIfLi16ELi16ELi64ELi64ELi4ELi64ELi4ELi4ELi64ELc78ELc78EKPK16rocblas_bfloat16S4_KPS1_EEvlllT_PT11_llS9_llS7_PT12_llPT13_lli.num_named_barrier, 0
	.set _ZN12_GLOBAL__N_127rocblas_gemm_batched_kernelIfLi16ELi16ELi64ELi64ELi4ELi64ELi4ELi4ELi64ELc78ELc78EKPK16rocblas_bfloat16S4_KPS1_EEvlllT_PT11_llS9_llS7_PT12_llPT13_lli.private_seg_size, 0
	.set _ZN12_GLOBAL__N_127rocblas_gemm_batched_kernelIfLi16ELi16ELi64ELi64ELi4ELi64ELi4ELi4ELi64ELc78ELc78EKPK16rocblas_bfloat16S4_KPS1_EEvlllT_PT11_llS9_llS7_PT12_llPT13_lli.uses_vcc, 1
	.set _ZN12_GLOBAL__N_127rocblas_gemm_batched_kernelIfLi16ELi16ELi64ELi64ELi4ELi64ELi4ELi4ELi64ELc78ELc78EKPK16rocblas_bfloat16S4_KPS1_EEvlllT_PT11_llS9_llS7_PT12_llPT13_lli.uses_flat_scratch, 0
	.set _ZN12_GLOBAL__N_127rocblas_gemm_batched_kernelIfLi16ELi16ELi64ELi64ELi4ELi64ELi4ELi4ELi64ELc78ELc78EKPK16rocblas_bfloat16S4_KPS1_EEvlllT_PT11_llS9_llS7_PT12_llPT13_lli.has_dyn_sized_stack, 0
	.set _ZN12_GLOBAL__N_127rocblas_gemm_batched_kernelIfLi16ELi16ELi64ELi64ELi4ELi64ELi4ELi4ELi64ELc78ELc78EKPK16rocblas_bfloat16S4_KPS1_EEvlllT_PT11_llS9_llS7_PT12_llPT13_lli.has_recursion, 0
	.set _ZN12_GLOBAL__N_127rocblas_gemm_batched_kernelIfLi16ELi16ELi64ELi64ELi4ELi64ELi4ELi4ELi64ELc78ELc78EKPK16rocblas_bfloat16S4_KPS1_EEvlllT_PT11_llS9_llS7_PT12_llPT13_lli.has_indirect_call, 0
	.section	.AMDGPU.csdata,"",@progbits
; Kernel info:
; codeLenInByte = 6228
; TotalNumSgprs: 38
; NumVgprs: 58
; ScratchSize: 0
; MemoryBound: 0
; FloatMode: 240
; IeeeMode: 1
; LDSByteSize: 2048 bytes/workgroup (compile time only)
; SGPRBlocks: 0
; VGPRBlocks: 7
; NumSGPRsForWavesPerEU: 38
; NumVGPRsForWavesPerEU: 58
; Occupancy: 16
; WaveLimiterHint : 1
; COMPUTE_PGM_RSRC2:SCRATCH_EN: 0
; COMPUTE_PGM_RSRC2:USER_SGPR: 6
; COMPUTE_PGM_RSRC2:TRAP_HANDLER: 0
; COMPUTE_PGM_RSRC2:TGID_X_EN: 1
; COMPUTE_PGM_RSRC2:TGID_Y_EN: 1
; COMPUTE_PGM_RSRC2:TGID_Z_EN: 1
; COMPUTE_PGM_RSRC2:TIDIG_COMP_CNT: 1
	.section	.text._ZN12_GLOBAL__N_127rocblas_gemm_batched_kernelIfLi16ELi16ELi64ELi64ELi4ELi64ELi4ELi4ELi64ELc84ELc78EKPK16rocblas_bfloat16S4_KPS1_EEvlllT_PT11_llS9_llS7_PT12_llPT13_lli,"axG",@progbits,_ZN12_GLOBAL__N_127rocblas_gemm_batched_kernelIfLi16ELi16ELi64ELi64ELi4ELi64ELi4ELi4ELi64ELc84ELc78EKPK16rocblas_bfloat16S4_KPS1_EEvlllT_PT11_llS9_llS7_PT12_llPT13_lli,comdat
	.globl	_ZN12_GLOBAL__N_127rocblas_gemm_batched_kernelIfLi16ELi16ELi64ELi64ELi4ELi64ELi4ELi4ELi64ELc84ELc78EKPK16rocblas_bfloat16S4_KPS1_EEvlllT_PT11_llS9_llS7_PT12_llPT13_lli ; -- Begin function _ZN12_GLOBAL__N_127rocblas_gemm_batched_kernelIfLi16ELi16ELi64ELi64ELi4ELi64ELi4ELi4ELi64ELc84ELc78EKPK16rocblas_bfloat16S4_KPS1_EEvlllT_PT11_llS9_llS7_PT12_llPT13_lli
	.p2align	8
	.type	_ZN12_GLOBAL__N_127rocblas_gemm_batched_kernelIfLi16ELi16ELi64ELi64ELi4ELi64ELi4ELi4ELi64ELc84ELc78EKPK16rocblas_bfloat16S4_KPS1_EEvlllT_PT11_llS9_llS7_PT12_llPT13_lli,@function
_ZN12_GLOBAL__N_127rocblas_gemm_batched_kernelIfLi16ELi16ELi64ELi64ELi4ELi64ELi4ELi4ELi64ELc84ELc78EKPK16rocblas_bfloat16S4_KPS1_EEvlllT_PT11_llS9_llS7_PT12_llPT13_lli: ; @_ZN12_GLOBAL__N_127rocblas_gemm_batched_kernelIfLi16ELi16ELi64ELi64ELi4ELi64ELi4ELi4ELi64ELc84ELc78EKPK16rocblas_bfloat16S4_KPS1_EEvlllT_PT11_llS9_llS7_PT12_llPT13_lli
; %bb.0:
	s_clause 0x1
	s_load_dwordx8 s[12:19], s[4:5], 0x58
	s_load_dwordx2 s[28:29], s[4:5], 0x10
	s_mov_b32 s9, 0
	s_load_dwordx4 s[0:3], s[4:5], 0x78
	s_lshl_b64 s[34:35], s[8:9], 3
	s_mov_b32 s10, s7
	v_mov_b32_e32 v21, 0
	v_mov_b32_e32 v20, 0
	v_mov_b32_e32 v19, 0
	v_mov_b32_e32 v18, 0
	v_mov_b32_e32 v17, 0
	v_mov_b32_e32 v16, 0
	v_mov_b32_e32 v15, 0
	v_mov_b32_e32 v14, 0
	v_mov_b32_e32 v13, 0
	v_mov_b32_e32 v12, 0
	v_mov_b32_e32 v11, 0
	v_mov_b32_e32 v10, 0
	v_mov_b32_e32 v9, 0
	v_mov_b32_e32 v8, 0
	s_waitcnt lgkmcnt(0)
	s_add_u32 s8, s12, s34
	s_addc_u32 s9, s13, s35
	s_add_u32 s18, s18, s34
	s_addc_u32 s19, s19, s35
	s_load_dwordx2 s[12:13], s[8:9], 0x0
	s_load_dwordx2 s[18:19], s[18:19], 0x0
	v_cmp_lt_i64_e64 s20, s[28:29], 1
	v_mov_b32_e32 v7, 0
	v_mov_b32_e32 v6, 0
	s_ashr_i32 s7, s6, 31
	s_ashr_i32 s11, s10, 31
	s_lshl_b64 s[6:7], s[6:7], 6
	s_and_b32 vcc_lo, exec_lo, s20
	s_lshl_b64 s[30:31], s[10:11], 6
	s_cbranch_vccnz .LBB141_3
; %bb.1:
	v_lshlrev_b32_e32 v7, 4, v1
	s_clause 0x1
	s_load_dwordx8 s[20:27], s[4:5], 0x20
	s_load_dwordx4 s[8:11], s[4:5], 0x40
	v_and_b32_e32 v8, 3, v0
	v_lshlrev_b32_e32 v24, 2, v0
	v_add_nc_u32_e32 v2, v7, v0
	v_add_nc_u32_e32 v25, 0x400, v7
	v_mov_b32_e32 v17, 0
	v_lshlrev_b32_e32 v9, 2, v8
	v_lshlrev_b32_e32 v8, 1, v8
	v_and_b32_e32 v6, 63, v2
	v_lshrrev_b32_e32 v10, 2, v2
	v_lshrrev_b32_e32 v11, 6, v2
	v_mov_b32_e32 v18, 0
	v_mov_b32_e32 v19, 0
	v_add_co_u32 v2, s33, s6, v6
	v_add_co_ci_u32_e64 v3, null, s7, 0, s33
	v_add_co_u32 v4, s33, v10, s30
	v_add_co_ci_u32_e64 v5, null, 0, s31, s33
	s_waitcnt lgkmcnt(0)
	v_mul_lo_u32 v12, s23, v2
	v_mul_lo_u32 v13, s22, v3
	v_mad_u64_u32 v[2:3], null, s22, v2, 0
	v_mul_lo_u32 v14, s9, v4
	v_mul_lo_u32 v15, s8, v5
	v_mad_u64_u32 v[4:5], null, s8, v4, 0
	s_add_u32 s20, s20, s34
	s_addc_u32 s21, s21, s35
	s_add_u32 s26, s26, s34
	v_add3_u32 v3, v3, v13, v12
	s_load_dwordx2 s[20:21], s[20:21], 0x0
	s_addc_u32 s27, s27, s35
	v_add3_u32 v5, v5, v15, v14
	s_load_dwordx2 s[8:9], s[26:27], 0x0
	v_lshlrev_b64 v[2:3], 1, v[2:3]
	s_lshl_b64 s[22:23], s[24:25], 1
	v_lshlrev_b32_e32 v7, 1, v11
	v_lshlrev_b64 v[4:5], 1, v[4:5]
	s_lshl_b64 s[10:11], s[10:11], 1
	v_lshlrev_b32_e32 v16, 2, v6
	v_add_co_u32 v2, vcc_lo, v2, s22
	v_add_co_ci_u32_e64 v3, null, s23, v3, vcc_lo
	v_add_co_u32 v4, vcc_lo, v4, s10
	v_add_co_ci_u32_e64 v5, null, s11, v5, vcc_lo
	;; [unrolled: 2-line block ×3, first 2 shown]
	v_add_co_u32 v4, vcc_lo, v4, v8
	v_lshl_or_b32 v9, v10, 4, v9
	v_add_co_ci_u32_e64 v5, null, 0, v5, vcc_lo
	s_waitcnt lgkmcnt(0)
	v_add_co_u32 v2, vcc_lo, s20, v2
	v_add_co_ci_u32_e64 v3, null, s21, v3, vcc_lo
	v_add_co_u32 v4, vcc_lo, s8, v4
	v_mov_b32_e32 v6, 0
	v_lshl_or_b32 v22, v11, 8, v16
	v_add_nc_u32_e32 v23, 0x400, v9
	v_add_co_ci_u32_e64 v5, null, s9, v5, vcc_lo
	v_mov_b32_e32 v7, 0
	v_mov_b32_e32 v8, 0
	;; [unrolled: 1-line block ×12, first 2 shown]
	s_mov_b64 s[8:9], 0
.LBB141_2:                              ; =>This Inner Loop Header: Depth=1
	flat_load_ushort v26, v[2:3]
	flat_load_ushort v27, v[4:5]
	s_add_u32 s8, s8, 4
	s_addc_u32 s9, s9, 0
	v_add_co_u32 v2, vcc_lo, v2, 8
	v_cmp_lt_i64_e64 s10, s[8:9], s[28:29]
	v_add_co_ci_u32_e64 v3, null, 0, v3, vcc_lo
	v_add_co_u32 v4, vcc_lo, v4, 8
	v_add_co_ci_u32_e64 v5, null, 0, v5, vcc_lo
	s_and_b32 vcc_lo, exec_lo, s10
	s_waitcnt vmcnt(1) lgkmcnt(1)
	v_lshlrev_b32_e32 v26, 16, v26
	s_waitcnt vmcnt(0) lgkmcnt(0)
	v_lshlrev_b32_e32 v27, 16, v27
	ds_write_b32 v22, v26
	ds_write_b32 v23, v27
	s_waitcnt lgkmcnt(0)
	s_barrier
	buffer_gl0_inv
	ds_read_b128 v[26:29], v25
	ds_read2_b32 v[42:43], v24 offset1:16
	ds_read2_b32 v[44:45], v24 offset0:32 offset1:48
	ds_read_b128 v[30:33], v25 offset:256
	ds_read_b128 v[34:37], v25 offset:512
	;; [unrolled: 1-line block ×3, first 2 shown]
	ds_read2_b32 v[46:47], v24 offset0:64 offset1:80
	ds_read2_b32 v[48:49], v24 offset0:96 offset1:112
	;; [unrolled: 1-line block ×6, first 2 shown]
	s_waitcnt lgkmcnt(0)
	s_barrier
	buffer_gl0_inv
	v_fmac_f32_e32 v21, v42, v26
	v_fmac_f32_e32 v20, v43, v26
	;; [unrolled: 1-line block ×64, first 2 shown]
	s_cbranch_vccnz .LBB141_2
.LBB141_3:
	s_clause 0x1
	s_load_dword s8, s[4:5], 0x50
	s_load_dword s4, s[4:5], 0x18
	s_lshl_b64 s[2:3], s[2:3], 1
	s_waitcnt lgkmcnt(0)
	s_add_u32 s5, s18, s2
	v_add_co_u32 v22, s2, s30, v1
	s_addc_u32 s9, s19, s3
	v_add_co_ci_u32_e64 v23, null, s31, 0, s2
	v_add_co_u32 v0, s3, s6, v0
	v_add_co_ci_u32_e64 v1, null, s7, 0, s3
	v_cmp_neq_f32_e64 s2, s8, 0
	s_and_b32 vcc_lo, exec_lo, s2
	s_cbranch_vccnz .LBB141_196
; %bb.4:
	v_mul_f32_e32 v2, s4, v21
	s_mov_b32 s2, exec_lo
                                        ; implicit-def: $vgpr26
	v_and_b32_e32 v3, 0x7f800000, v2
	v_cmpx_ne_u32_e32 0x7f800000, v3
	s_xor_b32 s2, exec_lo, s2
; %bb.5:
	v_bfe_u32 v3, v2, 16, 1
	v_add3_u32 v26, v2, v3, 0x7fff
                                        ; implicit-def: $vgpr2
; %bb.6:
	s_andn2_saveexec_b32 s2, s2
; %bb.7:
	v_mov_b32_e32 v3, 0
	v_or_b32_e32 v4, 0x10000, v2
	v_cmp_eq_u32_sdwa vcc_lo, v2, v3 src0_sel:WORD_0 src1_sel:DWORD
	v_cndmask_b32_e32 v26, v4, v2, vcc_lo
; %bb.8:
	s_or_b32 exec_lo, exec_lo, s2
	v_mul_lo_u32 v4, v23, s0
	v_mul_lo_u32 v5, v22, s1
	v_mad_u64_u32 v[2:3], null, v22, s0, 0
	v_mul_f32_e32 v27, s4, v20
	v_and_b32_e32 v28, 0x7f800000, v27
	v_add3_u32 v3, v3, v5, v4
	v_lshlrev_b64 v[4:5], 1, v[2:3]
	v_lshlrev_b64 v[2:3], 1, v[0:1]
	v_add_co_u32 v24, vcc_lo, s5, v4
	v_add_co_ci_u32_e64 v25, null, s9, v5, vcc_lo
	v_add_co_u32 v4, vcc_lo, v24, v2
	v_add_co_ci_u32_e64 v5, null, v25, v3, vcc_lo
	v_cmp_ne_u32_e32 vcc_lo, 0x7f800000, v28
                                        ; implicit-def: $vgpr28
	flat_store_short_d16_hi v[4:5], v26
	s_and_saveexec_b32 s2, vcc_lo
	s_xor_b32 s2, exec_lo, s2
; %bb.9:
	v_bfe_u32 v26, v27, 16, 1
	v_add3_u32 v28, v27, v26, 0x7fff
                                        ; implicit-def: $vgpr27
; %bb.10:
	s_andn2_saveexec_b32 s2, s2
; %bb.11:
	v_mov_b32_e32 v26, 0
	v_or_b32_e32 v28, 0x10000, v27
	v_cmp_eq_u32_sdwa vcc_lo, v27, v26 src0_sel:WORD_0 src1_sel:DWORD
	v_cndmask_b32_e32 v28, v28, v27, vcc_lo
; %bb.12:
	s_or_b32 exec_lo, exec_lo, s2
	v_mul_f32_e32 v26, s4, v19
	flat_store_short_d16_hi v[4:5], v28 offset:32
	v_and_b32_e32 v27, 0x7f800000, v26
	v_cmp_ne_u32_e32 vcc_lo, 0x7f800000, v27
                                        ; implicit-def: $vgpr27
	s_and_saveexec_b32 s2, vcc_lo
	s_xor_b32 s2, exec_lo, s2
; %bb.13:
	v_bfe_u32 v27, v26, 16, 1
	v_add3_u32 v27, v26, v27, 0x7fff
                                        ; implicit-def: $vgpr26
; %bb.14:
	s_andn2_saveexec_b32 s2, s2
; %bb.15:
	v_mov_b32_e32 v27, 0
	v_or_b32_e32 v28, 0x10000, v26
	v_cmp_eq_u32_sdwa vcc_lo, v26, v27 src0_sel:WORD_0 src1_sel:DWORD
	v_cndmask_b32_e32 v27, v28, v26, vcc_lo
; %bb.16:
	s_or_b32 exec_lo, exec_lo, s2
	v_mul_f32_e32 v26, s4, v18
	flat_store_short_d16_hi v[4:5], v27 offset:64
	v_and_b32_e32 v28, 0x7f800000, v26
	v_cmp_ne_u32_e32 vcc_lo, 0x7f800000, v28
                                        ; implicit-def: $vgpr28
	s_and_saveexec_b32 s2, vcc_lo
	s_xor_b32 s2, exec_lo, s2
; %bb.17:
	v_bfe_u32 v27, v26, 16, 1
	v_add3_u32 v28, v26, v27, 0x7fff
                                        ; implicit-def: $vgpr26
; %bb.18:
	s_andn2_saveexec_b32 s2, s2
; %bb.19:
	v_mov_b32_e32 v27, 0
	v_or_b32_e32 v28, 0x10000, v26
	v_cmp_eq_u32_sdwa vcc_lo, v26, v27 src0_sel:WORD_0 src1_sel:DWORD
	v_cndmask_b32_e32 v28, v28, v26, vcc_lo
; %bb.20:
	s_or_b32 exec_lo, exec_lo, s2
	v_mul_f32_e32 v27, s4, v17
	flat_store_short_d16_hi v[4:5], v28 offset:96
	v_and_b32_e32 v26, 0x7f800000, v27
	v_cmp_ne_u32_e32 vcc_lo, 0x7f800000, v26
                                        ; implicit-def: $vgpr26
	s_and_saveexec_b32 s2, vcc_lo
	s_xor_b32 s2, exec_lo, s2
; %bb.21:
	v_bfe_u32 v4, v27, 16, 1
	v_add3_u32 v26, v27, v4, 0x7fff
                                        ; implicit-def: $vgpr27
; %bb.22:
	s_andn2_saveexec_b32 s2, s2
; %bb.23:
	v_mov_b32_e32 v4, 0
	v_or_b32_e32 v5, 0x10000, v27
	v_cmp_eq_u32_sdwa vcc_lo, v27, v4 src0_sel:WORD_0 src1_sel:DWORD
	v_cndmask_b32_e32 v26, v5, v27, vcc_lo
; %bb.24:
	s_or_b32 exec_lo, exec_lo, s2
	v_mul_f32_e32 v27, s4, v16
	s_lshl_b64 s[2:3], s[0:1], 5
	v_add_co_u32 v24, vcc_lo, v24, s2
	v_add_co_ci_u32_e64 v25, null, s3, v25, vcc_lo
	v_and_b32_e32 v28, 0x7f800000, v27
	v_add_co_u32 v4, vcc_lo, v24, v2
	v_add_co_ci_u32_e64 v5, null, v25, v3, vcc_lo
	v_cmp_ne_u32_e32 vcc_lo, 0x7f800000, v28
                                        ; implicit-def: $vgpr28
	flat_store_short_d16_hi v[4:5], v26
	s_and_saveexec_b32 s2, vcc_lo
	s_xor_b32 s2, exec_lo, s2
; %bb.25:
	v_bfe_u32 v26, v27, 16, 1
	v_add3_u32 v28, v27, v26, 0x7fff
                                        ; implicit-def: $vgpr27
; %bb.26:
	s_andn2_saveexec_b32 s2, s2
; %bb.27:
	v_mov_b32_e32 v26, 0
	v_or_b32_e32 v28, 0x10000, v27
	v_cmp_eq_u32_sdwa vcc_lo, v27, v26 src0_sel:WORD_0 src1_sel:DWORD
	v_cndmask_b32_e32 v28, v28, v27, vcc_lo
; %bb.28:
	s_or_b32 exec_lo, exec_lo, s2
	v_mul_f32_e32 v26, s4, v15
	flat_store_short_d16_hi v[4:5], v28 offset:32
	v_and_b32_e32 v27, 0x7f800000, v26
	v_cmp_ne_u32_e32 vcc_lo, 0x7f800000, v27
                                        ; implicit-def: $vgpr27
	s_and_saveexec_b32 s2, vcc_lo
	s_xor_b32 s2, exec_lo, s2
; %bb.29:
	v_bfe_u32 v27, v26, 16, 1
	v_add3_u32 v27, v26, v27, 0x7fff
                                        ; implicit-def: $vgpr26
; %bb.30:
	s_andn2_saveexec_b32 s2, s2
; %bb.31:
	v_mov_b32_e32 v27, 0
	v_or_b32_e32 v28, 0x10000, v26
	v_cmp_eq_u32_sdwa vcc_lo, v26, v27 src0_sel:WORD_0 src1_sel:DWORD
	v_cndmask_b32_e32 v27, v28, v26, vcc_lo
; %bb.32:
	s_or_b32 exec_lo, exec_lo, s2
	v_mul_f32_e32 v26, s4, v14
	flat_store_short_d16_hi v[4:5], v27 offset:64
	v_and_b32_e32 v28, 0x7f800000, v26
	v_cmp_ne_u32_e32 vcc_lo, 0x7f800000, v28
                                        ; implicit-def: $vgpr28
	s_and_saveexec_b32 s2, vcc_lo
	s_xor_b32 s2, exec_lo, s2
; %bb.33:
	v_bfe_u32 v27, v26, 16, 1
	v_add3_u32 v28, v26, v27, 0x7fff
                                        ; implicit-def: $vgpr26
; %bb.34:
	s_andn2_saveexec_b32 s2, s2
; %bb.35:
	v_mov_b32_e32 v27, 0
	v_or_b32_e32 v28, 0x10000, v26
	v_cmp_eq_u32_sdwa vcc_lo, v26, v27 src0_sel:WORD_0 src1_sel:DWORD
	v_cndmask_b32_e32 v28, v28, v26, vcc_lo
; %bb.36:
	s_or_b32 exec_lo, exec_lo, s2
	v_mul_f32_e32 v27, s4, v13
	flat_store_short_d16_hi v[4:5], v28 offset:96
	v_and_b32_e32 v26, 0x7f800000, v27
	v_cmp_ne_u32_e32 vcc_lo, 0x7f800000, v26
                                        ; implicit-def: $vgpr26
	s_and_saveexec_b32 s2, vcc_lo
	s_xor_b32 s2, exec_lo, s2
; %bb.37:
	v_bfe_u32 v4, v27, 16, 1
	v_add3_u32 v26, v27, v4, 0x7fff
                                        ; implicit-def: $vgpr27
; %bb.38:
	s_or_saveexec_b32 s6, s2
	s_lshl_b64 s[2:3], s[0:1], 4
	s_xor_b32 exec_lo, exec_lo, s6
; %bb.39:
	v_mov_b32_e32 v4, 0
	v_or_b32_e32 v5, 0x10000, v27
	v_cmp_eq_u32_sdwa vcc_lo, v27, v4 src0_sel:WORD_0 src1_sel:DWORD
	v_cndmask_b32_e32 v26, v5, v27, vcc_lo
; %bb.40:
	s_or_b32 exec_lo, exec_lo, s6
	v_mul_f32_e32 v27, s4, v12
	s_lshl_b64 s[2:3], s[2:3], 1
	v_add_co_u32 v24, vcc_lo, v24, s2
	v_add_co_ci_u32_e64 v25, null, s3, v25, vcc_lo
	v_and_b32_e32 v28, 0x7f800000, v27
	v_add_co_u32 v4, vcc_lo, v24, v2
	v_add_co_ci_u32_e64 v5, null, v25, v3, vcc_lo
	v_cmp_ne_u32_e32 vcc_lo, 0x7f800000, v28
                                        ; implicit-def: $vgpr28
	flat_store_short_d16_hi v[4:5], v26
	s_and_saveexec_b32 s6, vcc_lo
	s_xor_b32 s6, exec_lo, s6
; %bb.41:
	v_bfe_u32 v26, v27, 16, 1
	v_add3_u32 v28, v27, v26, 0x7fff
                                        ; implicit-def: $vgpr27
; %bb.42:
	s_andn2_saveexec_b32 s6, s6
; %bb.43:
	v_mov_b32_e32 v26, 0
	v_or_b32_e32 v28, 0x10000, v27
	v_cmp_eq_u32_sdwa vcc_lo, v27, v26 src0_sel:WORD_0 src1_sel:DWORD
	v_cndmask_b32_e32 v28, v28, v27, vcc_lo
; %bb.44:
	s_or_b32 exec_lo, exec_lo, s6
	v_mul_f32_e32 v26, s4, v11
	flat_store_short_d16_hi v[4:5], v28 offset:32
	v_and_b32_e32 v27, 0x7f800000, v26
	v_cmp_ne_u32_e32 vcc_lo, 0x7f800000, v27
                                        ; implicit-def: $vgpr27
	s_and_saveexec_b32 s6, vcc_lo
	s_xor_b32 s6, exec_lo, s6
; %bb.45:
	v_bfe_u32 v27, v26, 16, 1
	v_add3_u32 v27, v26, v27, 0x7fff
                                        ; implicit-def: $vgpr26
; %bb.46:
	s_andn2_saveexec_b32 s6, s6
; %bb.47:
	v_mov_b32_e32 v27, 0
	v_or_b32_e32 v28, 0x10000, v26
	v_cmp_eq_u32_sdwa vcc_lo, v26, v27 src0_sel:WORD_0 src1_sel:DWORD
	v_cndmask_b32_e32 v27, v28, v26, vcc_lo
; %bb.48:
	s_or_b32 exec_lo, exec_lo, s6
	v_mul_f32_e32 v26, s4, v10
	s_mov_b32 s6, exec_lo
	flat_store_short_d16_hi v[4:5], v27 offset:64
                                        ; implicit-def: $vgpr27
	v_and_b32_e32 v28, 0x7f800000, v26
	v_cmpx_ne_u32_e32 0x7f800000, v28
	s_xor_b32 s6, exec_lo, s6
; %bb.49:
	v_bfe_u32 v27, v26, 16, 1
	v_add3_u32 v27, v26, v27, 0x7fff
                                        ; implicit-def: $vgpr26
; %bb.50:
	s_andn2_saveexec_b32 s6, s6
; %bb.51:
	v_mov_b32_e32 v27, 0
	v_or_b32_e32 v28, 0x10000, v26
	v_cmp_eq_u32_sdwa vcc_lo, v26, v27 src0_sel:WORD_0 src1_sel:DWORD
	v_cndmask_b32_e32 v27, v28, v26, vcc_lo
; %bb.52:
	s_or_b32 exec_lo, exec_lo, s6
	v_mul_f32_e32 v26, s4, v9
	s_mov_b32 s6, exec_lo
	flat_store_short_d16_hi v[4:5], v27 offset:96
                                        ; implicit-def: $vgpr4
	v_and_b32_e32 v28, 0x7f800000, v26
	v_cmpx_ne_u32_e32 0x7f800000, v28
	s_xor_b32 s6, exec_lo, s6
; %bb.53:
	v_bfe_u32 v4, v26, 16, 1
	v_add3_u32 v4, v26, v4, 0x7fff
                                        ; implicit-def: $vgpr26
; %bb.54:
	s_andn2_saveexec_b32 s6, s6
; %bb.55:
	v_mov_b32_e32 v4, 0
	v_or_b32_e32 v5, 0x10000, v26
	v_cmp_eq_u32_sdwa vcc_lo, v26, v4 src0_sel:WORD_0 src1_sel:DWORD
	v_cndmask_b32_e32 v4, v5, v26, vcc_lo
; %bb.56:
	s_or_b32 exec_lo, exec_lo, s6
	v_add_co_u32 v24, vcc_lo, v24, s2
	v_mul_f32_e32 v5, s4, v8
	v_add_co_ci_u32_e64 v25, null, s3, v25, vcc_lo
	v_add_co_u32 v2, vcc_lo, v24, v2
	v_and_b32_e32 v26, 0x7f800000, v5
	v_add_co_ci_u32_e64 v3, null, v25, v3, vcc_lo
	s_mov_b32 s2, exec_lo
                                        ; implicit-def: $vgpr24
	flat_store_short_d16_hi v[2:3], v4
	v_cmpx_ne_u32_e32 0x7f800000, v26
	s_xor_b32 s2, exec_lo, s2
; %bb.57:
	v_bfe_u32 v4, v5, 16, 1
	v_add3_u32 v24, v5, v4, 0x7fff
                                        ; implicit-def: $vgpr5
; %bb.58:
	s_andn2_saveexec_b32 s2, s2
; %bb.59:
	v_mov_b32_e32 v4, 0
	v_or_b32_e32 v24, 0x10000, v5
	v_cmp_eq_u32_sdwa vcc_lo, v5, v4 src0_sel:WORD_0 src1_sel:DWORD
	v_cndmask_b32_e32 v24, v24, v5, vcc_lo
; %bb.60:
	s_or_b32 exec_lo, exec_lo, s2
	v_mul_f32_e32 v4, s4, v7
	flat_store_short_d16_hi v[2:3], v24 offset:32
	v_and_b32_e32 v5, 0x7f800000, v4
	v_cmp_ne_u32_e32 vcc_lo, 0x7f800000, v5
                                        ; implicit-def: $vgpr5
	s_and_saveexec_b32 s2, vcc_lo
	s_xor_b32 s2, exec_lo, s2
; %bb.61:
	v_bfe_u32 v5, v4, 16, 1
	v_add3_u32 v5, v4, v5, 0x7fff
                                        ; implicit-def: $vgpr4
; %bb.62:
	s_andn2_saveexec_b32 s2, s2
; %bb.63:
	v_mov_b32_e32 v5, 0
	v_or_b32_e32 v24, 0x10000, v4
	v_cmp_eq_u32_sdwa vcc_lo, v4, v5 src0_sel:WORD_0 src1_sel:DWORD
	v_cndmask_b32_e32 v5, v24, v4, vcc_lo
; %bb.64:
	s_or_b32 exec_lo, exec_lo, s2
	v_mul_f32_e32 v4, s4, v6
	s_mov_b32 s2, exec_lo
	flat_store_short_d16_hi v[2:3], v5 offset:64
                                        ; implicit-def: $vgpr5
	v_and_b32_e32 v24, 0x7f800000, v4
	v_cmpx_ne_u32_e32 0x7f800000, v24
	s_xor_b32 s2, exec_lo, s2
; %bb.65:
	v_bfe_u32 v5, v4, 16, 1
	v_add3_u32 v5, v4, v5, 0x7fff
                                        ; implicit-def: $vgpr4
; %bb.66:
	s_andn2_saveexec_b32 s2, s2
; %bb.67:
	v_mov_b32_e32 v5, 0
	v_or_b32_e32 v24, 0x10000, v4
	v_cmp_eq_u32_sdwa vcc_lo, v4, v5 src0_sel:WORD_0 src1_sel:DWORD
	v_cndmask_b32_e32 v5, v24, v4, vcc_lo
; %bb.68:
	s_or_b32 exec_lo, exec_lo, s2
	flat_store_short_d16_hi v[2:3], v5 offset:96
	s_branch .LBB141_197
.LBB141_69:
	v_mul_lo_u32 v4, v23, s14
	v_mul_lo_u32 v5, v22, s15
	v_mad_u64_u32 v[2:3], null, v22, s14, 0
	s_lshl_b64 s[2:3], s[16:17], 1
	v_lshlrev_b64 v[0:1], 1, v[0:1]
	s_add_u32 s2, s12, s2
	s_addc_u32 s3, s13, s3
	v_add3_u32 v3, v3, v5, v4
	v_lshlrev_b64 v[2:3], 1, v[2:3]
	v_add_co_u32 v24, vcc_lo, s2, v2
	v_add_co_ci_u32_e64 v25, null, s3, v3, vcc_lo
	v_add_co_u32 v2, vcc_lo, v24, v0
	v_add_co_ci_u32_e64 v3, null, v25, v1, vcc_lo
	flat_load_ushort v4, v[2:3]
	s_waitcnt vmcnt(0) lgkmcnt(0)
	v_lshlrev_b32_e32 v4, 16, v4
	v_mul_f32_e32 v4, s8, v4
	v_and_b32_e32 v5, 0x7f800000, v4
	v_cmp_ne_u32_e32 vcc_lo, 0x7f800000, v5
                                        ; implicit-def: $vgpr5
	s_and_saveexec_b32 s2, vcc_lo
	s_xor_b32 s2, exec_lo, s2
; %bb.70:
	v_bfe_u32 v5, v4, 16, 1
	v_add3_u32 v5, v4, v5, 0x7fff
                                        ; implicit-def: $vgpr4
; %bb.71:
	s_andn2_saveexec_b32 s2, s2
; %bb.72:
	v_mov_b32_e32 v5, 0
	v_or_b32_e32 v26, 0x10000, v4
	v_cmp_eq_u32_sdwa vcc_lo, v4, v5 src0_sel:WORD_0 src1_sel:DWORD
	v_cndmask_b32_e32 v5, v26, v4, vcc_lo
; %bb.73:
	s_or_b32 exec_lo, exec_lo, s2
	v_and_b32_e32 v4, 0xffff0000, v5
	s_mov_b32 s2, exec_lo
                                        ; implicit-def: $vgpr26
	v_fmac_f32_e32 v4, s4, v21
	v_and_b32_e32 v5, 0x7f800000, v4
	v_cmpx_ne_u32_e32 0x7f800000, v5
	s_xor_b32 s2, exec_lo, s2
; %bb.74:
	v_bfe_u32 v5, v4, 16, 1
	v_add3_u32 v26, v4, v5, 0x7fff
                                        ; implicit-def: $vgpr4
; %bb.75:
	s_andn2_saveexec_b32 s2, s2
; %bb.76:
	v_mov_b32_e32 v5, 0
	v_or_b32_e32 v21, 0x10000, v4
	v_cmp_eq_u32_sdwa vcc_lo, v4, v5 src0_sel:WORD_0 src1_sel:DWORD
	v_cndmask_b32_e32 v26, v21, v4, vcc_lo
; %bb.77:
	s_or_b32 exec_lo, exec_lo, s2
	v_mul_lo_u32 v21, v23, s0
	v_mul_lo_u32 v23, v22, s1
	v_mad_u64_u32 v[4:5], null, v22, s0, 0
	v_add3_u32 v5, v5, v23, v21
	v_lshlrev_b64 v[4:5], 1, v[4:5]
	v_add_co_u32 v21, vcc_lo, s5, v4
	v_add_co_ci_u32_e64 v22, null, s9, v5, vcc_lo
	v_add_co_u32 v4, vcc_lo, v21, v0
	v_add_co_ci_u32_e64 v5, null, v22, v1, vcc_lo
	flat_store_short_d16_hi v[4:5], v26
	flat_load_ushort v23, v[2:3] offset:32
	s_waitcnt vmcnt(0) lgkmcnt(0)
	v_lshlrev_b32_e32 v23, 16, v23
	v_mul_f32_e32 v23, s8, v23
	v_and_b32_e32 v26, 0x7f800000, v23
	v_cmp_ne_u32_e32 vcc_lo, 0x7f800000, v26
                                        ; implicit-def: $vgpr26
	s_and_saveexec_b32 s2, vcc_lo
	s_xor_b32 s2, exec_lo, s2
; %bb.78:
	v_bfe_u32 v26, v23, 16, 1
	v_add3_u32 v26, v23, v26, 0x7fff
                                        ; implicit-def: $vgpr23
; %bb.79:
	s_andn2_saveexec_b32 s2, s2
; %bb.80:
	v_mov_b32_e32 v26, 0
	v_or_b32_e32 v27, 0x10000, v23
	v_cmp_eq_u32_sdwa vcc_lo, v23, v26 src0_sel:WORD_0 src1_sel:DWORD
	v_cndmask_b32_e32 v26, v27, v23, vcc_lo
; %bb.81:
	s_or_b32 exec_lo, exec_lo, s2
	v_and_b32_e32 v23, 0xffff0000, v26
	v_fmac_f32_e32 v23, s4, v20
	v_and_b32_e32 v20, 0x7f800000, v23
	v_cmp_ne_u32_e32 vcc_lo, 0x7f800000, v20
                                        ; implicit-def: $vgpr20
	s_and_saveexec_b32 s2, vcc_lo
	s_xor_b32 s2, exec_lo, s2
; %bb.82:
	v_bfe_u32 v20, v23, 16, 1
	v_add3_u32 v20, v23, v20, 0x7fff
                                        ; implicit-def: $vgpr23
; %bb.83:
	s_andn2_saveexec_b32 s2, s2
; %bb.84:
	v_mov_b32_e32 v20, 0
	v_or_b32_e32 v26, 0x10000, v23
	v_cmp_eq_u32_sdwa vcc_lo, v23, v20 src0_sel:WORD_0 src1_sel:DWORD
	v_cndmask_b32_e32 v20, v26, v23, vcc_lo
; %bb.85:
	s_or_b32 exec_lo, exec_lo, s2
	flat_store_short_d16_hi v[4:5], v20 offset:32
	flat_load_ushort v20, v[2:3] offset:64
	s_waitcnt vmcnt(0) lgkmcnt(0)
	v_lshlrev_b32_e32 v20, 16, v20
	v_mul_f32_e32 v20, s8, v20
	v_and_b32_e32 v23, 0x7f800000, v20
	v_cmp_ne_u32_e32 vcc_lo, 0x7f800000, v23
                                        ; implicit-def: $vgpr23
	s_and_saveexec_b32 s2, vcc_lo
	s_xor_b32 s2, exec_lo, s2
; %bb.86:
	v_bfe_u32 v23, v20, 16, 1
	v_add3_u32 v23, v20, v23, 0x7fff
                                        ; implicit-def: $vgpr20
; %bb.87:
	s_andn2_saveexec_b32 s2, s2
; %bb.88:
	v_mov_b32_e32 v23, 0
	v_or_b32_e32 v26, 0x10000, v20
	v_cmp_eq_u32_sdwa vcc_lo, v20, v23 src0_sel:WORD_0 src1_sel:DWORD
	v_cndmask_b32_e32 v23, v26, v20, vcc_lo
; %bb.89:
	s_or_b32 exec_lo, exec_lo, s2
	v_and_b32_e32 v20, 0xffff0000, v23
	v_fmac_f32_e32 v20, s4, v19
	v_and_b32_e32 v19, 0x7f800000, v20
	v_cmp_ne_u32_e32 vcc_lo, 0x7f800000, v19
                                        ; implicit-def: $vgpr19
	s_and_saveexec_b32 s2, vcc_lo
	s_xor_b32 s2, exec_lo, s2
; %bb.90:
	v_bfe_u32 v19, v20, 16, 1
	v_add3_u32 v19, v20, v19, 0x7fff
                                        ; implicit-def: $vgpr20
; %bb.91:
	s_andn2_saveexec_b32 s2, s2
; %bb.92:
	v_mov_b32_e32 v19, 0
	v_or_b32_e32 v23, 0x10000, v20
	v_cmp_eq_u32_sdwa vcc_lo, v20, v19 src0_sel:WORD_0 src1_sel:DWORD
	v_cndmask_b32_e32 v19, v23, v20, vcc_lo
; %bb.93:
	s_or_b32 exec_lo, exec_lo, s2
	flat_store_short_d16_hi v[4:5], v19 offset:64
	flat_load_ushort v2, v[2:3] offset:96
	s_waitcnt vmcnt(0) lgkmcnt(0)
	v_lshlrev_b32_e32 v2, 16, v2
	v_mul_f32_e32 v2, s8, v2
	v_and_b32_e32 v3, 0x7f800000, v2
	v_cmp_ne_u32_e32 vcc_lo, 0x7f800000, v3
                                        ; implicit-def: $vgpr3
	s_and_saveexec_b32 s2, vcc_lo
	s_xor_b32 s2, exec_lo, s2
; %bb.94:
	v_bfe_u32 v3, v2, 16, 1
	v_add3_u32 v3, v2, v3, 0x7fff
                                        ; implicit-def: $vgpr2
; %bb.95:
	s_andn2_saveexec_b32 s2, s2
; %bb.96:
	v_mov_b32_e32 v3, 0
	v_or_b32_e32 v19, 0x10000, v2
	v_cmp_eq_u32_sdwa vcc_lo, v2, v3 src0_sel:WORD_0 src1_sel:DWORD
	v_cndmask_b32_e32 v3, v19, v2, vcc_lo
; %bb.97:
	s_or_b32 exec_lo, exec_lo, s2
	v_and_b32_e32 v2, 0xffff0000, v3
	s_mov_b32 s2, exec_lo
	v_fmac_f32_e32 v2, s4, v18
                                        ; implicit-def: $vgpr18
	v_and_b32_e32 v3, 0x7f800000, v2
	v_cmpx_ne_u32_e32 0x7f800000, v3
	s_xor_b32 s2, exec_lo, s2
; %bb.98:
	v_bfe_u32 v3, v2, 16, 1
	v_add3_u32 v18, v2, v3, 0x7fff
                                        ; implicit-def: $vgpr2
; %bb.99:
	s_andn2_saveexec_b32 s2, s2
; %bb.100:
	v_mov_b32_e32 v3, 0
	v_or_b32_e32 v18, 0x10000, v2
	v_cmp_eq_u32_sdwa vcc_lo, v2, v3 src0_sel:WORD_0 src1_sel:DWORD
	v_cndmask_b32_e32 v18, v18, v2, vcc_lo
; %bb.101:
	s_or_b32 exec_lo, exec_lo, s2
	s_lshl_b64 s[2:3], s[14:15], 5
	flat_store_short_d16_hi v[4:5], v18 offset:96
	v_add_co_u32 v19, vcc_lo, v24, s2
	v_add_co_ci_u32_e64 v20, null, s3, v25, vcc_lo
	v_add_co_u32 v2, vcc_lo, v19, v0
	v_add_co_ci_u32_e64 v3, null, v20, v1, vcc_lo
	flat_load_ushort v4, v[2:3]
	s_waitcnt vmcnt(0) lgkmcnt(0)
	v_lshlrev_b32_e32 v4, 16, v4
	v_mul_f32_e32 v4, s8, v4
	v_and_b32_e32 v5, 0x7f800000, v4
	v_cmp_ne_u32_e32 vcc_lo, 0x7f800000, v5
                                        ; implicit-def: $vgpr5
	s_and_saveexec_b32 s2, vcc_lo
	s_xor_b32 s2, exec_lo, s2
; %bb.102:
	v_bfe_u32 v5, v4, 16, 1
	v_add3_u32 v5, v4, v5, 0x7fff
                                        ; implicit-def: $vgpr4
; %bb.103:
	s_andn2_saveexec_b32 s2, s2
; %bb.104:
	v_mov_b32_e32 v5, 0
	v_or_b32_e32 v18, 0x10000, v4
	v_cmp_eq_u32_sdwa vcc_lo, v4, v5 src0_sel:WORD_0 src1_sel:DWORD
	v_cndmask_b32_e32 v5, v18, v4, vcc_lo
; %bb.105:
	s_or_b32 exec_lo, exec_lo, s2
	v_and_b32_e32 v4, 0xffff0000, v5
	s_mov_b32 s2, exec_lo
                                        ; implicit-def: $vgpr23
	v_fmac_f32_e32 v4, s4, v17
	v_and_b32_e32 v5, 0x7f800000, v4
	v_cmpx_ne_u32_e32 0x7f800000, v5
	s_xor_b32 s2, exec_lo, s2
; %bb.106:
	v_bfe_u32 v5, v4, 16, 1
	v_add3_u32 v23, v4, v5, 0x7fff
                                        ; implicit-def: $vgpr4
; %bb.107:
	s_andn2_saveexec_b32 s2, s2
; %bb.108:
	v_mov_b32_e32 v5, 0
	v_or_b32_e32 v17, 0x10000, v4
	v_cmp_eq_u32_sdwa vcc_lo, v4, v5 src0_sel:WORD_0 src1_sel:DWORD
	v_cndmask_b32_e32 v23, v17, v4, vcc_lo
; %bb.109:
	s_or_b32 exec_lo, exec_lo, s2
	s_lshl_b64 s[2:3], s[0:1], 5
	v_add_co_u32 v17, vcc_lo, v21, s2
	v_add_co_ci_u32_e64 v18, null, s3, v22, vcc_lo
	v_add_co_u32 v4, vcc_lo, v17, v0
	v_add_co_ci_u32_e64 v5, null, v18, v1, vcc_lo
	flat_store_short_d16_hi v[4:5], v23
	flat_load_ushort v21, v[2:3] offset:32
	s_waitcnt vmcnt(0) lgkmcnt(0)
	v_lshlrev_b32_e32 v21, 16, v21
	v_mul_f32_e32 v21, s8, v21
	v_and_b32_e32 v22, 0x7f800000, v21
	v_cmp_ne_u32_e32 vcc_lo, 0x7f800000, v22
                                        ; implicit-def: $vgpr22
	s_and_saveexec_b32 s2, vcc_lo
	s_xor_b32 s2, exec_lo, s2
; %bb.110:
	v_bfe_u32 v22, v21, 16, 1
	v_add3_u32 v22, v21, v22, 0x7fff
                                        ; implicit-def: $vgpr21
; %bb.111:
	s_andn2_saveexec_b32 s2, s2
; %bb.112:
	v_mov_b32_e32 v22, 0
	v_or_b32_e32 v23, 0x10000, v21
	v_cmp_eq_u32_sdwa vcc_lo, v21, v22 src0_sel:WORD_0 src1_sel:DWORD
	v_cndmask_b32_e32 v22, v23, v21, vcc_lo
; %bb.113:
	s_or_b32 exec_lo, exec_lo, s2
	v_and_b32_e32 v21, 0xffff0000, v22
	v_fmac_f32_e32 v21, s4, v16
	v_and_b32_e32 v16, 0x7f800000, v21
	v_cmp_ne_u32_e32 vcc_lo, 0x7f800000, v16
                                        ; implicit-def: $vgpr16
	s_and_saveexec_b32 s2, vcc_lo
	s_xor_b32 s2, exec_lo, s2
; %bb.114:
	v_bfe_u32 v16, v21, 16, 1
	v_add3_u32 v16, v21, v16, 0x7fff
                                        ; implicit-def: $vgpr21
; %bb.115:
	s_andn2_saveexec_b32 s2, s2
; %bb.116:
	v_mov_b32_e32 v16, 0
	v_or_b32_e32 v22, 0x10000, v21
	v_cmp_eq_u32_sdwa vcc_lo, v21, v16 src0_sel:WORD_0 src1_sel:DWORD
	v_cndmask_b32_e32 v16, v22, v21, vcc_lo
; %bb.117:
	s_or_b32 exec_lo, exec_lo, s2
	flat_store_short_d16_hi v[4:5], v16 offset:32
	flat_load_ushort v16, v[2:3] offset:64
	s_waitcnt vmcnt(0) lgkmcnt(0)
	v_lshlrev_b32_e32 v16, 16, v16
	v_mul_f32_e32 v16, s8, v16
	v_and_b32_e32 v21, 0x7f800000, v16
	v_cmp_ne_u32_e32 vcc_lo, 0x7f800000, v21
                                        ; implicit-def: $vgpr21
	s_and_saveexec_b32 s2, vcc_lo
	s_xor_b32 s2, exec_lo, s2
; %bb.118:
	v_bfe_u32 v21, v16, 16, 1
	v_add3_u32 v21, v16, v21, 0x7fff
                                        ; implicit-def: $vgpr16
; %bb.119:
	s_andn2_saveexec_b32 s2, s2
; %bb.120:
	v_mov_b32_e32 v21, 0
	v_or_b32_e32 v22, 0x10000, v16
	v_cmp_eq_u32_sdwa vcc_lo, v16, v21 src0_sel:WORD_0 src1_sel:DWORD
	v_cndmask_b32_e32 v21, v22, v16, vcc_lo
; %bb.121:
	s_or_b32 exec_lo, exec_lo, s2
	v_and_b32_e32 v16, 0xffff0000, v21
	v_fmac_f32_e32 v16, s4, v15
	v_and_b32_e32 v15, 0x7f800000, v16
	v_cmp_ne_u32_e32 vcc_lo, 0x7f800000, v15
                                        ; implicit-def: $vgpr15
	s_and_saveexec_b32 s2, vcc_lo
	s_xor_b32 s2, exec_lo, s2
; %bb.122:
	v_bfe_u32 v15, v16, 16, 1
	v_add3_u32 v15, v16, v15, 0x7fff
                                        ; implicit-def: $vgpr16
; %bb.123:
	s_andn2_saveexec_b32 s2, s2
; %bb.124:
	v_mov_b32_e32 v15, 0
	v_or_b32_e32 v21, 0x10000, v16
	v_cmp_eq_u32_sdwa vcc_lo, v16, v15 src0_sel:WORD_0 src1_sel:DWORD
	v_cndmask_b32_e32 v15, v21, v16, vcc_lo
; %bb.125:
	s_or_b32 exec_lo, exec_lo, s2
	flat_store_short_d16_hi v[4:5], v15 offset:64
	flat_load_ushort v2, v[2:3] offset:96
	s_waitcnt vmcnt(0) lgkmcnt(0)
	v_lshlrev_b32_e32 v2, 16, v2
	v_mul_f32_e32 v2, s8, v2
	v_and_b32_e32 v3, 0x7f800000, v2
	v_cmp_ne_u32_e32 vcc_lo, 0x7f800000, v3
                                        ; implicit-def: $vgpr3
	s_and_saveexec_b32 s2, vcc_lo
	s_xor_b32 s2, exec_lo, s2
; %bb.126:
	v_bfe_u32 v3, v2, 16, 1
	v_add3_u32 v3, v2, v3, 0x7fff
                                        ; implicit-def: $vgpr2
; %bb.127:
	s_andn2_saveexec_b32 s2, s2
; %bb.128:
	v_mov_b32_e32 v3, 0
	v_or_b32_e32 v15, 0x10000, v2
	v_cmp_eq_u32_sdwa vcc_lo, v2, v3 src0_sel:WORD_0 src1_sel:DWORD
	v_cndmask_b32_e32 v3, v15, v2, vcc_lo
; %bb.129:
	s_or_b32 exec_lo, exec_lo, s2
	v_and_b32_e32 v2, 0xffff0000, v3
	s_mov_b32 s2, exec_lo
                                        ; implicit-def: $vgpr16
	v_fmac_f32_e32 v2, s4, v14
	v_and_b32_e32 v3, 0x7f800000, v2
	v_cmpx_ne_u32_e32 0x7f800000, v3
	s_xor_b32 s2, exec_lo, s2
; %bb.130:
	v_bfe_u32 v3, v2, 16, 1
	v_add3_u32 v16, v2, v3, 0x7fff
                                        ; implicit-def: $vgpr2
; %bb.131:
	s_or_saveexec_b32 s5, s2
	s_lshl_b64 s[2:3], s[14:15], 4
	s_xor_b32 exec_lo, exec_lo, s5
; %bb.132:
	v_mov_b32_e32 v3, 0
	v_or_b32_e32 v14, 0x10000, v2
	v_cmp_eq_u32_sdwa vcc_lo, v2, v3 src0_sel:WORD_0 src1_sel:DWORD
	v_cndmask_b32_e32 v16, v14, v2, vcc_lo
; %bb.133:
	s_or_b32 exec_lo, exec_lo, s5
	s_lshl_b64 s[2:3], s[2:3], 1
	flat_store_short_d16_hi v[4:5], v16 offset:96
	v_add_co_u32 v14, vcc_lo, v19, s2
	v_add_co_ci_u32_e64 v15, null, s3, v20, vcc_lo
	v_add_co_u32 v2, vcc_lo, v14, v0
	v_add_co_ci_u32_e64 v3, null, v15, v1, vcc_lo
	flat_load_ushort v4, v[2:3]
	s_waitcnt vmcnt(0) lgkmcnt(0)
	v_lshlrev_b32_e32 v4, 16, v4
	v_mul_f32_e32 v4, s8, v4
	v_and_b32_e32 v5, 0x7f800000, v4
	v_cmp_ne_u32_e32 vcc_lo, 0x7f800000, v5
                                        ; implicit-def: $vgpr5
	s_and_saveexec_b32 s5, vcc_lo
	s_xor_b32 s5, exec_lo, s5
; %bb.134:
	v_bfe_u32 v5, v4, 16, 1
	v_add3_u32 v5, v4, v5, 0x7fff
                                        ; implicit-def: $vgpr4
; %bb.135:
	s_andn2_saveexec_b32 s5, s5
; %bb.136:
	v_mov_b32_e32 v5, 0
	v_or_b32_e32 v16, 0x10000, v4
	v_cmp_eq_u32_sdwa vcc_lo, v4, v5 src0_sel:WORD_0 src1_sel:DWORD
	v_cndmask_b32_e32 v5, v16, v4, vcc_lo
; %bb.137:
	s_or_b32 exec_lo, exec_lo, s5
	v_and_b32_e32 v4, 0xffff0000, v5
	s_mov_b32 s5, exec_lo
                                        ; implicit-def: $vgpr19
	v_fmac_f32_e32 v4, s4, v13
	v_and_b32_e32 v5, 0x7f800000, v4
	v_cmpx_ne_u32_e32 0x7f800000, v5
	s_xor_b32 s5, exec_lo, s5
; %bb.138:
	v_bfe_u32 v5, v4, 16, 1
	v_add3_u32 v19, v4, v5, 0x7fff
                                        ; implicit-def: $vgpr4
; %bb.139:
	s_or_saveexec_b32 s5, s5
	s_lshl_b64 s[0:1], s[0:1], 4
	s_xor_b32 exec_lo, exec_lo, s5
; %bb.140:
	v_mov_b32_e32 v5, 0
	v_or_b32_e32 v13, 0x10000, v4
	v_cmp_eq_u32_sdwa vcc_lo, v4, v5 src0_sel:WORD_0 src1_sel:DWORD
	v_cndmask_b32_e32 v19, v13, v4, vcc_lo
; %bb.141:
	s_or_b32 exec_lo, exec_lo, s5
	s_lshl_b64 s[0:1], s[0:1], 1
	v_add_co_u32 v13, vcc_lo, v17, s0
	v_add_co_ci_u32_e64 v16, null, s1, v18, vcc_lo
	v_add_co_u32 v4, vcc_lo, v13, v0
	v_add_co_ci_u32_e64 v5, null, v16, v1, vcc_lo
	flat_store_short_d16_hi v[4:5], v19
	flat_load_ushort v17, v[2:3] offset:32
	s_waitcnt vmcnt(0) lgkmcnt(0)
	v_lshlrev_b32_e32 v17, 16, v17
	v_mul_f32_e32 v17, s8, v17
	v_and_b32_e32 v18, 0x7f800000, v17
	v_cmp_ne_u32_e32 vcc_lo, 0x7f800000, v18
                                        ; implicit-def: $vgpr18
	s_and_saveexec_b32 s5, vcc_lo
	s_xor_b32 s5, exec_lo, s5
; %bb.142:
	v_bfe_u32 v18, v17, 16, 1
	v_add3_u32 v18, v17, v18, 0x7fff
                                        ; implicit-def: $vgpr17
; %bb.143:
	s_andn2_saveexec_b32 s5, s5
; %bb.144:
	v_mov_b32_e32 v18, 0
	v_or_b32_e32 v19, 0x10000, v17
	v_cmp_eq_u32_sdwa vcc_lo, v17, v18 src0_sel:WORD_0 src1_sel:DWORD
	v_cndmask_b32_e32 v18, v19, v17, vcc_lo
; %bb.145:
	s_or_b32 exec_lo, exec_lo, s5
	v_and_b32_e32 v17, 0xffff0000, v18
	v_fmac_f32_e32 v17, s4, v12
	v_and_b32_e32 v12, 0x7f800000, v17
	v_cmp_ne_u32_e32 vcc_lo, 0x7f800000, v12
                                        ; implicit-def: $vgpr12
	s_and_saveexec_b32 s5, vcc_lo
	s_xor_b32 s5, exec_lo, s5
; %bb.146:
	v_bfe_u32 v12, v17, 16, 1
	v_add3_u32 v12, v17, v12, 0x7fff
                                        ; implicit-def: $vgpr17
; %bb.147:
	s_andn2_saveexec_b32 s5, s5
; %bb.148:
	v_mov_b32_e32 v12, 0
	v_or_b32_e32 v18, 0x10000, v17
	v_cmp_eq_u32_sdwa vcc_lo, v17, v12 src0_sel:WORD_0 src1_sel:DWORD
	v_cndmask_b32_e32 v12, v18, v17, vcc_lo
; %bb.149:
	s_or_b32 exec_lo, exec_lo, s5
	flat_store_short_d16_hi v[4:5], v12 offset:32
	flat_load_ushort v12, v[2:3] offset:64
	s_waitcnt vmcnt(0) lgkmcnt(0)
	v_lshlrev_b32_e32 v12, 16, v12
	v_mul_f32_e32 v12, s8, v12
	v_and_b32_e32 v17, 0x7f800000, v12
	v_cmp_ne_u32_e32 vcc_lo, 0x7f800000, v17
                                        ; implicit-def: $vgpr17
	s_and_saveexec_b32 s5, vcc_lo
	s_xor_b32 s5, exec_lo, s5
; %bb.150:
	v_bfe_u32 v17, v12, 16, 1
	v_add3_u32 v17, v12, v17, 0x7fff
                                        ; implicit-def: $vgpr12
; %bb.151:
	s_andn2_saveexec_b32 s5, s5
; %bb.152:
	v_mov_b32_e32 v17, 0
	v_or_b32_e32 v18, 0x10000, v12
	v_cmp_eq_u32_sdwa vcc_lo, v12, v17 src0_sel:WORD_0 src1_sel:DWORD
	v_cndmask_b32_e32 v17, v18, v12, vcc_lo
; %bb.153:
	s_or_b32 exec_lo, exec_lo, s5
	v_and_b32_e32 v12, 0xffff0000, v17
	v_fmac_f32_e32 v12, s4, v11
	v_and_b32_e32 v11, 0x7f800000, v12
	v_cmp_ne_u32_e32 vcc_lo, 0x7f800000, v11
                                        ; implicit-def: $vgpr11
	s_and_saveexec_b32 s5, vcc_lo
	s_xor_b32 s5, exec_lo, s5
; %bb.154:
	v_bfe_u32 v11, v12, 16, 1
	v_add3_u32 v11, v12, v11, 0x7fff
                                        ; implicit-def: $vgpr12
; %bb.155:
	s_andn2_saveexec_b32 s5, s5
; %bb.156:
	v_mov_b32_e32 v11, 0
	v_or_b32_e32 v17, 0x10000, v12
	v_cmp_eq_u32_sdwa vcc_lo, v12, v11 src0_sel:WORD_0 src1_sel:DWORD
	v_cndmask_b32_e32 v11, v17, v12, vcc_lo
; %bb.157:
	s_or_b32 exec_lo, exec_lo, s5
	flat_store_short_d16_hi v[4:5], v11 offset:64
	flat_load_ushort v2, v[2:3] offset:96
	s_waitcnt vmcnt(0) lgkmcnt(0)
	v_lshlrev_b32_e32 v2, 16, v2
	v_mul_f32_e32 v2, s8, v2
	v_and_b32_e32 v3, 0x7f800000, v2
	v_cmp_ne_u32_e32 vcc_lo, 0x7f800000, v3
                                        ; implicit-def: $vgpr3
	s_and_saveexec_b32 s5, vcc_lo
	s_xor_b32 s5, exec_lo, s5
; %bb.158:
	v_bfe_u32 v3, v2, 16, 1
	v_add3_u32 v3, v2, v3, 0x7fff
                                        ; implicit-def: $vgpr2
; %bb.159:
	s_andn2_saveexec_b32 s5, s5
; %bb.160:
	v_mov_b32_e32 v3, 0
	v_or_b32_e32 v11, 0x10000, v2
	v_cmp_eq_u32_sdwa vcc_lo, v2, v3 src0_sel:WORD_0 src1_sel:DWORD
	v_cndmask_b32_e32 v3, v11, v2, vcc_lo
; %bb.161:
	s_or_b32 exec_lo, exec_lo, s5
	v_and_b32_e32 v2, 0xffff0000, v3
	s_mov_b32 s5, exec_lo
	v_fmac_f32_e32 v2, s4, v10
                                        ; implicit-def: $vgpr10
	v_and_b32_e32 v3, 0x7f800000, v2
	v_cmpx_ne_u32_e32 0x7f800000, v3
	s_xor_b32 s5, exec_lo, s5
; %bb.162:
	v_bfe_u32 v3, v2, 16, 1
	v_add3_u32 v10, v2, v3, 0x7fff
                                        ; implicit-def: $vgpr2
; %bb.163:
	s_andn2_saveexec_b32 s5, s5
; %bb.164:
	v_mov_b32_e32 v3, 0
	v_or_b32_e32 v10, 0x10000, v2
	v_cmp_eq_u32_sdwa vcc_lo, v2, v3 src0_sel:WORD_0 src1_sel:DWORD
	v_cndmask_b32_e32 v10, v10, v2, vcc_lo
; %bb.165:
	s_or_b32 exec_lo, exec_lo, s5
	v_add_co_u32 v2, vcc_lo, v14, s2
	v_add_co_ci_u32_e64 v3, null, s3, v15, vcc_lo
	flat_store_short_d16_hi v[4:5], v10 offset:96
	v_add_co_u32 v2, vcc_lo, v2, v0
	v_add_co_ci_u32_e64 v3, null, v3, v1, vcc_lo
	flat_load_ushort v4, v[2:3]
	s_waitcnt vmcnt(0) lgkmcnt(0)
	v_lshlrev_b32_e32 v4, 16, v4
	v_mul_f32_e32 v4, s8, v4
	v_and_b32_e32 v5, 0x7f800000, v4
	v_cmp_ne_u32_e32 vcc_lo, 0x7f800000, v5
                                        ; implicit-def: $vgpr5
	s_and_saveexec_b32 s2, vcc_lo
	s_xor_b32 s2, exec_lo, s2
; %bb.166:
	v_bfe_u32 v5, v4, 16, 1
	v_add3_u32 v5, v4, v5, 0x7fff
                                        ; implicit-def: $vgpr4
; %bb.167:
	s_andn2_saveexec_b32 s2, s2
; %bb.168:
	v_mov_b32_e32 v5, 0
	v_or_b32_e32 v10, 0x10000, v4
	v_cmp_eq_u32_sdwa vcc_lo, v4, v5 src0_sel:WORD_0 src1_sel:DWORD
	v_cndmask_b32_e32 v5, v10, v4, vcc_lo
; %bb.169:
	s_or_b32 exec_lo, exec_lo, s2
	v_and_b32_e32 v5, 0xffff0000, v5
	v_fmac_f32_e32 v5, s4, v9
	v_and_b32_e32 v4, 0x7f800000, v5
	v_cmp_ne_u32_e32 vcc_lo, 0x7f800000, v4
                                        ; implicit-def: $vgpr4
	s_and_saveexec_b32 s2, vcc_lo
	s_xor_b32 s2, exec_lo, s2
; %bb.170:
	v_bfe_u32 v4, v5, 16, 1
	v_add3_u32 v4, v5, v4, 0x7fff
                                        ; implicit-def: $vgpr5
; %bb.171:
	s_andn2_saveexec_b32 s2, s2
; %bb.172:
	v_mov_b32_e32 v4, 0
	v_or_b32_e32 v9, 0x10000, v5
	v_cmp_eq_u32_sdwa vcc_lo, v5, v4 src0_sel:WORD_0 src1_sel:DWORD
	v_cndmask_b32_e32 v4, v9, v5, vcc_lo
; %bb.173:
	s_or_b32 exec_lo, exec_lo, s2
	v_add_co_u32 v5, vcc_lo, v13, s0
	v_add_co_ci_u32_e64 v9, null, s1, v16, vcc_lo
	v_add_co_u32 v0, vcc_lo, v5, v0
	v_add_co_ci_u32_e64 v1, null, v9, v1, vcc_lo
	flat_store_short_d16_hi v[0:1], v4
	flat_load_ushort v4, v[2:3] offset:32
	s_waitcnt vmcnt(0) lgkmcnt(0)
	v_lshlrev_b32_e32 v4, 16, v4
	v_mul_f32_e32 v4, s8, v4
	v_and_b32_e32 v5, 0x7f800000, v4
	v_cmp_ne_u32_e32 vcc_lo, 0x7f800000, v5
                                        ; implicit-def: $vgpr5
	s_and_saveexec_b32 s0, vcc_lo
	s_xor_b32 s0, exec_lo, s0
; %bb.174:
	v_bfe_u32 v5, v4, 16, 1
	v_add3_u32 v5, v4, v5, 0x7fff
                                        ; implicit-def: $vgpr4
; %bb.175:
	s_andn2_saveexec_b32 s0, s0
; %bb.176:
	v_mov_b32_e32 v5, 0
	v_or_b32_e32 v9, 0x10000, v4
	v_cmp_eq_u32_sdwa vcc_lo, v4, v5 src0_sel:WORD_0 src1_sel:DWORD
	v_cndmask_b32_e32 v5, v9, v4, vcc_lo
; %bb.177:
	s_or_b32 exec_lo, exec_lo, s0
	v_and_b32_e32 v4, 0xffff0000, v5
	v_fmac_f32_e32 v4, s4, v8
	v_and_b32_e32 v5, 0x7f800000, v4
	v_cmp_ne_u32_e32 vcc_lo, 0x7f800000, v5
                                        ; implicit-def: $vgpr5
	s_and_saveexec_b32 s0, vcc_lo
	s_xor_b32 s0, exec_lo, s0
; %bb.178:
	v_bfe_u32 v5, v4, 16, 1
	v_add3_u32 v5, v4, v5, 0x7fff
                                        ; implicit-def: $vgpr4
; %bb.179:
	s_andn2_saveexec_b32 s0, s0
; %bb.180:
	v_mov_b32_e32 v5, 0
	v_or_b32_e32 v8, 0x10000, v4
	v_cmp_eq_u32_sdwa vcc_lo, v4, v5 src0_sel:WORD_0 src1_sel:DWORD
	v_cndmask_b32_e32 v5, v8, v4, vcc_lo
; %bb.181:
	s_or_b32 exec_lo, exec_lo, s0
	flat_store_short_d16_hi v[0:1], v5 offset:32
	flat_load_ushort v4, v[2:3] offset:64
	s_waitcnt vmcnt(0) lgkmcnt(0)
	v_lshlrev_b32_e32 v4, 16, v4
	v_mul_f32_e32 v4, s8, v4
	v_and_b32_e32 v5, 0x7f800000, v4
	v_cmp_ne_u32_e32 vcc_lo, 0x7f800000, v5
                                        ; implicit-def: $vgpr5
	s_and_saveexec_b32 s0, vcc_lo
	s_xor_b32 s0, exec_lo, s0
; %bb.182:
	v_bfe_u32 v5, v4, 16, 1
	v_add3_u32 v5, v4, v5, 0x7fff
                                        ; implicit-def: $vgpr4
; %bb.183:
	s_andn2_saveexec_b32 s0, s0
; %bb.184:
	v_mov_b32_e32 v5, 0
	v_or_b32_e32 v8, 0x10000, v4
	v_cmp_eq_u32_sdwa vcc_lo, v4, v5 src0_sel:WORD_0 src1_sel:DWORD
	v_cndmask_b32_e32 v5, v8, v4, vcc_lo
; %bb.185:
	s_or_b32 exec_lo, exec_lo, s0
	v_and_b32_e32 v4, 0xffff0000, v5
	v_fmac_f32_e32 v4, s4, v7
	v_and_b32_e32 v5, 0x7f800000, v4
	v_cmp_ne_u32_e32 vcc_lo, 0x7f800000, v5
                                        ; implicit-def: $vgpr5
	s_and_saveexec_b32 s0, vcc_lo
	s_xor_b32 s0, exec_lo, s0
; %bb.186:
	v_bfe_u32 v5, v4, 16, 1
	v_add3_u32 v5, v4, v5, 0x7fff
                                        ; implicit-def: $vgpr4
; %bb.187:
	s_andn2_saveexec_b32 s0, s0
; %bb.188:
	v_mov_b32_e32 v5, 0
	v_or_b32_e32 v7, 0x10000, v4
	v_cmp_eq_u32_sdwa vcc_lo, v4, v5 src0_sel:WORD_0 src1_sel:DWORD
	v_cndmask_b32_e32 v5, v7, v4, vcc_lo
; %bb.189:
	s_or_b32 exec_lo, exec_lo, s0
	flat_store_short_d16_hi v[0:1], v5 offset:64
	flat_load_ushort v2, v[2:3] offset:96
	s_waitcnt vmcnt(0) lgkmcnt(0)
	v_lshlrev_b32_e32 v2, 16, v2
	v_mul_f32_e32 v2, s8, v2
	v_and_b32_e32 v3, 0x7f800000, v2
	v_cmp_ne_u32_e32 vcc_lo, 0x7f800000, v3
                                        ; implicit-def: $vgpr3
	s_and_saveexec_b32 s0, vcc_lo
	s_xor_b32 s0, exec_lo, s0
; %bb.190:
	v_bfe_u32 v3, v2, 16, 1
	v_add3_u32 v3, v2, v3, 0x7fff
                                        ; implicit-def: $vgpr2
; %bb.191:
	s_andn2_saveexec_b32 s0, s0
; %bb.192:
	v_mov_b32_e32 v3, 0
	v_or_b32_e32 v4, 0x10000, v2
	v_cmp_eq_u32_sdwa vcc_lo, v2, v3 src0_sel:WORD_0 src1_sel:DWORD
	v_cndmask_b32_e32 v3, v4, v2, vcc_lo
; %bb.193:
	s_or_b32 exec_lo, exec_lo, s0
	v_and_b32_e32 v2, 0xffff0000, v3
	v_fmac_f32_e32 v2, s4, v6
	v_and_b32_e32 v3, 0x7f800000, v2
	v_cmp_ne_u32_e32 vcc_lo, 0x7f800000, v3
                                        ; implicit-def: $vgpr3
	s_and_saveexec_b32 s0, vcc_lo
	s_xor_b32 s0, exec_lo, s0
	s_cbranch_execnz .LBB141_198
; %bb.194:
	s_andn2_saveexec_b32 s0, s0
	s_cbranch_execnz .LBB141_199
.LBB141_195:
	s_or_b32 exec_lo, exec_lo, s0
	flat_store_short_d16_hi v[0:1], v3 offset:96
	s_endpgm
.LBB141_196:
	s_cbranch_execnz .LBB141_69
.LBB141_197:
	s_endpgm
.LBB141_198:
	v_bfe_u32 v3, v2, 16, 1
	v_add3_u32 v3, v2, v3, 0x7fff
                                        ; implicit-def: $vgpr2
	s_andn2_saveexec_b32 s0, s0
	s_cbranch_execz .LBB141_195
.LBB141_199:
	v_mov_b32_e32 v3, 0
	v_or_b32_e32 v4, 0x10000, v2
	v_cmp_eq_u32_sdwa vcc_lo, v2, v3 src0_sel:WORD_0 src1_sel:DWORD
	v_cndmask_b32_e32 v3, v4, v2, vcc_lo
	s_or_b32 exec_lo, exec_lo, s0
	flat_store_short_d16_hi v[0:1], v3 offset:96
	s_endpgm
	.section	.rodata,"a",@progbits
	.p2align	6, 0x0
	.amdhsa_kernel _ZN12_GLOBAL__N_127rocblas_gemm_batched_kernelIfLi16ELi16ELi64ELi64ELi4ELi64ELi4ELi4ELi64ELc84ELc78EKPK16rocblas_bfloat16S4_KPS1_EEvlllT_PT11_llS9_llS7_PT12_llPT13_lli
		.amdhsa_group_segment_fixed_size 2048
		.amdhsa_private_segment_fixed_size 0
		.amdhsa_kernarg_size 140
		.amdhsa_user_sgpr_count 6
		.amdhsa_user_sgpr_private_segment_buffer 1
		.amdhsa_user_sgpr_dispatch_ptr 0
		.amdhsa_user_sgpr_queue_ptr 0
		.amdhsa_user_sgpr_kernarg_segment_ptr 1
		.amdhsa_user_sgpr_dispatch_id 0
		.amdhsa_user_sgpr_flat_scratch_init 0
		.amdhsa_user_sgpr_private_segment_size 0
		.amdhsa_wavefront_size32 1
		.amdhsa_uses_dynamic_stack 0
		.amdhsa_system_sgpr_private_segment_wavefront_offset 0
		.amdhsa_system_sgpr_workgroup_id_x 1
		.amdhsa_system_sgpr_workgroup_id_y 1
		.amdhsa_system_sgpr_workgroup_id_z 1
		.amdhsa_system_sgpr_workgroup_info 0
		.amdhsa_system_vgpr_workitem_id 1
		.amdhsa_next_free_vgpr 58
		.amdhsa_next_free_sgpr 36
		.amdhsa_reserve_vcc 1
		.amdhsa_reserve_flat_scratch 0
		.amdhsa_float_round_mode_32 0
		.amdhsa_float_round_mode_16_64 0
		.amdhsa_float_denorm_mode_32 3
		.amdhsa_float_denorm_mode_16_64 3
		.amdhsa_dx10_clamp 1
		.amdhsa_ieee_mode 1
		.amdhsa_fp16_overflow 0
		.amdhsa_workgroup_processor_mode 1
		.amdhsa_memory_ordered 1
		.amdhsa_forward_progress 1
		.amdhsa_shared_vgpr_count 0
		.amdhsa_exception_fp_ieee_invalid_op 0
		.amdhsa_exception_fp_denorm_src 0
		.amdhsa_exception_fp_ieee_div_zero 0
		.amdhsa_exception_fp_ieee_overflow 0
		.amdhsa_exception_fp_ieee_underflow 0
		.amdhsa_exception_fp_ieee_inexact 0
		.amdhsa_exception_int_div_zero 0
	.end_amdhsa_kernel
	.section	.text._ZN12_GLOBAL__N_127rocblas_gemm_batched_kernelIfLi16ELi16ELi64ELi64ELi4ELi64ELi4ELi4ELi64ELc84ELc78EKPK16rocblas_bfloat16S4_KPS1_EEvlllT_PT11_llS9_llS7_PT12_llPT13_lli,"axG",@progbits,_ZN12_GLOBAL__N_127rocblas_gemm_batched_kernelIfLi16ELi16ELi64ELi64ELi4ELi64ELi4ELi4ELi64ELc84ELc78EKPK16rocblas_bfloat16S4_KPS1_EEvlllT_PT11_llS9_llS7_PT12_llPT13_lli,comdat
.Lfunc_end141:
	.size	_ZN12_GLOBAL__N_127rocblas_gemm_batched_kernelIfLi16ELi16ELi64ELi64ELi4ELi64ELi4ELi4ELi64ELc84ELc78EKPK16rocblas_bfloat16S4_KPS1_EEvlllT_PT11_llS9_llS7_PT12_llPT13_lli, .Lfunc_end141-_ZN12_GLOBAL__N_127rocblas_gemm_batched_kernelIfLi16ELi16ELi64ELi64ELi4ELi64ELi4ELi4ELi64ELc84ELc78EKPK16rocblas_bfloat16S4_KPS1_EEvlllT_PT11_llS9_llS7_PT12_llPT13_lli
                                        ; -- End function
	.set _ZN12_GLOBAL__N_127rocblas_gemm_batched_kernelIfLi16ELi16ELi64ELi64ELi4ELi64ELi4ELi4ELi64ELc84ELc78EKPK16rocblas_bfloat16S4_KPS1_EEvlllT_PT11_llS9_llS7_PT12_llPT13_lli.num_vgpr, 58
	.set _ZN12_GLOBAL__N_127rocblas_gemm_batched_kernelIfLi16ELi16ELi64ELi64ELi4ELi64ELi4ELi4ELi64ELc84ELc78EKPK16rocblas_bfloat16S4_KPS1_EEvlllT_PT11_llS9_llS7_PT12_llPT13_lli.num_agpr, 0
	.set _ZN12_GLOBAL__N_127rocblas_gemm_batched_kernelIfLi16ELi16ELi64ELi64ELi4ELi64ELi4ELi4ELi64ELc84ELc78EKPK16rocblas_bfloat16S4_KPS1_EEvlllT_PT11_llS9_llS7_PT12_llPT13_lli.numbered_sgpr, 36
	.set _ZN12_GLOBAL__N_127rocblas_gemm_batched_kernelIfLi16ELi16ELi64ELi64ELi4ELi64ELi4ELi4ELi64ELc84ELc78EKPK16rocblas_bfloat16S4_KPS1_EEvlllT_PT11_llS9_llS7_PT12_llPT13_lli.num_named_barrier, 0
	.set _ZN12_GLOBAL__N_127rocblas_gemm_batched_kernelIfLi16ELi16ELi64ELi64ELi4ELi64ELi4ELi4ELi64ELc84ELc78EKPK16rocblas_bfloat16S4_KPS1_EEvlllT_PT11_llS9_llS7_PT12_llPT13_lli.private_seg_size, 0
	.set _ZN12_GLOBAL__N_127rocblas_gemm_batched_kernelIfLi16ELi16ELi64ELi64ELi4ELi64ELi4ELi4ELi64ELc84ELc78EKPK16rocblas_bfloat16S4_KPS1_EEvlllT_PT11_llS9_llS7_PT12_llPT13_lli.uses_vcc, 1
	.set _ZN12_GLOBAL__N_127rocblas_gemm_batched_kernelIfLi16ELi16ELi64ELi64ELi4ELi64ELi4ELi4ELi64ELc84ELc78EKPK16rocblas_bfloat16S4_KPS1_EEvlllT_PT11_llS9_llS7_PT12_llPT13_lli.uses_flat_scratch, 0
	.set _ZN12_GLOBAL__N_127rocblas_gemm_batched_kernelIfLi16ELi16ELi64ELi64ELi4ELi64ELi4ELi4ELi64ELc84ELc78EKPK16rocblas_bfloat16S4_KPS1_EEvlllT_PT11_llS9_llS7_PT12_llPT13_lli.has_dyn_sized_stack, 0
	.set _ZN12_GLOBAL__N_127rocblas_gemm_batched_kernelIfLi16ELi16ELi64ELi64ELi4ELi64ELi4ELi4ELi64ELc84ELc78EKPK16rocblas_bfloat16S4_KPS1_EEvlllT_PT11_llS9_llS7_PT12_llPT13_lli.has_recursion, 0
	.set _ZN12_GLOBAL__N_127rocblas_gemm_batched_kernelIfLi16ELi16ELi64ELi64ELi4ELi64ELi4ELi4ELi64ELc84ELc78EKPK16rocblas_bfloat16S4_KPS1_EEvlllT_PT11_llS9_llS7_PT12_llPT13_lli.has_indirect_call, 0
	.section	.AMDGPU.csdata,"",@progbits
; Kernel info:
; codeLenInByte = 6272
; TotalNumSgprs: 38
; NumVgprs: 58
; ScratchSize: 0
; MemoryBound: 0
; FloatMode: 240
; IeeeMode: 1
; LDSByteSize: 2048 bytes/workgroup (compile time only)
; SGPRBlocks: 0
; VGPRBlocks: 7
; NumSGPRsForWavesPerEU: 38
; NumVGPRsForWavesPerEU: 58
; Occupancy: 16
; WaveLimiterHint : 1
; COMPUTE_PGM_RSRC2:SCRATCH_EN: 0
; COMPUTE_PGM_RSRC2:USER_SGPR: 6
; COMPUTE_PGM_RSRC2:TRAP_HANDLER: 0
; COMPUTE_PGM_RSRC2:TGID_X_EN: 1
; COMPUTE_PGM_RSRC2:TGID_Y_EN: 1
; COMPUTE_PGM_RSRC2:TGID_Z_EN: 1
; COMPUTE_PGM_RSRC2:TIDIG_COMP_CNT: 1
	.section	.text._ZN12_GLOBAL__N_127rocblas_gemm_batched_kernelIfLi16ELi16ELi64ELi64ELi4ELi64ELi4ELi4ELi64ELc78ELc84EKPK16rocblas_bfloat16S4_KPS1_EEvlllT_PT11_llS9_llS7_PT12_llPT13_lli,"axG",@progbits,_ZN12_GLOBAL__N_127rocblas_gemm_batched_kernelIfLi16ELi16ELi64ELi64ELi4ELi64ELi4ELi4ELi64ELc78ELc84EKPK16rocblas_bfloat16S4_KPS1_EEvlllT_PT11_llS9_llS7_PT12_llPT13_lli,comdat
	.globl	_ZN12_GLOBAL__N_127rocblas_gemm_batched_kernelIfLi16ELi16ELi64ELi64ELi4ELi64ELi4ELi4ELi64ELc78ELc84EKPK16rocblas_bfloat16S4_KPS1_EEvlllT_PT11_llS9_llS7_PT12_llPT13_lli ; -- Begin function _ZN12_GLOBAL__N_127rocblas_gemm_batched_kernelIfLi16ELi16ELi64ELi64ELi4ELi64ELi4ELi4ELi64ELc78ELc84EKPK16rocblas_bfloat16S4_KPS1_EEvlllT_PT11_llS9_llS7_PT12_llPT13_lli
	.p2align	8
	.type	_ZN12_GLOBAL__N_127rocblas_gemm_batched_kernelIfLi16ELi16ELi64ELi64ELi4ELi64ELi4ELi4ELi64ELc78ELc84EKPK16rocblas_bfloat16S4_KPS1_EEvlllT_PT11_llS9_llS7_PT12_llPT13_lli,@function
_ZN12_GLOBAL__N_127rocblas_gemm_batched_kernelIfLi16ELi16ELi64ELi64ELi4ELi64ELi4ELi4ELi64ELc78ELc84EKPK16rocblas_bfloat16S4_KPS1_EEvlllT_PT11_llS9_llS7_PT12_llPT13_lli: ; @_ZN12_GLOBAL__N_127rocblas_gemm_batched_kernelIfLi16ELi16ELi64ELi64ELi4ELi64ELi4ELi4ELi64ELc78ELc84EKPK16rocblas_bfloat16S4_KPS1_EEvlllT_PT11_llS9_llS7_PT12_llPT13_lli
; %bb.0:
	s_clause 0x1
	s_load_dwordx8 s[12:19], s[4:5], 0x58
	s_load_dwordx2 s[28:29], s[4:5], 0x10
	s_mov_b32 s9, 0
	s_load_dwordx4 s[0:3], s[4:5], 0x78
	s_lshl_b64 s[34:35], s[8:9], 3
	s_mov_b32 s10, s7
	v_mov_b32_e32 v21, 0
	v_mov_b32_e32 v20, 0
	;; [unrolled: 1-line block ×14, first 2 shown]
	s_waitcnt lgkmcnt(0)
	s_add_u32 s8, s12, s34
	s_addc_u32 s9, s13, s35
	s_add_u32 s18, s18, s34
	s_addc_u32 s19, s19, s35
	s_load_dwordx2 s[12:13], s[8:9], 0x0
	s_load_dwordx2 s[18:19], s[18:19], 0x0
	v_cmp_lt_i64_e64 s20, s[28:29], 1
	v_mov_b32_e32 v7, 0
	v_mov_b32_e32 v6, 0
	s_ashr_i32 s7, s6, 31
	s_ashr_i32 s11, s10, 31
	s_lshl_b64 s[6:7], s[6:7], 6
	s_and_b32 vcc_lo, exec_lo, s20
	s_lshl_b64 s[30:31], s[10:11], 6
	s_cbranch_vccnz .LBB142_3
; %bb.1:
	s_load_dwordx8 s[20:27], s[4:5], 0x20
	v_lshlrev_b32_e32 v7, 4, v1
	s_load_dwordx4 s[8:11], s[4:5], 0x40
	v_and_b32_e32 v9, 3, v0
	v_mov_b32_e32 v6, 0
	v_lshlrev_b32_e32 v22, 2, v0
	v_add_nc_u32_e32 v2, v7, v0
	v_add_nc_u32_e32 v23, 0x400, v7
	v_lshlrev_b32_e32 v10, 2, v9
	v_mov_b32_e32 v14, 0
	v_mov_b32_e32 v15, 0
	v_lshrrev_b32_e32 v8, 2, v2
	v_and_b32_e32 v11, 63, v2
	v_lshrrev_b32_e32 v12, 6, v2
	v_mov_b32_e32 v16, 0
	v_mov_b32_e32 v17, 0
	v_add_co_u32 v2, s33, v8, s30
	v_add_co_ci_u32_e64 v3, null, 0, s31, s33
	s_waitcnt lgkmcnt(0)
	v_mad_u64_u32 v[4:5], null, s22, v12, s[6:7]
	s_add_u32 s20, s20, s34
	v_mad_u64_u32 v[2:3], null, s8, v9, v[2:3]
	s_addc_u32 s21, s21, s35
	s_add_u32 s26, s26, s34
	s_load_dwordx2 s[20:21], s[20:21], 0x0
	s_addc_u32 s27, s27, s35
	v_lshl_or_b32 v10, v8, 4, v10
	s_load_dwordx2 s[26:27], s[26:27], 0x0
	v_mad_u64_u32 v[7:8], null, s23, v12, v[5:6]
	v_mad_u64_u32 v[8:9], null, s9, v9, v[3:4]
	v_add_co_u32 v4, vcc_lo, v4, v11
	s_lshl_b64 s[24:25], s[24:25], 1
	v_lshlrev_b32_e32 v13, 2, v11
	v_add_co_ci_u32_e64 v5, null, 0, v7, vcc_lo
	v_mov_b32_e32 v3, v8
	v_add_nc_u32_e32 v25, 0x400, v10
	v_lshl_or_b32 v24, v12, 8, v13
	v_lshlrev_b64 v[4:5], 1, v[4:5]
	v_mov_b32_e32 v9, 0
	v_lshlrev_b64 v[7:8], 1, v[2:3]
	s_waitcnt lgkmcnt(0)
	s_add_u32 s24, s20, s24
	s_addc_u32 s25, s21, s25
	s_lshl_b64 s[10:11], s[10:11], 1
	s_lshl_b64 s[20:21], s[22:23], 3
	s_add_u32 s10, s26, s10
	v_add_co_u32 v2, vcc_lo, s24, v4
	v_add_co_ci_u32_e64 v3, null, s25, v5, vcc_lo
	s_addc_u32 s11, s27, s11
	v_add_co_u32 v4, vcc_lo, s10, v7
	v_add_co_ci_u32_e64 v5, null, s11, v8, vcc_lo
	v_mov_b32_e32 v7, 0
	v_mov_b32_e32 v8, 0
	;; [unrolled: 1-line block ×10, first 2 shown]
	s_lshl_b64 s[8:9], s[8:9], 3
	s_mov_b64 s[10:11], 0
.LBB142_2:                              ; =>This Inner Loop Header: Depth=1
	flat_load_ushort v26, v[2:3]
	flat_load_ushort v27, v[4:5]
	s_add_u32 s10, s10, 4
	s_addc_u32 s11, s11, 0
	v_add_co_u32 v2, vcc_lo, v2, s20
	v_cmp_lt_i64_e64 s22, s[10:11], s[28:29]
	v_add_co_ci_u32_e64 v3, null, s21, v3, vcc_lo
	v_add_co_u32 v4, vcc_lo, v4, s8
	v_add_co_ci_u32_e64 v5, null, s9, v5, vcc_lo
	s_and_b32 vcc_lo, exec_lo, s22
	s_waitcnt vmcnt(1) lgkmcnt(1)
	v_lshlrev_b32_e32 v26, 16, v26
	s_waitcnt vmcnt(0) lgkmcnt(0)
	v_lshlrev_b32_e32 v27, 16, v27
	ds_write_b32 v24, v26
	ds_write_b32 v25, v27
	s_waitcnt lgkmcnt(0)
	s_barrier
	buffer_gl0_inv
	ds_read_b128 v[26:29], v23
	ds_read2_b32 v[42:43], v22 offset1:16
	ds_read2_b32 v[44:45], v22 offset0:32 offset1:48
	ds_read_b128 v[30:33], v23 offset:256
	ds_read_b128 v[34:37], v23 offset:512
	;; [unrolled: 1-line block ×3, first 2 shown]
	ds_read2_b32 v[46:47], v22 offset0:64 offset1:80
	ds_read2_b32 v[48:49], v22 offset0:96 offset1:112
	ds_read2_b32 v[50:51], v22 offset0:128 offset1:144
	ds_read2_b32 v[52:53], v22 offset0:160 offset1:176
	ds_read2_b32 v[54:55], v22 offset0:192 offset1:208
	ds_read2_b32 v[56:57], v22 offset0:224 offset1:240
	s_waitcnt lgkmcnt(0)
	s_barrier
	buffer_gl0_inv
	v_fmac_f32_e32 v21, v42, v26
	v_fmac_f32_e32 v20, v43, v26
	;; [unrolled: 1-line block ×64, first 2 shown]
	s_cbranch_vccnz .LBB142_2
.LBB142_3:
	s_clause 0x1
	s_load_dword s8, s[4:5], 0x50
	s_load_dword s4, s[4:5], 0x18
	s_lshl_b64 s[2:3], s[2:3], 1
	s_waitcnt lgkmcnt(0)
	s_add_u32 s5, s18, s2
	v_add_co_u32 v22, s2, s30, v1
	s_addc_u32 s9, s19, s3
	v_add_co_ci_u32_e64 v23, null, s31, 0, s2
	v_add_co_u32 v0, s3, s6, v0
	v_add_co_ci_u32_e64 v1, null, s7, 0, s3
	v_cmp_neq_f32_e64 s2, s8, 0
	s_and_b32 vcc_lo, exec_lo, s2
	s_cbranch_vccnz .LBB142_196
; %bb.4:
	v_mul_f32_e32 v2, s4, v21
	s_mov_b32 s2, exec_lo
                                        ; implicit-def: $vgpr26
	v_and_b32_e32 v3, 0x7f800000, v2
	v_cmpx_ne_u32_e32 0x7f800000, v3
	s_xor_b32 s2, exec_lo, s2
; %bb.5:
	v_bfe_u32 v3, v2, 16, 1
	v_add3_u32 v26, v2, v3, 0x7fff
                                        ; implicit-def: $vgpr2
; %bb.6:
	s_andn2_saveexec_b32 s2, s2
; %bb.7:
	v_mov_b32_e32 v3, 0
	v_or_b32_e32 v4, 0x10000, v2
	v_cmp_eq_u32_sdwa vcc_lo, v2, v3 src0_sel:WORD_0 src1_sel:DWORD
	v_cndmask_b32_e32 v26, v4, v2, vcc_lo
; %bb.8:
	s_or_b32 exec_lo, exec_lo, s2
	v_mul_lo_u32 v4, v23, s0
	v_mul_lo_u32 v5, v22, s1
	v_mad_u64_u32 v[2:3], null, v22, s0, 0
	v_mul_f32_e32 v27, s4, v20
	v_and_b32_e32 v28, 0x7f800000, v27
	v_add3_u32 v3, v3, v5, v4
	v_lshlrev_b64 v[4:5], 1, v[2:3]
	v_lshlrev_b64 v[2:3], 1, v[0:1]
	v_add_co_u32 v24, vcc_lo, s5, v4
	v_add_co_ci_u32_e64 v25, null, s9, v5, vcc_lo
	v_add_co_u32 v4, vcc_lo, v24, v2
	v_add_co_ci_u32_e64 v5, null, v25, v3, vcc_lo
	v_cmp_ne_u32_e32 vcc_lo, 0x7f800000, v28
                                        ; implicit-def: $vgpr28
	flat_store_short_d16_hi v[4:5], v26
	s_and_saveexec_b32 s2, vcc_lo
	s_xor_b32 s2, exec_lo, s2
; %bb.9:
	v_bfe_u32 v26, v27, 16, 1
	v_add3_u32 v28, v27, v26, 0x7fff
                                        ; implicit-def: $vgpr27
; %bb.10:
	s_andn2_saveexec_b32 s2, s2
; %bb.11:
	v_mov_b32_e32 v26, 0
	v_or_b32_e32 v28, 0x10000, v27
	v_cmp_eq_u32_sdwa vcc_lo, v27, v26 src0_sel:WORD_0 src1_sel:DWORD
	v_cndmask_b32_e32 v28, v28, v27, vcc_lo
; %bb.12:
	s_or_b32 exec_lo, exec_lo, s2
	v_mul_f32_e32 v26, s4, v19
	flat_store_short_d16_hi v[4:5], v28 offset:32
	v_and_b32_e32 v27, 0x7f800000, v26
	v_cmp_ne_u32_e32 vcc_lo, 0x7f800000, v27
                                        ; implicit-def: $vgpr27
	s_and_saveexec_b32 s2, vcc_lo
	s_xor_b32 s2, exec_lo, s2
; %bb.13:
	v_bfe_u32 v27, v26, 16, 1
	v_add3_u32 v27, v26, v27, 0x7fff
                                        ; implicit-def: $vgpr26
; %bb.14:
	s_andn2_saveexec_b32 s2, s2
; %bb.15:
	v_mov_b32_e32 v27, 0
	v_or_b32_e32 v28, 0x10000, v26
	v_cmp_eq_u32_sdwa vcc_lo, v26, v27 src0_sel:WORD_0 src1_sel:DWORD
	v_cndmask_b32_e32 v27, v28, v26, vcc_lo
; %bb.16:
	s_or_b32 exec_lo, exec_lo, s2
	v_mul_f32_e32 v26, s4, v18
	flat_store_short_d16_hi v[4:5], v27 offset:64
	v_and_b32_e32 v28, 0x7f800000, v26
	v_cmp_ne_u32_e32 vcc_lo, 0x7f800000, v28
                                        ; implicit-def: $vgpr28
	s_and_saveexec_b32 s2, vcc_lo
	s_xor_b32 s2, exec_lo, s2
; %bb.17:
	v_bfe_u32 v27, v26, 16, 1
	v_add3_u32 v28, v26, v27, 0x7fff
                                        ; implicit-def: $vgpr26
; %bb.18:
	s_andn2_saveexec_b32 s2, s2
; %bb.19:
	v_mov_b32_e32 v27, 0
	v_or_b32_e32 v28, 0x10000, v26
	v_cmp_eq_u32_sdwa vcc_lo, v26, v27 src0_sel:WORD_0 src1_sel:DWORD
	v_cndmask_b32_e32 v28, v28, v26, vcc_lo
; %bb.20:
	s_or_b32 exec_lo, exec_lo, s2
	v_mul_f32_e32 v27, s4, v17
	flat_store_short_d16_hi v[4:5], v28 offset:96
	v_and_b32_e32 v26, 0x7f800000, v27
	v_cmp_ne_u32_e32 vcc_lo, 0x7f800000, v26
                                        ; implicit-def: $vgpr26
	s_and_saveexec_b32 s2, vcc_lo
	s_xor_b32 s2, exec_lo, s2
; %bb.21:
	v_bfe_u32 v4, v27, 16, 1
	v_add3_u32 v26, v27, v4, 0x7fff
                                        ; implicit-def: $vgpr27
; %bb.22:
	s_andn2_saveexec_b32 s2, s2
; %bb.23:
	v_mov_b32_e32 v4, 0
	v_or_b32_e32 v5, 0x10000, v27
	v_cmp_eq_u32_sdwa vcc_lo, v27, v4 src0_sel:WORD_0 src1_sel:DWORD
	v_cndmask_b32_e32 v26, v5, v27, vcc_lo
; %bb.24:
	s_or_b32 exec_lo, exec_lo, s2
	v_mul_f32_e32 v27, s4, v16
	s_lshl_b64 s[2:3], s[0:1], 5
	v_add_co_u32 v24, vcc_lo, v24, s2
	v_add_co_ci_u32_e64 v25, null, s3, v25, vcc_lo
	v_and_b32_e32 v28, 0x7f800000, v27
	v_add_co_u32 v4, vcc_lo, v24, v2
	v_add_co_ci_u32_e64 v5, null, v25, v3, vcc_lo
	v_cmp_ne_u32_e32 vcc_lo, 0x7f800000, v28
                                        ; implicit-def: $vgpr28
	flat_store_short_d16_hi v[4:5], v26
	s_and_saveexec_b32 s2, vcc_lo
	s_xor_b32 s2, exec_lo, s2
; %bb.25:
	v_bfe_u32 v26, v27, 16, 1
	v_add3_u32 v28, v27, v26, 0x7fff
                                        ; implicit-def: $vgpr27
; %bb.26:
	s_andn2_saveexec_b32 s2, s2
; %bb.27:
	v_mov_b32_e32 v26, 0
	v_or_b32_e32 v28, 0x10000, v27
	v_cmp_eq_u32_sdwa vcc_lo, v27, v26 src0_sel:WORD_0 src1_sel:DWORD
	v_cndmask_b32_e32 v28, v28, v27, vcc_lo
; %bb.28:
	s_or_b32 exec_lo, exec_lo, s2
	v_mul_f32_e32 v26, s4, v15
	flat_store_short_d16_hi v[4:5], v28 offset:32
	v_and_b32_e32 v27, 0x7f800000, v26
	v_cmp_ne_u32_e32 vcc_lo, 0x7f800000, v27
                                        ; implicit-def: $vgpr27
	s_and_saveexec_b32 s2, vcc_lo
	s_xor_b32 s2, exec_lo, s2
; %bb.29:
	v_bfe_u32 v27, v26, 16, 1
	v_add3_u32 v27, v26, v27, 0x7fff
                                        ; implicit-def: $vgpr26
; %bb.30:
	s_andn2_saveexec_b32 s2, s2
; %bb.31:
	v_mov_b32_e32 v27, 0
	v_or_b32_e32 v28, 0x10000, v26
	v_cmp_eq_u32_sdwa vcc_lo, v26, v27 src0_sel:WORD_0 src1_sel:DWORD
	v_cndmask_b32_e32 v27, v28, v26, vcc_lo
; %bb.32:
	s_or_b32 exec_lo, exec_lo, s2
	v_mul_f32_e32 v26, s4, v14
	flat_store_short_d16_hi v[4:5], v27 offset:64
	v_and_b32_e32 v28, 0x7f800000, v26
	v_cmp_ne_u32_e32 vcc_lo, 0x7f800000, v28
                                        ; implicit-def: $vgpr28
	s_and_saveexec_b32 s2, vcc_lo
	s_xor_b32 s2, exec_lo, s2
; %bb.33:
	v_bfe_u32 v27, v26, 16, 1
	v_add3_u32 v28, v26, v27, 0x7fff
                                        ; implicit-def: $vgpr26
; %bb.34:
	s_andn2_saveexec_b32 s2, s2
; %bb.35:
	v_mov_b32_e32 v27, 0
	v_or_b32_e32 v28, 0x10000, v26
	v_cmp_eq_u32_sdwa vcc_lo, v26, v27 src0_sel:WORD_0 src1_sel:DWORD
	v_cndmask_b32_e32 v28, v28, v26, vcc_lo
; %bb.36:
	s_or_b32 exec_lo, exec_lo, s2
	v_mul_f32_e32 v27, s4, v13
	flat_store_short_d16_hi v[4:5], v28 offset:96
	v_and_b32_e32 v26, 0x7f800000, v27
	v_cmp_ne_u32_e32 vcc_lo, 0x7f800000, v26
                                        ; implicit-def: $vgpr26
	s_and_saveexec_b32 s2, vcc_lo
	s_xor_b32 s2, exec_lo, s2
; %bb.37:
	v_bfe_u32 v4, v27, 16, 1
	v_add3_u32 v26, v27, v4, 0x7fff
                                        ; implicit-def: $vgpr27
; %bb.38:
	s_or_saveexec_b32 s6, s2
	s_lshl_b64 s[2:3], s[0:1], 4
	s_xor_b32 exec_lo, exec_lo, s6
; %bb.39:
	v_mov_b32_e32 v4, 0
	v_or_b32_e32 v5, 0x10000, v27
	v_cmp_eq_u32_sdwa vcc_lo, v27, v4 src0_sel:WORD_0 src1_sel:DWORD
	v_cndmask_b32_e32 v26, v5, v27, vcc_lo
; %bb.40:
	s_or_b32 exec_lo, exec_lo, s6
	v_mul_f32_e32 v27, s4, v12
	s_lshl_b64 s[2:3], s[2:3], 1
	v_add_co_u32 v24, vcc_lo, v24, s2
	v_add_co_ci_u32_e64 v25, null, s3, v25, vcc_lo
	v_and_b32_e32 v28, 0x7f800000, v27
	v_add_co_u32 v4, vcc_lo, v24, v2
	v_add_co_ci_u32_e64 v5, null, v25, v3, vcc_lo
	v_cmp_ne_u32_e32 vcc_lo, 0x7f800000, v28
                                        ; implicit-def: $vgpr28
	flat_store_short_d16_hi v[4:5], v26
	s_and_saveexec_b32 s6, vcc_lo
	s_xor_b32 s6, exec_lo, s6
; %bb.41:
	v_bfe_u32 v26, v27, 16, 1
	v_add3_u32 v28, v27, v26, 0x7fff
                                        ; implicit-def: $vgpr27
; %bb.42:
	s_andn2_saveexec_b32 s6, s6
; %bb.43:
	v_mov_b32_e32 v26, 0
	v_or_b32_e32 v28, 0x10000, v27
	v_cmp_eq_u32_sdwa vcc_lo, v27, v26 src0_sel:WORD_0 src1_sel:DWORD
	v_cndmask_b32_e32 v28, v28, v27, vcc_lo
; %bb.44:
	s_or_b32 exec_lo, exec_lo, s6
	v_mul_f32_e32 v26, s4, v11
	flat_store_short_d16_hi v[4:5], v28 offset:32
	v_and_b32_e32 v27, 0x7f800000, v26
	v_cmp_ne_u32_e32 vcc_lo, 0x7f800000, v27
                                        ; implicit-def: $vgpr27
	s_and_saveexec_b32 s6, vcc_lo
	s_xor_b32 s6, exec_lo, s6
; %bb.45:
	v_bfe_u32 v27, v26, 16, 1
	v_add3_u32 v27, v26, v27, 0x7fff
                                        ; implicit-def: $vgpr26
; %bb.46:
	s_andn2_saveexec_b32 s6, s6
; %bb.47:
	v_mov_b32_e32 v27, 0
	v_or_b32_e32 v28, 0x10000, v26
	v_cmp_eq_u32_sdwa vcc_lo, v26, v27 src0_sel:WORD_0 src1_sel:DWORD
	v_cndmask_b32_e32 v27, v28, v26, vcc_lo
; %bb.48:
	s_or_b32 exec_lo, exec_lo, s6
	v_mul_f32_e32 v26, s4, v10
	s_mov_b32 s6, exec_lo
	flat_store_short_d16_hi v[4:5], v27 offset:64
                                        ; implicit-def: $vgpr27
	v_and_b32_e32 v28, 0x7f800000, v26
	v_cmpx_ne_u32_e32 0x7f800000, v28
	s_xor_b32 s6, exec_lo, s6
; %bb.49:
	v_bfe_u32 v27, v26, 16, 1
	v_add3_u32 v27, v26, v27, 0x7fff
                                        ; implicit-def: $vgpr26
; %bb.50:
	s_andn2_saveexec_b32 s6, s6
; %bb.51:
	v_mov_b32_e32 v27, 0
	v_or_b32_e32 v28, 0x10000, v26
	v_cmp_eq_u32_sdwa vcc_lo, v26, v27 src0_sel:WORD_0 src1_sel:DWORD
	v_cndmask_b32_e32 v27, v28, v26, vcc_lo
; %bb.52:
	s_or_b32 exec_lo, exec_lo, s6
	v_mul_f32_e32 v26, s4, v9
	s_mov_b32 s6, exec_lo
	flat_store_short_d16_hi v[4:5], v27 offset:96
                                        ; implicit-def: $vgpr4
	v_and_b32_e32 v28, 0x7f800000, v26
	v_cmpx_ne_u32_e32 0x7f800000, v28
	s_xor_b32 s6, exec_lo, s6
; %bb.53:
	v_bfe_u32 v4, v26, 16, 1
	v_add3_u32 v4, v26, v4, 0x7fff
                                        ; implicit-def: $vgpr26
; %bb.54:
	s_andn2_saveexec_b32 s6, s6
; %bb.55:
	v_mov_b32_e32 v4, 0
	v_or_b32_e32 v5, 0x10000, v26
	v_cmp_eq_u32_sdwa vcc_lo, v26, v4 src0_sel:WORD_0 src1_sel:DWORD
	v_cndmask_b32_e32 v4, v5, v26, vcc_lo
; %bb.56:
	s_or_b32 exec_lo, exec_lo, s6
	v_add_co_u32 v24, vcc_lo, v24, s2
	v_mul_f32_e32 v5, s4, v8
	v_add_co_ci_u32_e64 v25, null, s3, v25, vcc_lo
	v_add_co_u32 v2, vcc_lo, v24, v2
	v_and_b32_e32 v26, 0x7f800000, v5
	v_add_co_ci_u32_e64 v3, null, v25, v3, vcc_lo
	s_mov_b32 s2, exec_lo
                                        ; implicit-def: $vgpr24
	flat_store_short_d16_hi v[2:3], v4
	v_cmpx_ne_u32_e32 0x7f800000, v26
	s_xor_b32 s2, exec_lo, s2
; %bb.57:
	v_bfe_u32 v4, v5, 16, 1
	v_add3_u32 v24, v5, v4, 0x7fff
                                        ; implicit-def: $vgpr5
; %bb.58:
	s_andn2_saveexec_b32 s2, s2
; %bb.59:
	v_mov_b32_e32 v4, 0
	v_or_b32_e32 v24, 0x10000, v5
	v_cmp_eq_u32_sdwa vcc_lo, v5, v4 src0_sel:WORD_0 src1_sel:DWORD
	v_cndmask_b32_e32 v24, v24, v5, vcc_lo
; %bb.60:
	s_or_b32 exec_lo, exec_lo, s2
	v_mul_f32_e32 v4, s4, v7
	flat_store_short_d16_hi v[2:3], v24 offset:32
	v_and_b32_e32 v5, 0x7f800000, v4
	v_cmp_ne_u32_e32 vcc_lo, 0x7f800000, v5
                                        ; implicit-def: $vgpr5
	s_and_saveexec_b32 s2, vcc_lo
	s_xor_b32 s2, exec_lo, s2
; %bb.61:
	v_bfe_u32 v5, v4, 16, 1
	v_add3_u32 v5, v4, v5, 0x7fff
                                        ; implicit-def: $vgpr4
; %bb.62:
	s_andn2_saveexec_b32 s2, s2
; %bb.63:
	v_mov_b32_e32 v5, 0
	v_or_b32_e32 v24, 0x10000, v4
	v_cmp_eq_u32_sdwa vcc_lo, v4, v5 src0_sel:WORD_0 src1_sel:DWORD
	v_cndmask_b32_e32 v5, v24, v4, vcc_lo
; %bb.64:
	s_or_b32 exec_lo, exec_lo, s2
	v_mul_f32_e32 v4, s4, v6
	s_mov_b32 s2, exec_lo
	flat_store_short_d16_hi v[2:3], v5 offset:64
                                        ; implicit-def: $vgpr5
	v_and_b32_e32 v24, 0x7f800000, v4
	v_cmpx_ne_u32_e32 0x7f800000, v24
	s_xor_b32 s2, exec_lo, s2
; %bb.65:
	v_bfe_u32 v5, v4, 16, 1
	v_add3_u32 v5, v4, v5, 0x7fff
                                        ; implicit-def: $vgpr4
; %bb.66:
	s_andn2_saveexec_b32 s2, s2
; %bb.67:
	v_mov_b32_e32 v5, 0
	v_or_b32_e32 v24, 0x10000, v4
	v_cmp_eq_u32_sdwa vcc_lo, v4, v5 src0_sel:WORD_0 src1_sel:DWORD
	v_cndmask_b32_e32 v5, v24, v4, vcc_lo
; %bb.68:
	s_or_b32 exec_lo, exec_lo, s2
	flat_store_short_d16_hi v[2:3], v5 offset:96
	s_branch .LBB142_197
.LBB142_69:
	v_mul_lo_u32 v4, v23, s14
	v_mul_lo_u32 v5, v22, s15
	v_mad_u64_u32 v[2:3], null, v22, s14, 0
	s_lshl_b64 s[2:3], s[16:17], 1
	v_lshlrev_b64 v[0:1], 1, v[0:1]
	s_add_u32 s2, s12, s2
	s_addc_u32 s3, s13, s3
	v_add3_u32 v3, v3, v5, v4
	v_lshlrev_b64 v[2:3], 1, v[2:3]
	v_add_co_u32 v24, vcc_lo, s2, v2
	v_add_co_ci_u32_e64 v25, null, s3, v3, vcc_lo
	v_add_co_u32 v2, vcc_lo, v24, v0
	v_add_co_ci_u32_e64 v3, null, v25, v1, vcc_lo
	flat_load_ushort v4, v[2:3]
	s_waitcnt vmcnt(0) lgkmcnt(0)
	v_lshlrev_b32_e32 v4, 16, v4
	v_mul_f32_e32 v4, s8, v4
	v_and_b32_e32 v5, 0x7f800000, v4
	v_cmp_ne_u32_e32 vcc_lo, 0x7f800000, v5
                                        ; implicit-def: $vgpr5
	s_and_saveexec_b32 s2, vcc_lo
	s_xor_b32 s2, exec_lo, s2
; %bb.70:
	v_bfe_u32 v5, v4, 16, 1
	v_add3_u32 v5, v4, v5, 0x7fff
                                        ; implicit-def: $vgpr4
; %bb.71:
	s_andn2_saveexec_b32 s2, s2
; %bb.72:
	v_mov_b32_e32 v5, 0
	v_or_b32_e32 v26, 0x10000, v4
	v_cmp_eq_u32_sdwa vcc_lo, v4, v5 src0_sel:WORD_0 src1_sel:DWORD
	v_cndmask_b32_e32 v5, v26, v4, vcc_lo
; %bb.73:
	s_or_b32 exec_lo, exec_lo, s2
	v_and_b32_e32 v4, 0xffff0000, v5
	s_mov_b32 s2, exec_lo
                                        ; implicit-def: $vgpr26
	v_fmac_f32_e32 v4, s4, v21
	v_and_b32_e32 v5, 0x7f800000, v4
	v_cmpx_ne_u32_e32 0x7f800000, v5
	s_xor_b32 s2, exec_lo, s2
; %bb.74:
	v_bfe_u32 v5, v4, 16, 1
	v_add3_u32 v26, v4, v5, 0x7fff
                                        ; implicit-def: $vgpr4
; %bb.75:
	s_andn2_saveexec_b32 s2, s2
; %bb.76:
	v_mov_b32_e32 v5, 0
	v_or_b32_e32 v21, 0x10000, v4
	v_cmp_eq_u32_sdwa vcc_lo, v4, v5 src0_sel:WORD_0 src1_sel:DWORD
	v_cndmask_b32_e32 v26, v21, v4, vcc_lo
; %bb.77:
	s_or_b32 exec_lo, exec_lo, s2
	v_mul_lo_u32 v21, v23, s0
	v_mul_lo_u32 v23, v22, s1
	v_mad_u64_u32 v[4:5], null, v22, s0, 0
	v_add3_u32 v5, v5, v23, v21
	v_lshlrev_b64 v[4:5], 1, v[4:5]
	v_add_co_u32 v21, vcc_lo, s5, v4
	v_add_co_ci_u32_e64 v22, null, s9, v5, vcc_lo
	v_add_co_u32 v4, vcc_lo, v21, v0
	v_add_co_ci_u32_e64 v5, null, v22, v1, vcc_lo
	flat_store_short_d16_hi v[4:5], v26
	flat_load_ushort v23, v[2:3] offset:32
	s_waitcnt vmcnt(0) lgkmcnt(0)
	v_lshlrev_b32_e32 v23, 16, v23
	v_mul_f32_e32 v23, s8, v23
	v_and_b32_e32 v26, 0x7f800000, v23
	v_cmp_ne_u32_e32 vcc_lo, 0x7f800000, v26
                                        ; implicit-def: $vgpr26
	s_and_saveexec_b32 s2, vcc_lo
	s_xor_b32 s2, exec_lo, s2
; %bb.78:
	v_bfe_u32 v26, v23, 16, 1
	v_add3_u32 v26, v23, v26, 0x7fff
                                        ; implicit-def: $vgpr23
; %bb.79:
	s_andn2_saveexec_b32 s2, s2
; %bb.80:
	v_mov_b32_e32 v26, 0
	v_or_b32_e32 v27, 0x10000, v23
	v_cmp_eq_u32_sdwa vcc_lo, v23, v26 src0_sel:WORD_0 src1_sel:DWORD
	v_cndmask_b32_e32 v26, v27, v23, vcc_lo
; %bb.81:
	s_or_b32 exec_lo, exec_lo, s2
	v_and_b32_e32 v23, 0xffff0000, v26
	v_fmac_f32_e32 v23, s4, v20
	v_and_b32_e32 v20, 0x7f800000, v23
	v_cmp_ne_u32_e32 vcc_lo, 0x7f800000, v20
                                        ; implicit-def: $vgpr20
	s_and_saveexec_b32 s2, vcc_lo
	s_xor_b32 s2, exec_lo, s2
; %bb.82:
	v_bfe_u32 v20, v23, 16, 1
	v_add3_u32 v20, v23, v20, 0x7fff
                                        ; implicit-def: $vgpr23
; %bb.83:
	s_andn2_saveexec_b32 s2, s2
; %bb.84:
	v_mov_b32_e32 v20, 0
	v_or_b32_e32 v26, 0x10000, v23
	v_cmp_eq_u32_sdwa vcc_lo, v23, v20 src0_sel:WORD_0 src1_sel:DWORD
	v_cndmask_b32_e32 v20, v26, v23, vcc_lo
; %bb.85:
	s_or_b32 exec_lo, exec_lo, s2
	flat_store_short_d16_hi v[4:5], v20 offset:32
	flat_load_ushort v20, v[2:3] offset:64
	s_waitcnt vmcnt(0) lgkmcnt(0)
	v_lshlrev_b32_e32 v20, 16, v20
	v_mul_f32_e32 v20, s8, v20
	v_and_b32_e32 v23, 0x7f800000, v20
	v_cmp_ne_u32_e32 vcc_lo, 0x7f800000, v23
                                        ; implicit-def: $vgpr23
	s_and_saveexec_b32 s2, vcc_lo
	s_xor_b32 s2, exec_lo, s2
; %bb.86:
	v_bfe_u32 v23, v20, 16, 1
	v_add3_u32 v23, v20, v23, 0x7fff
                                        ; implicit-def: $vgpr20
; %bb.87:
	s_andn2_saveexec_b32 s2, s2
; %bb.88:
	v_mov_b32_e32 v23, 0
	v_or_b32_e32 v26, 0x10000, v20
	v_cmp_eq_u32_sdwa vcc_lo, v20, v23 src0_sel:WORD_0 src1_sel:DWORD
	v_cndmask_b32_e32 v23, v26, v20, vcc_lo
; %bb.89:
	s_or_b32 exec_lo, exec_lo, s2
	v_and_b32_e32 v20, 0xffff0000, v23
	v_fmac_f32_e32 v20, s4, v19
	v_and_b32_e32 v19, 0x7f800000, v20
	v_cmp_ne_u32_e32 vcc_lo, 0x7f800000, v19
                                        ; implicit-def: $vgpr19
	s_and_saveexec_b32 s2, vcc_lo
	s_xor_b32 s2, exec_lo, s2
; %bb.90:
	v_bfe_u32 v19, v20, 16, 1
	v_add3_u32 v19, v20, v19, 0x7fff
                                        ; implicit-def: $vgpr20
; %bb.91:
	s_andn2_saveexec_b32 s2, s2
; %bb.92:
	v_mov_b32_e32 v19, 0
	v_or_b32_e32 v23, 0x10000, v20
	v_cmp_eq_u32_sdwa vcc_lo, v20, v19 src0_sel:WORD_0 src1_sel:DWORD
	v_cndmask_b32_e32 v19, v23, v20, vcc_lo
; %bb.93:
	s_or_b32 exec_lo, exec_lo, s2
	flat_store_short_d16_hi v[4:5], v19 offset:64
	flat_load_ushort v2, v[2:3] offset:96
	s_waitcnt vmcnt(0) lgkmcnt(0)
	v_lshlrev_b32_e32 v2, 16, v2
	v_mul_f32_e32 v2, s8, v2
	v_and_b32_e32 v3, 0x7f800000, v2
	v_cmp_ne_u32_e32 vcc_lo, 0x7f800000, v3
                                        ; implicit-def: $vgpr3
	s_and_saveexec_b32 s2, vcc_lo
	s_xor_b32 s2, exec_lo, s2
; %bb.94:
	v_bfe_u32 v3, v2, 16, 1
	v_add3_u32 v3, v2, v3, 0x7fff
                                        ; implicit-def: $vgpr2
; %bb.95:
	s_andn2_saveexec_b32 s2, s2
; %bb.96:
	v_mov_b32_e32 v3, 0
	v_or_b32_e32 v19, 0x10000, v2
	v_cmp_eq_u32_sdwa vcc_lo, v2, v3 src0_sel:WORD_0 src1_sel:DWORD
	v_cndmask_b32_e32 v3, v19, v2, vcc_lo
; %bb.97:
	s_or_b32 exec_lo, exec_lo, s2
	v_and_b32_e32 v2, 0xffff0000, v3
	s_mov_b32 s2, exec_lo
	v_fmac_f32_e32 v2, s4, v18
                                        ; implicit-def: $vgpr18
	v_and_b32_e32 v3, 0x7f800000, v2
	v_cmpx_ne_u32_e32 0x7f800000, v3
	s_xor_b32 s2, exec_lo, s2
; %bb.98:
	v_bfe_u32 v3, v2, 16, 1
	v_add3_u32 v18, v2, v3, 0x7fff
                                        ; implicit-def: $vgpr2
; %bb.99:
	s_andn2_saveexec_b32 s2, s2
; %bb.100:
	v_mov_b32_e32 v3, 0
	v_or_b32_e32 v18, 0x10000, v2
	v_cmp_eq_u32_sdwa vcc_lo, v2, v3 src0_sel:WORD_0 src1_sel:DWORD
	v_cndmask_b32_e32 v18, v18, v2, vcc_lo
; %bb.101:
	s_or_b32 exec_lo, exec_lo, s2
	s_lshl_b64 s[2:3], s[14:15], 5
	flat_store_short_d16_hi v[4:5], v18 offset:96
	v_add_co_u32 v19, vcc_lo, v24, s2
	v_add_co_ci_u32_e64 v20, null, s3, v25, vcc_lo
	v_add_co_u32 v2, vcc_lo, v19, v0
	v_add_co_ci_u32_e64 v3, null, v20, v1, vcc_lo
	flat_load_ushort v4, v[2:3]
	s_waitcnt vmcnt(0) lgkmcnt(0)
	v_lshlrev_b32_e32 v4, 16, v4
	v_mul_f32_e32 v4, s8, v4
	v_and_b32_e32 v5, 0x7f800000, v4
	v_cmp_ne_u32_e32 vcc_lo, 0x7f800000, v5
                                        ; implicit-def: $vgpr5
	s_and_saveexec_b32 s2, vcc_lo
	s_xor_b32 s2, exec_lo, s2
; %bb.102:
	v_bfe_u32 v5, v4, 16, 1
	v_add3_u32 v5, v4, v5, 0x7fff
                                        ; implicit-def: $vgpr4
; %bb.103:
	s_andn2_saveexec_b32 s2, s2
; %bb.104:
	v_mov_b32_e32 v5, 0
	v_or_b32_e32 v18, 0x10000, v4
	v_cmp_eq_u32_sdwa vcc_lo, v4, v5 src0_sel:WORD_0 src1_sel:DWORD
	v_cndmask_b32_e32 v5, v18, v4, vcc_lo
; %bb.105:
	s_or_b32 exec_lo, exec_lo, s2
	v_and_b32_e32 v4, 0xffff0000, v5
	s_mov_b32 s2, exec_lo
                                        ; implicit-def: $vgpr23
	v_fmac_f32_e32 v4, s4, v17
	v_and_b32_e32 v5, 0x7f800000, v4
	v_cmpx_ne_u32_e32 0x7f800000, v5
	s_xor_b32 s2, exec_lo, s2
; %bb.106:
	v_bfe_u32 v5, v4, 16, 1
	v_add3_u32 v23, v4, v5, 0x7fff
                                        ; implicit-def: $vgpr4
; %bb.107:
	s_andn2_saveexec_b32 s2, s2
; %bb.108:
	v_mov_b32_e32 v5, 0
	v_or_b32_e32 v17, 0x10000, v4
	v_cmp_eq_u32_sdwa vcc_lo, v4, v5 src0_sel:WORD_0 src1_sel:DWORD
	v_cndmask_b32_e32 v23, v17, v4, vcc_lo
; %bb.109:
	s_or_b32 exec_lo, exec_lo, s2
	s_lshl_b64 s[2:3], s[0:1], 5
	v_add_co_u32 v17, vcc_lo, v21, s2
	v_add_co_ci_u32_e64 v18, null, s3, v22, vcc_lo
	v_add_co_u32 v4, vcc_lo, v17, v0
	v_add_co_ci_u32_e64 v5, null, v18, v1, vcc_lo
	flat_store_short_d16_hi v[4:5], v23
	flat_load_ushort v21, v[2:3] offset:32
	s_waitcnt vmcnt(0) lgkmcnt(0)
	v_lshlrev_b32_e32 v21, 16, v21
	v_mul_f32_e32 v21, s8, v21
	v_and_b32_e32 v22, 0x7f800000, v21
	v_cmp_ne_u32_e32 vcc_lo, 0x7f800000, v22
                                        ; implicit-def: $vgpr22
	s_and_saveexec_b32 s2, vcc_lo
	s_xor_b32 s2, exec_lo, s2
; %bb.110:
	v_bfe_u32 v22, v21, 16, 1
	v_add3_u32 v22, v21, v22, 0x7fff
                                        ; implicit-def: $vgpr21
; %bb.111:
	s_andn2_saveexec_b32 s2, s2
; %bb.112:
	v_mov_b32_e32 v22, 0
	v_or_b32_e32 v23, 0x10000, v21
	v_cmp_eq_u32_sdwa vcc_lo, v21, v22 src0_sel:WORD_0 src1_sel:DWORD
	v_cndmask_b32_e32 v22, v23, v21, vcc_lo
; %bb.113:
	s_or_b32 exec_lo, exec_lo, s2
	v_and_b32_e32 v21, 0xffff0000, v22
	v_fmac_f32_e32 v21, s4, v16
	v_and_b32_e32 v16, 0x7f800000, v21
	v_cmp_ne_u32_e32 vcc_lo, 0x7f800000, v16
                                        ; implicit-def: $vgpr16
	s_and_saveexec_b32 s2, vcc_lo
	s_xor_b32 s2, exec_lo, s2
; %bb.114:
	v_bfe_u32 v16, v21, 16, 1
	v_add3_u32 v16, v21, v16, 0x7fff
                                        ; implicit-def: $vgpr21
; %bb.115:
	s_andn2_saveexec_b32 s2, s2
; %bb.116:
	v_mov_b32_e32 v16, 0
	v_or_b32_e32 v22, 0x10000, v21
	v_cmp_eq_u32_sdwa vcc_lo, v21, v16 src0_sel:WORD_0 src1_sel:DWORD
	v_cndmask_b32_e32 v16, v22, v21, vcc_lo
; %bb.117:
	s_or_b32 exec_lo, exec_lo, s2
	flat_store_short_d16_hi v[4:5], v16 offset:32
	flat_load_ushort v16, v[2:3] offset:64
	s_waitcnt vmcnt(0) lgkmcnt(0)
	v_lshlrev_b32_e32 v16, 16, v16
	v_mul_f32_e32 v16, s8, v16
	v_and_b32_e32 v21, 0x7f800000, v16
	v_cmp_ne_u32_e32 vcc_lo, 0x7f800000, v21
                                        ; implicit-def: $vgpr21
	s_and_saveexec_b32 s2, vcc_lo
	s_xor_b32 s2, exec_lo, s2
; %bb.118:
	v_bfe_u32 v21, v16, 16, 1
	v_add3_u32 v21, v16, v21, 0x7fff
                                        ; implicit-def: $vgpr16
; %bb.119:
	s_andn2_saveexec_b32 s2, s2
; %bb.120:
	v_mov_b32_e32 v21, 0
	v_or_b32_e32 v22, 0x10000, v16
	v_cmp_eq_u32_sdwa vcc_lo, v16, v21 src0_sel:WORD_0 src1_sel:DWORD
	v_cndmask_b32_e32 v21, v22, v16, vcc_lo
; %bb.121:
	s_or_b32 exec_lo, exec_lo, s2
	v_and_b32_e32 v16, 0xffff0000, v21
	v_fmac_f32_e32 v16, s4, v15
	v_and_b32_e32 v15, 0x7f800000, v16
	v_cmp_ne_u32_e32 vcc_lo, 0x7f800000, v15
                                        ; implicit-def: $vgpr15
	s_and_saveexec_b32 s2, vcc_lo
	s_xor_b32 s2, exec_lo, s2
; %bb.122:
	v_bfe_u32 v15, v16, 16, 1
	v_add3_u32 v15, v16, v15, 0x7fff
                                        ; implicit-def: $vgpr16
; %bb.123:
	s_andn2_saveexec_b32 s2, s2
; %bb.124:
	v_mov_b32_e32 v15, 0
	v_or_b32_e32 v21, 0x10000, v16
	v_cmp_eq_u32_sdwa vcc_lo, v16, v15 src0_sel:WORD_0 src1_sel:DWORD
	v_cndmask_b32_e32 v15, v21, v16, vcc_lo
; %bb.125:
	s_or_b32 exec_lo, exec_lo, s2
	flat_store_short_d16_hi v[4:5], v15 offset:64
	flat_load_ushort v2, v[2:3] offset:96
	s_waitcnt vmcnt(0) lgkmcnt(0)
	v_lshlrev_b32_e32 v2, 16, v2
	v_mul_f32_e32 v2, s8, v2
	v_and_b32_e32 v3, 0x7f800000, v2
	v_cmp_ne_u32_e32 vcc_lo, 0x7f800000, v3
                                        ; implicit-def: $vgpr3
	s_and_saveexec_b32 s2, vcc_lo
	s_xor_b32 s2, exec_lo, s2
; %bb.126:
	v_bfe_u32 v3, v2, 16, 1
	v_add3_u32 v3, v2, v3, 0x7fff
                                        ; implicit-def: $vgpr2
; %bb.127:
	s_andn2_saveexec_b32 s2, s2
; %bb.128:
	v_mov_b32_e32 v3, 0
	v_or_b32_e32 v15, 0x10000, v2
	v_cmp_eq_u32_sdwa vcc_lo, v2, v3 src0_sel:WORD_0 src1_sel:DWORD
	v_cndmask_b32_e32 v3, v15, v2, vcc_lo
; %bb.129:
	s_or_b32 exec_lo, exec_lo, s2
	v_and_b32_e32 v2, 0xffff0000, v3
	s_mov_b32 s2, exec_lo
                                        ; implicit-def: $vgpr16
	v_fmac_f32_e32 v2, s4, v14
	v_and_b32_e32 v3, 0x7f800000, v2
	v_cmpx_ne_u32_e32 0x7f800000, v3
	s_xor_b32 s2, exec_lo, s2
; %bb.130:
	v_bfe_u32 v3, v2, 16, 1
	v_add3_u32 v16, v2, v3, 0x7fff
                                        ; implicit-def: $vgpr2
; %bb.131:
	s_or_saveexec_b32 s5, s2
	s_lshl_b64 s[2:3], s[14:15], 4
	s_xor_b32 exec_lo, exec_lo, s5
; %bb.132:
	v_mov_b32_e32 v3, 0
	v_or_b32_e32 v14, 0x10000, v2
	v_cmp_eq_u32_sdwa vcc_lo, v2, v3 src0_sel:WORD_0 src1_sel:DWORD
	v_cndmask_b32_e32 v16, v14, v2, vcc_lo
; %bb.133:
	s_or_b32 exec_lo, exec_lo, s5
	s_lshl_b64 s[2:3], s[2:3], 1
	flat_store_short_d16_hi v[4:5], v16 offset:96
	v_add_co_u32 v14, vcc_lo, v19, s2
	v_add_co_ci_u32_e64 v15, null, s3, v20, vcc_lo
	v_add_co_u32 v2, vcc_lo, v14, v0
	v_add_co_ci_u32_e64 v3, null, v15, v1, vcc_lo
	flat_load_ushort v4, v[2:3]
	s_waitcnt vmcnt(0) lgkmcnt(0)
	v_lshlrev_b32_e32 v4, 16, v4
	v_mul_f32_e32 v4, s8, v4
	v_and_b32_e32 v5, 0x7f800000, v4
	v_cmp_ne_u32_e32 vcc_lo, 0x7f800000, v5
                                        ; implicit-def: $vgpr5
	s_and_saveexec_b32 s5, vcc_lo
	s_xor_b32 s5, exec_lo, s5
; %bb.134:
	v_bfe_u32 v5, v4, 16, 1
	v_add3_u32 v5, v4, v5, 0x7fff
                                        ; implicit-def: $vgpr4
; %bb.135:
	s_andn2_saveexec_b32 s5, s5
; %bb.136:
	v_mov_b32_e32 v5, 0
	v_or_b32_e32 v16, 0x10000, v4
	v_cmp_eq_u32_sdwa vcc_lo, v4, v5 src0_sel:WORD_0 src1_sel:DWORD
	v_cndmask_b32_e32 v5, v16, v4, vcc_lo
; %bb.137:
	s_or_b32 exec_lo, exec_lo, s5
	v_and_b32_e32 v4, 0xffff0000, v5
	s_mov_b32 s5, exec_lo
                                        ; implicit-def: $vgpr19
	v_fmac_f32_e32 v4, s4, v13
	v_and_b32_e32 v5, 0x7f800000, v4
	v_cmpx_ne_u32_e32 0x7f800000, v5
	s_xor_b32 s5, exec_lo, s5
; %bb.138:
	v_bfe_u32 v5, v4, 16, 1
	v_add3_u32 v19, v4, v5, 0x7fff
                                        ; implicit-def: $vgpr4
; %bb.139:
	s_or_saveexec_b32 s5, s5
	s_lshl_b64 s[0:1], s[0:1], 4
	s_xor_b32 exec_lo, exec_lo, s5
; %bb.140:
	v_mov_b32_e32 v5, 0
	v_or_b32_e32 v13, 0x10000, v4
	v_cmp_eq_u32_sdwa vcc_lo, v4, v5 src0_sel:WORD_0 src1_sel:DWORD
	v_cndmask_b32_e32 v19, v13, v4, vcc_lo
; %bb.141:
	s_or_b32 exec_lo, exec_lo, s5
	s_lshl_b64 s[0:1], s[0:1], 1
	v_add_co_u32 v13, vcc_lo, v17, s0
	v_add_co_ci_u32_e64 v16, null, s1, v18, vcc_lo
	v_add_co_u32 v4, vcc_lo, v13, v0
	v_add_co_ci_u32_e64 v5, null, v16, v1, vcc_lo
	flat_store_short_d16_hi v[4:5], v19
	flat_load_ushort v17, v[2:3] offset:32
	s_waitcnt vmcnt(0) lgkmcnt(0)
	v_lshlrev_b32_e32 v17, 16, v17
	v_mul_f32_e32 v17, s8, v17
	v_and_b32_e32 v18, 0x7f800000, v17
	v_cmp_ne_u32_e32 vcc_lo, 0x7f800000, v18
                                        ; implicit-def: $vgpr18
	s_and_saveexec_b32 s5, vcc_lo
	s_xor_b32 s5, exec_lo, s5
; %bb.142:
	v_bfe_u32 v18, v17, 16, 1
	v_add3_u32 v18, v17, v18, 0x7fff
                                        ; implicit-def: $vgpr17
; %bb.143:
	s_andn2_saveexec_b32 s5, s5
; %bb.144:
	v_mov_b32_e32 v18, 0
	v_or_b32_e32 v19, 0x10000, v17
	v_cmp_eq_u32_sdwa vcc_lo, v17, v18 src0_sel:WORD_0 src1_sel:DWORD
	v_cndmask_b32_e32 v18, v19, v17, vcc_lo
; %bb.145:
	s_or_b32 exec_lo, exec_lo, s5
	v_and_b32_e32 v17, 0xffff0000, v18
	v_fmac_f32_e32 v17, s4, v12
	v_and_b32_e32 v12, 0x7f800000, v17
	v_cmp_ne_u32_e32 vcc_lo, 0x7f800000, v12
                                        ; implicit-def: $vgpr12
	s_and_saveexec_b32 s5, vcc_lo
	s_xor_b32 s5, exec_lo, s5
; %bb.146:
	v_bfe_u32 v12, v17, 16, 1
	v_add3_u32 v12, v17, v12, 0x7fff
                                        ; implicit-def: $vgpr17
; %bb.147:
	s_andn2_saveexec_b32 s5, s5
; %bb.148:
	v_mov_b32_e32 v12, 0
	v_or_b32_e32 v18, 0x10000, v17
	v_cmp_eq_u32_sdwa vcc_lo, v17, v12 src0_sel:WORD_0 src1_sel:DWORD
	v_cndmask_b32_e32 v12, v18, v17, vcc_lo
; %bb.149:
	s_or_b32 exec_lo, exec_lo, s5
	flat_store_short_d16_hi v[4:5], v12 offset:32
	flat_load_ushort v12, v[2:3] offset:64
	s_waitcnt vmcnt(0) lgkmcnt(0)
	v_lshlrev_b32_e32 v12, 16, v12
	v_mul_f32_e32 v12, s8, v12
	v_and_b32_e32 v17, 0x7f800000, v12
	v_cmp_ne_u32_e32 vcc_lo, 0x7f800000, v17
                                        ; implicit-def: $vgpr17
	s_and_saveexec_b32 s5, vcc_lo
	s_xor_b32 s5, exec_lo, s5
; %bb.150:
	v_bfe_u32 v17, v12, 16, 1
	v_add3_u32 v17, v12, v17, 0x7fff
                                        ; implicit-def: $vgpr12
; %bb.151:
	s_andn2_saveexec_b32 s5, s5
; %bb.152:
	v_mov_b32_e32 v17, 0
	v_or_b32_e32 v18, 0x10000, v12
	v_cmp_eq_u32_sdwa vcc_lo, v12, v17 src0_sel:WORD_0 src1_sel:DWORD
	v_cndmask_b32_e32 v17, v18, v12, vcc_lo
; %bb.153:
	s_or_b32 exec_lo, exec_lo, s5
	v_and_b32_e32 v12, 0xffff0000, v17
	v_fmac_f32_e32 v12, s4, v11
	v_and_b32_e32 v11, 0x7f800000, v12
	v_cmp_ne_u32_e32 vcc_lo, 0x7f800000, v11
                                        ; implicit-def: $vgpr11
	s_and_saveexec_b32 s5, vcc_lo
	s_xor_b32 s5, exec_lo, s5
; %bb.154:
	v_bfe_u32 v11, v12, 16, 1
	v_add3_u32 v11, v12, v11, 0x7fff
                                        ; implicit-def: $vgpr12
; %bb.155:
	s_andn2_saveexec_b32 s5, s5
; %bb.156:
	v_mov_b32_e32 v11, 0
	v_or_b32_e32 v17, 0x10000, v12
	v_cmp_eq_u32_sdwa vcc_lo, v12, v11 src0_sel:WORD_0 src1_sel:DWORD
	v_cndmask_b32_e32 v11, v17, v12, vcc_lo
; %bb.157:
	s_or_b32 exec_lo, exec_lo, s5
	flat_store_short_d16_hi v[4:5], v11 offset:64
	flat_load_ushort v2, v[2:3] offset:96
	s_waitcnt vmcnt(0) lgkmcnt(0)
	v_lshlrev_b32_e32 v2, 16, v2
	v_mul_f32_e32 v2, s8, v2
	v_and_b32_e32 v3, 0x7f800000, v2
	v_cmp_ne_u32_e32 vcc_lo, 0x7f800000, v3
                                        ; implicit-def: $vgpr3
	s_and_saveexec_b32 s5, vcc_lo
	s_xor_b32 s5, exec_lo, s5
; %bb.158:
	v_bfe_u32 v3, v2, 16, 1
	v_add3_u32 v3, v2, v3, 0x7fff
                                        ; implicit-def: $vgpr2
; %bb.159:
	s_andn2_saveexec_b32 s5, s5
; %bb.160:
	v_mov_b32_e32 v3, 0
	v_or_b32_e32 v11, 0x10000, v2
	v_cmp_eq_u32_sdwa vcc_lo, v2, v3 src0_sel:WORD_0 src1_sel:DWORD
	v_cndmask_b32_e32 v3, v11, v2, vcc_lo
; %bb.161:
	s_or_b32 exec_lo, exec_lo, s5
	v_and_b32_e32 v2, 0xffff0000, v3
	s_mov_b32 s5, exec_lo
	v_fmac_f32_e32 v2, s4, v10
                                        ; implicit-def: $vgpr10
	v_and_b32_e32 v3, 0x7f800000, v2
	v_cmpx_ne_u32_e32 0x7f800000, v3
	s_xor_b32 s5, exec_lo, s5
; %bb.162:
	v_bfe_u32 v3, v2, 16, 1
	v_add3_u32 v10, v2, v3, 0x7fff
                                        ; implicit-def: $vgpr2
; %bb.163:
	s_andn2_saveexec_b32 s5, s5
; %bb.164:
	v_mov_b32_e32 v3, 0
	v_or_b32_e32 v10, 0x10000, v2
	v_cmp_eq_u32_sdwa vcc_lo, v2, v3 src0_sel:WORD_0 src1_sel:DWORD
	v_cndmask_b32_e32 v10, v10, v2, vcc_lo
; %bb.165:
	s_or_b32 exec_lo, exec_lo, s5
	v_add_co_u32 v2, vcc_lo, v14, s2
	v_add_co_ci_u32_e64 v3, null, s3, v15, vcc_lo
	flat_store_short_d16_hi v[4:5], v10 offset:96
	v_add_co_u32 v2, vcc_lo, v2, v0
	v_add_co_ci_u32_e64 v3, null, v3, v1, vcc_lo
	flat_load_ushort v4, v[2:3]
	s_waitcnt vmcnt(0) lgkmcnt(0)
	v_lshlrev_b32_e32 v4, 16, v4
	v_mul_f32_e32 v4, s8, v4
	v_and_b32_e32 v5, 0x7f800000, v4
	v_cmp_ne_u32_e32 vcc_lo, 0x7f800000, v5
                                        ; implicit-def: $vgpr5
	s_and_saveexec_b32 s2, vcc_lo
	s_xor_b32 s2, exec_lo, s2
; %bb.166:
	v_bfe_u32 v5, v4, 16, 1
	v_add3_u32 v5, v4, v5, 0x7fff
                                        ; implicit-def: $vgpr4
; %bb.167:
	s_andn2_saveexec_b32 s2, s2
; %bb.168:
	v_mov_b32_e32 v5, 0
	v_or_b32_e32 v10, 0x10000, v4
	v_cmp_eq_u32_sdwa vcc_lo, v4, v5 src0_sel:WORD_0 src1_sel:DWORD
	v_cndmask_b32_e32 v5, v10, v4, vcc_lo
; %bb.169:
	s_or_b32 exec_lo, exec_lo, s2
	v_and_b32_e32 v5, 0xffff0000, v5
	v_fmac_f32_e32 v5, s4, v9
	v_and_b32_e32 v4, 0x7f800000, v5
	v_cmp_ne_u32_e32 vcc_lo, 0x7f800000, v4
                                        ; implicit-def: $vgpr4
	s_and_saveexec_b32 s2, vcc_lo
	s_xor_b32 s2, exec_lo, s2
; %bb.170:
	v_bfe_u32 v4, v5, 16, 1
	v_add3_u32 v4, v5, v4, 0x7fff
                                        ; implicit-def: $vgpr5
; %bb.171:
	s_andn2_saveexec_b32 s2, s2
; %bb.172:
	v_mov_b32_e32 v4, 0
	v_or_b32_e32 v9, 0x10000, v5
	v_cmp_eq_u32_sdwa vcc_lo, v5, v4 src0_sel:WORD_0 src1_sel:DWORD
	v_cndmask_b32_e32 v4, v9, v5, vcc_lo
; %bb.173:
	s_or_b32 exec_lo, exec_lo, s2
	v_add_co_u32 v5, vcc_lo, v13, s0
	v_add_co_ci_u32_e64 v9, null, s1, v16, vcc_lo
	v_add_co_u32 v0, vcc_lo, v5, v0
	v_add_co_ci_u32_e64 v1, null, v9, v1, vcc_lo
	flat_store_short_d16_hi v[0:1], v4
	flat_load_ushort v4, v[2:3] offset:32
	s_waitcnt vmcnt(0) lgkmcnt(0)
	v_lshlrev_b32_e32 v4, 16, v4
	v_mul_f32_e32 v4, s8, v4
	v_and_b32_e32 v5, 0x7f800000, v4
	v_cmp_ne_u32_e32 vcc_lo, 0x7f800000, v5
                                        ; implicit-def: $vgpr5
	s_and_saveexec_b32 s0, vcc_lo
	s_xor_b32 s0, exec_lo, s0
; %bb.174:
	v_bfe_u32 v5, v4, 16, 1
	v_add3_u32 v5, v4, v5, 0x7fff
                                        ; implicit-def: $vgpr4
; %bb.175:
	s_andn2_saveexec_b32 s0, s0
; %bb.176:
	v_mov_b32_e32 v5, 0
	v_or_b32_e32 v9, 0x10000, v4
	v_cmp_eq_u32_sdwa vcc_lo, v4, v5 src0_sel:WORD_0 src1_sel:DWORD
	v_cndmask_b32_e32 v5, v9, v4, vcc_lo
; %bb.177:
	s_or_b32 exec_lo, exec_lo, s0
	v_and_b32_e32 v4, 0xffff0000, v5
	v_fmac_f32_e32 v4, s4, v8
	v_and_b32_e32 v5, 0x7f800000, v4
	v_cmp_ne_u32_e32 vcc_lo, 0x7f800000, v5
                                        ; implicit-def: $vgpr5
	s_and_saveexec_b32 s0, vcc_lo
	s_xor_b32 s0, exec_lo, s0
; %bb.178:
	v_bfe_u32 v5, v4, 16, 1
	v_add3_u32 v5, v4, v5, 0x7fff
                                        ; implicit-def: $vgpr4
; %bb.179:
	s_andn2_saveexec_b32 s0, s0
; %bb.180:
	v_mov_b32_e32 v5, 0
	v_or_b32_e32 v8, 0x10000, v4
	v_cmp_eq_u32_sdwa vcc_lo, v4, v5 src0_sel:WORD_0 src1_sel:DWORD
	v_cndmask_b32_e32 v5, v8, v4, vcc_lo
; %bb.181:
	s_or_b32 exec_lo, exec_lo, s0
	flat_store_short_d16_hi v[0:1], v5 offset:32
	flat_load_ushort v4, v[2:3] offset:64
	s_waitcnt vmcnt(0) lgkmcnt(0)
	v_lshlrev_b32_e32 v4, 16, v4
	v_mul_f32_e32 v4, s8, v4
	v_and_b32_e32 v5, 0x7f800000, v4
	v_cmp_ne_u32_e32 vcc_lo, 0x7f800000, v5
                                        ; implicit-def: $vgpr5
	s_and_saveexec_b32 s0, vcc_lo
	s_xor_b32 s0, exec_lo, s0
; %bb.182:
	v_bfe_u32 v5, v4, 16, 1
	v_add3_u32 v5, v4, v5, 0x7fff
                                        ; implicit-def: $vgpr4
; %bb.183:
	s_andn2_saveexec_b32 s0, s0
; %bb.184:
	v_mov_b32_e32 v5, 0
	v_or_b32_e32 v8, 0x10000, v4
	v_cmp_eq_u32_sdwa vcc_lo, v4, v5 src0_sel:WORD_0 src1_sel:DWORD
	v_cndmask_b32_e32 v5, v8, v4, vcc_lo
; %bb.185:
	s_or_b32 exec_lo, exec_lo, s0
	v_and_b32_e32 v4, 0xffff0000, v5
	v_fmac_f32_e32 v4, s4, v7
	v_and_b32_e32 v5, 0x7f800000, v4
	v_cmp_ne_u32_e32 vcc_lo, 0x7f800000, v5
                                        ; implicit-def: $vgpr5
	s_and_saveexec_b32 s0, vcc_lo
	s_xor_b32 s0, exec_lo, s0
; %bb.186:
	v_bfe_u32 v5, v4, 16, 1
	v_add3_u32 v5, v4, v5, 0x7fff
                                        ; implicit-def: $vgpr4
; %bb.187:
	s_andn2_saveexec_b32 s0, s0
; %bb.188:
	v_mov_b32_e32 v5, 0
	v_or_b32_e32 v7, 0x10000, v4
	v_cmp_eq_u32_sdwa vcc_lo, v4, v5 src0_sel:WORD_0 src1_sel:DWORD
	v_cndmask_b32_e32 v5, v7, v4, vcc_lo
; %bb.189:
	s_or_b32 exec_lo, exec_lo, s0
	flat_store_short_d16_hi v[0:1], v5 offset:64
	flat_load_ushort v2, v[2:3] offset:96
	s_waitcnt vmcnt(0) lgkmcnt(0)
	v_lshlrev_b32_e32 v2, 16, v2
	v_mul_f32_e32 v2, s8, v2
	v_and_b32_e32 v3, 0x7f800000, v2
	v_cmp_ne_u32_e32 vcc_lo, 0x7f800000, v3
                                        ; implicit-def: $vgpr3
	s_and_saveexec_b32 s0, vcc_lo
	s_xor_b32 s0, exec_lo, s0
; %bb.190:
	v_bfe_u32 v3, v2, 16, 1
	v_add3_u32 v3, v2, v3, 0x7fff
                                        ; implicit-def: $vgpr2
; %bb.191:
	s_andn2_saveexec_b32 s0, s0
; %bb.192:
	v_mov_b32_e32 v3, 0
	v_or_b32_e32 v4, 0x10000, v2
	v_cmp_eq_u32_sdwa vcc_lo, v2, v3 src0_sel:WORD_0 src1_sel:DWORD
	v_cndmask_b32_e32 v3, v4, v2, vcc_lo
; %bb.193:
	s_or_b32 exec_lo, exec_lo, s0
	v_and_b32_e32 v2, 0xffff0000, v3
	v_fmac_f32_e32 v2, s4, v6
	v_and_b32_e32 v3, 0x7f800000, v2
	v_cmp_ne_u32_e32 vcc_lo, 0x7f800000, v3
                                        ; implicit-def: $vgpr3
	s_and_saveexec_b32 s0, vcc_lo
	s_xor_b32 s0, exec_lo, s0
	s_cbranch_execnz .LBB142_198
; %bb.194:
	s_andn2_saveexec_b32 s0, s0
	s_cbranch_execnz .LBB142_199
.LBB142_195:
	s_or_b32 exec_lo, exec_lo, s0
	flat_store_short_d16_hi v[0:1], v3 offset:96
	s_endpgm
.LBB142_196:
	s_cbranch_execnz .LBB142_69
.LBB142_197:
	s_endpgm
.LBB142_198:
	v_bfe_u32 v3, v2, 16, 1
	v_add3_u32 v3, v2, v3, 0x7fff
                                        ; implicit-def: $vgpr2
	s_andn2_saveexec_b32 s0, s0
	s_cbranch_execz .LBB142_195
.LBB142_199:
	v_mov_b32_e32 v3, 0
	v_or_b32_e32 v4, 0x10000, v2
	v_cmp_eq_u32_sdwa vcc_lo, v2, v3 src0_sel:WORD_0 src1_sel:DWORD
	v_cndmask_b32_e32 v3, v4, v2, vcc_lo
	s_or_b32 exec_lo, exec_lo, s0
	flat_store_short_d16_hi v[0:1], v3 offset:96
	s_endpgm
	.section	.rodata,"a",@progbits
	.p2align	6, 0x0
	.amdhsa_kernel _ZN12_GLOBAL__N_127rocblas_gemm_batched_kernelIfLi16ELi16ELi64ELi64ELi4ELi64ELi4ELi4ELi64ELc78ELc84EKPK16rocblas_bfloat16S4_KPS1_EEvlllT_PT11_llS9_llS7_PT12_llPT13_lli
		.amdhsa_group_segment_fixed_size 2048
		.amdhsa_private_segment_fixed_size 0
		.amdhsa_kernarg_size 140
		.amdhsa_user_sgpr_count 6
		.amdhsa_user_sgpr_private_segment_buffer 1
		.amdhsa_user_sgpr_dispatch_ptr 0
		.amdhsa_user_sgpr_queue_ptr 0
		.amdhsa_user_sgpr_kernarg_segment_ptr 1
		.amdhsa_user_sgpr_dispatch_id 0
		.amdhsa_user_sgpr_flat_scratch_init 0
		.amdhsa_user_sgpr_private_segment_size 0
		.amdhsa_wavefront_size32 1
		.amdhsa_uses_dynamic_stack 0
		.amdhsa_system_sgpr_private_segment_wavefront_offset 0
		.amdhsa_system_sgpr_workgroup_id_x 1
		.amdhsa_system_sgpr_workgroup_id_y 1
		.amdhsa_system_sgpr_workgroup_id_z 1
		.amdhsa_system_sgpr_workgroup_info 0
		.amdhsa_system_vgpr_workitem_id 1
		.amdhsa_next_free_vgpr 58
		.amdhsa_next_free_sgpr 36
		.amdhsa_reserve_vcc 1
		.amdhsa_reserve_flat_scratch 0
		.amdhsa_float_round_mode_32 0
		.amdhsa_float_round_mode_16_64 0
		.amdhsa_float_denorm_mode_32 3
		.amdhsa_float_denorm_mode_16_64 3
		.amdhsa_dx10_clamp 1
		.amdhsa_ieee_mode 1
		.amdhsa_fp16_overflow 0
		.amdhsa_workgroup_processor_mode 1
		.amdhsa_memory_ordered 1
		.amdhsa_forward_progress 1
		.amdhsa_shared_vgpr_count 0
		.amdhsa_exception_fp_ieee_invalid_op 0
		.amdhsa_exception_fp_denorm_src 0
		.amdhsa_exception_fp_ieee_div_zero 0
		.amdhsa_exception_fp_ieee_overflow 0
		.amdhsa_exception_fp_ieee_underflow 0
		.amdhsa_exception_fp_ieee_inexact 0
		.amdhsa_exception_int_div_zero 0
	.end_amdhsa_kernel
	.section	.text._ZN12_GLOBAL__N_127rocblas_gemm_batched_kernelIfLi16ELi16ELi64ELi64ELi4ELi64ELi4ELi4ELi64ELc78ELc84EKPK16rocblas_bfloat16S4_KPS1_EEvlllT_PT11_llS9_llS7_PT12_llPT13_lli,"axG",@progbits,_ZN12_GLOBAL__N_127rocblas_gemm_batched_kernelIfLi16ELi16ELi64ELi64ELi4ELi64ELi4ELi4ELi64ELc78ELc84EKPK16rocblas_bfloat16S4_KPS1_EEvlllT_PT11_llS9_llS7_PT12_llPT13_lli,comdat
.Lfunc_end142:
	.size	_ZN12_GLOBAL__N_127rocblas_gemm_batched_kernelIfLi16ELi16ELi64ELi64ELi4ELi64ELi4ELi4ELi64ELc78ELc84EKPK16rocblas_bfloat16S4_KPS1_EEvlllT_PT11_llS9_llS7_PT12_llPT13_lli, .Lfunc_end142-_ZN12_GLOBAL__N_127rocblas_gemm_batched_kernelIfLi16ELi16ELi64ELi64ELi4ELi64ELi4ELi4ELi64ELc78ELc84EKPK16rocblas_bfloat16S4_KPS1_EEvlllT_PT11_llS9_llS7_PT12_llPT13_lli
                                        ; -- End function
	.set _ZN12_GLOBAL__N_127rocblas_gemm_batched_kernelIfLi16ELi16ELi64ELi64ELi4ELi64ELi4ELi4ELi64ELc78ELc84EKPK16rocblas_bfloat16S4_KPS1_EEvlllT_PT11_llS9_llS7_PT12_llPT13_lli.num_vgpr, 58
	.set _ZN12_GLOBAL__N_127rocblas_gemm_batched_kernelIfLi16ELi16ELi64ELi64ELi4ELi64ELi4ELi4ELi64ELc78ELc84EKPK16rocblas_bfloat16S4_KPS1_EEvlllT_PT11_llS9_llS7_PT12_llPT13_lli.num_agpr, 0
	.set _ZN12_GLOBAL__N_127rocblas_gemm_batched_kernelIfLi16ELi16ELi64ELi64ELi4ELi64ELi4ELi4ELi64ELc78ELc84EKPK16rocblas_bfloat16S4_KPS1_EEvlllT_PT11_llS9_llS7_PT12_llPT13_lli.numbered_sgpr, 36
	.set _ZN12_GLOBAL__N_127rocblas_gemm_batched_kernelIfLi16ELi16ELi64ELi64ELi4ELi64ELi4ELi4ELi64ELc78ELc84EKPK16rocblas_bfloat16S4_KPS1_EEvlllT_PT11_llS9_llS7_PT12_llPT13_lli.num_named_barrier, 0
	.set _ZN12_GLOBAL__N_127rocblas_gemm_batched_kernelIfLi16ELi16ELi64ELi64ELi4ELi64ELi4ELi4ELi64ELc78ELc84EKPK16rocblas_bfloat16S4_KPS1_EEvlllT_PT11_llS9_llS7_PT12_llPT13_lli.private_seg_size, 0
	.set _ZN12_GLOBAL__N_127rocblas_gemm_batched_kernelIfLi16ELi16ELi64ELi64ELi4ELi64ELi4ELi4ELi64ELc78ELc84EKPK16rocblas_bfloat16S4_KPS1_EEvlllT_PT11_llS9_llS7_PT12_llPT13_lli.uses_vcc, 1
	.set _ZN12_GLOBAL__N_127rocblas_gemm_batched_kernelIfLi16ELi16ELi64ELi64ELi4ELi64ELi4ELi4ELi64ELc78ELc84EKPK16rocblas_bfloat16S4_KPS1_EEvlllT_PT11_llS9_llS7_PT12_llPT13_lli.uses_flat_scratch, 0
	.set _ZN12_GLOBAL__N_127rocblas_gemm_batched_kernelIfLi16ELi16ELi64ELi64ELi4ELi64ELi4ELi4ELi64ELc78ELc84EKPK16rocblas_bfloat16S4_KPS1_EEvlllT_PT11_llS9_llS7_PT12_llPT13_lli.has_dyn_sized_stack, 0
	.set _ZN12_GLOBAL__N_127rocblas_gemm_batched_kernelIfLi16ELi16ELi64ELi64ELi4ELi64ELi4ELi4ELi64ELc78ELc84EKPK16rocblas_bfloat16S4_KPS1_EEvlllT_PT11_llS9_llS7_PT12_llPT13_lli.has_recursion, 0
	.set _ZN12_GLOBAL__N_127rocblas_gemm_batched_kernelIfLi16ELi16ELi64ELi64ELi4ELi64ELi4ELi4ELi64ELc78ELc84EKPK16rocblas_bfloat16S4_KPS1_EEvlllT_PT11_llS9_llS7_PT12_llPT13_lli.has_indirect_call, 0
	.section	.AMDGPU.csdata,"",@progbits
; Kernel info:
; codeLenInByte = 6192
; TotalNumSgprs: 38
; NumVgprs: 58
; ScratchSize: 0
; MemoryBound: 0
; FloatMode: 240
; IeeeMode: 1
; LDSByteSize: 2048 bytes/workgroup (compile time only)
; SGPRBlocks: 0
; VGPRBlocks: 7
; NumSGPRsForWavesPerEU: 38
; NumVGPRsForWavesPerEU: 58
; Occupancy: 16
; WaveLimiterHint : 1
; COMPUTE_PGM_RSRC2:SCRATCH_EN: 0
; COMPUTE_PGM_RSRC2:USER_SGPR: 6
; COMPUTE_PGM_RSRC2:TRAP_HANDLER: 0
; COMPUTE_PGM_RSRC2:TGID_X_EN: 1
; COMPUTE_PGM_RSRC2:TGID_Y_EN: 1
; COMPUTE_PGM_RSRC2:TGID_Z_EN: 1
; COMPUTE_PGM_RSRC2:TIDIG_COMP_CNT: 1
	.section	.text._ZN12_GLOBAL__N_127rocblas_gemm_batched_kernelIfLi16ELi16ELi64ELi64ELi4ELi64ELi4ELi4ELi64ELc84ELc84EKPK16rocblas_bfloat16S4_KPS1_EEvlllT_PT11_llS9_llS7_PT12_llPT13_lli,"axG",@progbits,_ZN12_GLOBAL__N_127rocblas_gemm_batched_kernelIfLi16ELi16ELi64ELi64ELi4ELi64ELi4ELi4ELi64ELc84ELc84EKPK16rocblas_bfloat16S4_KPS1_EEvlllT_PT11_llS9_llS7_PT12_llPT13_lli,comdat
	.globl	_ZN12_GLOBAL__N_127rocblas_gemm_batched_kernelIfLi16ELi16ELi64ELi64ELi4ELi64ELi4ELi4ELi64ELc84ELc84EKPK16rocblas_bfloat16S4_KPS1_EEvlllT_PT11_llS9_llS7_PT12_llPT13_lli ; -- Begin function _ZN12_GLOBAL__N_127rocblas_gemm_batched_kernelIfLi16ELi16ELi64ELi64ELi4ELi64ELi4ELi4ELi64ELc84ELc84EKPK16rocblas_bfloat16S4_KPS1_EEvlllT_PT11_llS9_llS7_PT12_llPT13_lli
	.p2align	8
	.type	_ZN12_GLOBAL__N_127rocblas_gemm_batched_kernelIfLi16ELi16ELi64ELi64ELi4ELi64ELi4ELi4ELi64ELc84ELc84EKPK16rocblas_bfloat16S4_KPS1_EEvlllT_PT11_llS9_llS7_PT12_llPT13_lli,@function
_ZN12_GLOBAL__N_127rocblas_gemm_batched_kernelIfLi16ELi16ELi64ELi64ELi4ELi64ELi4ELi4ELi64ELc84ELc84EKPK16rocblas_bfloat16S4_KPS1_EEvlllT_PT11_llS9_llS7_PT12_llPT13_lli: ; @_ZN12_GLOBAL__N_127rocblas_gemm_batched_kernelIfLi16ELi16ELi64ELi64ELi4ELi64ELi4ELi4ELi64ELc84ELc84EKPK16rocblas_bfloat16S4_KPS1_EEvlllT_PT11_llS9_llS7_PT12_llPT13_lli
; %bb.0:
	s_clause 0x1
	s_load_dwordx8 s[12:19], s[4:5], 0x58
	s_load_dwordx2 s[28:29], s[4:5], 0x10
	s_mov_b32 s9, 0
	s_load_dwordx4 s[0:3], s[4:5], 0x78
	s_lshl_b64 s[34:35], s[8:9], 3
	s_mov_b32 s10, s7
	v_mov_b32_e32 v21, 0
	v_mov_b32_e32 v20, 0
	;; [unrolled: 1-line block ×14, first 2 shown]
	s_waitcnt lgkmcnt(0)
	s_add_u32 s8, s12, s34
	s_addc_u32 s9, s13, s35
	s_add_u32 s18, s18, s34
	s_addc_u32 s19, s19, s35
	s_load_dwordx2 s[12:13], s[8:9], 0x0
	s_load_dwordx2 s[18:19], s[18:19], 0x0
	v_cmp_lt_i64_e64 s20, s[28:29], 1
	v_mov_b32_e32 v7, 0
	v_mov_b32_e32 v6, 0
	s_ashr_i32 s7, s6, 31
	s_ashr_i32 s11, s10, 31
	s_lshl_b64 s[6:7], s[6:7], 6
	s_and_b32 vcc_lo, exec_lo, s20
	s_lshl_b64 s[30:31], s[10:11], 6
	s_cbranch_vccnz .LBB143_3
; %bb.1:
	v_lshlrev_b32_e32 v9, 4, v1
	s_clause 0x1
	s_load_dwordx8 s[20:27], s[4:5], 0x20
	s_load_dwordx4 s[8:11], s[4:5], 0x40
	v_and_b32_e32 v10, 3, v0
	v_mov_b32_e32 v6, 0
	v_lshlrev_b32_e32 v22, 2, v0
	v_add_nc_u32_e32 v7, v9, v0
	v_add_nc_u32_e32 v25, 0x400, v9
	v_lshlrev_b32_e32 v12, 2, v10
	v_mov_b32_e32 v9, 0
	v_mov_b32_e32 v16, 0
	v_lshrrev_b32_e32 v8, 2, v7
	v_and_b32_e32 v11, 63, v7
	v_lshrrev_b32_e32 v15, 6, v7
	v_mov_b32_e32 v17, 0
	v_mov_b32_e32 v18, 0
	v_add_co_u32 v2, s33, v8, s30
	v_add_co_ci_u32_e64 v3, null, 0, s31, s33
	v_add_co_u32 v4, s33, s6, v11
	v_add_co_ci_u32_e64 v5, null, s7, 0, s33
	s_waitcnt lgkmcnt(0)
	v_mad_u64_u32 v[2:3], null, s8, v10, v[2:3]
	v_mul_lo_u32 v13, s23, v4
	v_mul_lo_u32 v14, s22, v5
	v_mad_u64_u32 v[4:5], null, s22, v4, 0
	s_add_u32 s20, s20, s34
	s_addc_u32 s21, s21, s35
	s_add_u32 s22, s26, s34
	s_addc_u32 s23, s27, s35
	s_load_dwordx2 s[20:21], s[20:21], 0x0
	s_load_dwordx2 s[22:23], s[22:23], 0x0
	v_add3_u32 v5, v5, v14, v13
	v_lshl_or_b32 v12, v8, 4, v12
	v_mad_u64_u32 v[7:8], null, s9, v10, v[3:4]
	s_lshl_b64 s[24:25], s[24:25], 1
	v_lshlrev_b64 v[4:5], 1, v[4:5]
	s_lshl_b64 s[10:11], s[10:11], 1
	v_lshlrev_b32_e32 v11, 2, v11
	v_add_nc_u32_e32 v24, 0x400, v12
	v_mov_b32_e32 v10, 0
	v_mov_b32_e32 v3, v7
	v_lshlrev_b32_e32 v7, 1, v15
	v_add_co_u32 v4, vcc_lo, v4, s24
	v_add_co_ci_u32_e64 v5, null, s25, v5, vcc_lo
	v_lshl_or_b32 v23, v15, 8, v11
	v_add_co_u32 v7, vcc_lo, v4, v7
	v_add_co_ci_u32_e64 v8, null, 0, v5, vcc_lo
	v_lshlrev_b64 v[4:5], 1, v[2:3]
	s_waitcnt lgkmcnt(0)
	v_add_co_u32 v2, vcc_lo, s20, v7
	s_add_u32 s10, s22, s10
	v_add_co_ci_u32_e64 v3, null, s21, v8, vcc_lo
	s_addc_u32 s11, s23, s11
	v_add_co_u32 v4, vcc_lo, s10, v4
	v_add_co_ci_u32_e64 v5, null, s11, v5, vcc_lo
	v_mov_b32_e32 v7, 0
	v_mov_b32_e32 v8, 0
	;; [unrolled: 1-line block ×10, first 2 shown]
	s_lshl_b64 s[8:9], s[8:9], 3
	s_mov_b64 s[10:11], 0
.LBB143_2:                              ; =>This Inner Loop Header: Depth=1
	flat_load_ushort v26, v[2:3]
	flat_load_ushort v27, v[4:5]
	s_add_u32 s10, s10, 4
	s_addc_u32 s11, s11, 0
	v_add_co_u32 v2, vcc_lo, v2, 8
	v_cmp_lt_i64_e64 s20, s[10:11], s[28:29]
	v_add_co_ci_u32_e64 v3, null, 0, v3, vcc_lo
	v_add_co_u32 v4, vcc_lo, v4, s8
	v_add_co_ci_u32_e64 v5, null, s9, v5, vcc_lo
	s_and_b32 vcc_lo, exec_lo, s20
	s_waitcnt vmcnt(1) lgkmcnt(1)
	v_lshlrev_b32_e32 v26, 16, v26
	s_waitcnt vmcnt(0) lgkmcnt(0)
	v_lshlrev_b32_e32 v27, 16, v27
	ds_write_b32 v23, v26
	ds_write_b32 v24, v27
	s_waitcnt lgkmcnt(0)
	s_barrier
	buffer_gl0_inv
	ds_read_b128 v[26:29], v25
	ds_read2_b32 v[42:43], v22 offset1:16
	ds_read2_b32 v[44:45], v22 offset0:32 offset1:48
	ds_read_b128 v[30:33], v25 offset:256
	ds_read_b128 v[34:37], v25 offset:512
	;; [unrolled: 1-line block ×3, first 2 shown]
	ds_read2_b32 v[46:47], v22 offset0:64 offset1:80
	ds_read2_b32 v[48:49], v22 offset0:96 offset1:112
	;; [unrolled: 1-line block ×6, first 2 shown]
	s_waitcnt lgkmcnt(0)
	s_barrier
	buffer_gl0_inv
	v_fmac_f32_e32 v21, v42, v26
	v_fmac_f32_e32 v20, v43, v26
	;; [unrolled: 1-line block ×64, first 2 shown]
	s_cbranch_vccnz .LBB143_2
.LBB143_3:
	s_clause 0x1
	s_load_dword s8, s[4:5], 0x50
	s_load_dword s4, s[4:5], 0x18
	s_lshl_b64 s[2:3], s[2:3], 1
	s_waitcnt lgkmcnt(0)
	s_add_u32 s5, s18, s2
	v_add_co_u32 v22, s2, s30, v1
	s_addc_u32 s9, s19, s3
	v_add_co_ci_u32_e64 v23, null, s31, 0, s2
	v_add_co_u32 v0, s3, s6, v0
	v_add_co_ci_u32_e64 v1, null, s7, 0, s3
	v_cmp_neq_f32_e64 s2, s8, 0
	s_and_b32 vcc_lo, exec_lo, s2
	s_cbranch_vccnz .LBB143_196
; %bb.4:
	v_mul_f32_e32 v2, s4, v21
	s_mov_b32 s2, exec_lo
                                        ; implicit-def: $vgpr26
	v_and_b32_e32 v3, 0x7f800000, v2
	v_cmpx_ne_u32_e32 0x7f800000, v3
	s_xor_b32 s2, exec_lo, s2
; %bb.5:
	v_bfe_u32 v3, v2, 16, 1
	v_add3_u32 v26, v2, v3, 0x7fff
                                        ; implicit-def: $vgpr2
; %bb.6:
	s_andn2_saveexec_b32 s2, s2
; %bb.7:
	v_mov_b32_e32 v3, 0
	v_or_b32_e32 v4, 0x10000, v2
	v_cmp_eq_u32_sdwa vcc_lo, v2, v3 src0_sel:WORD_0 src1_sel:DWORD
	v_cndmask_b32_e32 v26, v4, v2, vcc_lo
; %bb.8:
	s_or_b32 exec_lo, exec_lo, s2
	v_mul_lo_u32 v4, v23, s0
	v_mul_lo_u32 v5, v22, s1
	v_mad_u64_u32 v[2:3], null, v22, s0, 0
	v_mul_f32_e32 v27, s4, v20
	v_and_b32_e32 v28, 0x7f800000, v27
	v_add3_u32 v3, v3, v5, v4
	v_lshlrev_b64 v[4:5], 1, v[2:3]
	v_lshlrev_b64 v[2:3], 1, v[0:1]
	v_add_co_u32 v24, vcc_lo, s5, v4
	v_add_co_ci_u32_e64 v25, null, s9, v5, vcc_lo
	v_add_co_u32 v4, vcc_lo, v24, v2
	v_add_co_ci_u32_e64 v5, null, v25, v3, vcc_lo
	v_cmp_ne_u32_e32 vcc_lo, 0x7f800000, v28
                                        ; implicit-def: $vgpr28
	flat_store_short_d16_hi v[4:5], v26
	s_and_saveexec_b32 s2, vcc_lo
	s_xor_b32 s2, exec_lo, s2
; %bb.9:
	v_bfe_u32 v26, v27, 16, 1
	v_add3_u32 v28, v27, v26, 0x7fff
                                        ; implicit-def: $vgpr27
; %bb.10:
	s_andn2_saveexec_b32 s2, s2
; %bb.11:
	v_mov_b32_e32 v26, 0
	v_or_b32_e32 v28, 0x10000, v27
	v_cmp_eq_u32_sdwa vcc_lo, v27, v26 src0_sel:WORD_0 src1_sel:DWORD
	v_cndmask_b32_e32 v28, v28, v27, vcc_lo
; %bb.12:
	s_or_b32 exec_lo, exec_lo, s2
	v_mul_f32_e32 v26, s4, v19
	flat_store_short_d16_hi v[4:5], v28 offset:32
	v_and_b32_e32 v27, 0x7f800000, v26
	v_cmp_ne_u32_e32 vcc_lo, 0x7f800000, v27
                                        ; implicit-def: $vgpr27
	s_and_saveexec_b32 s2, vcc_lo
	s_xor_b32 s2, exec_lo, s2
; %bb.13:
	v_bfe_u32 v27, v26, 16, 1
	v_add3_u32 v27, v26, v27, 0x7fff
                                        ; implicit-def: $vgpr26
; %bb.14:
	s_andn2_saveexec_b32 s2, s2
; %bb.15:
	v_mov_b32_e32 v27, 0
	v_or_b32_e32 v28, 0x10000, v26
	v_cmp_eq_u32_sdwa vcc_lo, v26, v27 src0_sel:WORD_0 src1_sel:DWORD
	v_cndmask_b32_e32 v27, v28, v26, vcc_lo
; %bb.16:
	s_or_b32 exec_lo, exec_lo, s2
	v_mul_f32_e32 v26, s4, v18
	flat_store_short_d16_hi v[4:5], v27 offset:64
	v_and_b32_e32 v28, 0x7f800000, v26
	v_cmp_ne_u32_e32 vcc_lo, 0x7f800000, v28
                                        ; implicit-def: $vgpr28
	s_and_saveexec_b32 s2, vcc_lo
	s_xor_b32 s2, exec_lo, s2
; %bb.17:
	v_bfe_u32 v27, v26, 16, 1
	v_add3_u32 v28, v26, v27, 0x7fff
                                        ; implicit-def: $vgpr26
; %bb.18:
	s_andn2_saveexec_b32 s2, s2
; %bb.19:
	v_mov_b32_e32 v27, 0
	v_or_b32_e32 v28, 0x10000, v26
	v_cmp_eq_u32_sdwa vcc_lo, v26, v27 src0_sel:WORD_0 src1_sel:DWORD
	v_cndmask_b32_e32 v28, v28, v26, vcc_lo
; %bb.20:
	s_or_b32 exec_lo, exec_lo, s2
	v_mul_f32_e32 v27, s4, v17
	flat_store_short_d16_hi v[4:5], v28 offset:96
	v_and_b32_e32 v26, 0x7f800000, v27
	v_cmp_ne_u32_e32 vcc_lo, 0x7f800000, v26
                                        ; implicit-def: $vgpr26
	s_and_saveexec_b32 s2, vcc_lo
	s_xor_b32 s2, exec_lo, s2
; %bb.21:
	v_bfe_u32 v4, v27, 16, 1
	v_add3_u32 v26, v27, v4, 0x7fff
                                        ; implicit-def: $vgpr27
; %bb.22:
	s_andn2_saveexec_b32 s2, s2
; %bb.23:
	v_mov_b32_e32 v4, 0
	v_or_b32_e32 v5, 0x10000, v27
	v_cmp_eq_u32_sdwa vcc_lo, v27, v4 src0_sel:WORD_0 src1_sel:DWORD
	v_cndmask_b32_e32 v26, v5, v27, vcc_lo
; %bb.24:
	s_or_b32 exec_lo, exec_lo, s2
	v_mul_f32_e32 v27, s4, v16
	s_lshl_b64 s[2:3], s[0:1], 5
	v_add_co_u32 v24, vcc_lo, v24, s2
	v_add_co_ci_u32_e64 v25, null, s3, v25, vcc_lo
	v_and_b32_e32 v28, 0x7f800000, v27
	v_add_co_u32 v4, vcc_lo, v24, v2
	v_add_co_ci_u32_e64 v5, null, v25, v3, vcc_lo
	v_cmp_ne_u32_e32 vcc_lo, 0x7f800000, v28
                                        ; implicit-def: $vgpr28
	flat_store_short_d16_hi v[4:5], v26
	s_and_saveexec_b32 s2, vcc_lo
	s_xor_b32 s2, exec_lo, s2
; %bb.25:
	v_bfe_u32 v26, v27, 16, 1
	v_add3_u32 v28, v27, v26, 0x7fff
                                        ; implicit-def: $vgpr27
; %bb.26:
	s_andn2_saveexec_b32 s2, s2
; %bb.27:
	v_mov_b32_e32 v26, 0
	v_or_b32_e32 v28, 0x10000, v27
	v_cmp_eq_u32_sdwa vcc_lo, v27, v26 src0_sel:WORD_0 src1_sel:DWORD
	v_cndmask_b32_e32 v28, v28, v27, vcc_lo
; %bb.28:
	s_or_b32 exec_lo, exec_lo, s2
	v_mul_f32_e32 v26, s4, v15
	flat_store_short_d16_hi v[4:5], v28 offset:32
	v_and_b32_e32 v27, 0x7f800000, v26
	v_cmp_ne_u32_e32 vcc_lo, 0x7f800000, v27
                                        ; implicit-def: $vgpr27
	s_and_saveexec_b32 s2, vcc_lo
	s_xor_b32 s2, exec_lo, s2
; %bb.29:
	v_bfe_u32 v27, v26, 16, 1
	v_add3_u32 v27, v26, v27, 0x7fff
                                        ; implicit-def: $vgpr26
; %bb.30:
	s_andn2_saveexec_b32 s2, s2
; %bb.31:
	v_mov_b32_e32 v27, 0
	v_or_b32_e32 v28, 0x10000, v26
	v_cmp_eq_u32_sdwa vcc_lo, v26, v27 src0_sel:WORD_0 src1_sel:DWORD
	v_cndmask_b32_e32 v27, v28, v26, vcc_lo
; %bb.32:
	s_or_b32 exec_lo, exec_lo, s2
	v_mul_f32_e32 v26, s4, v14
	flat_store_short_d16_hi v[4:5], v27 offset:64
	v_and_b32_e32 v28, 0x7f800000, v26
	v_cmp_ne_u32_e32 vcc_lo, 0x7f800000, v28
                                        ; implicit-def: $vgpr28
	s_and_saveexec_b32 s2, vcc_lo
	s_xor_b32 s2, exec_lo, s2
; %bb.33:
	v_bfe_u32 v27, v26, 16, 1
	v_add3_u32 v28, v26, v27, 0x7fff
                                        ; implicit-def: $vgpr26
; %bb.34:
	s_andn2_saveexec_b32 s2, s2
; %bb.35:
	v_mov_b32_e32 v27, 0
	v_or_b32_e32 v28, 0x10000, v26
	v_cmp_eq_u32_sdwa vcc_lo, v26, v27 src0_sel:WORD_0 src1_sel:DWORD
	v_cndmask_b32_e32 v28, v28, v26, vcc_lo
; %bb.36:
	s_or_b32 exec_lo, exec_lo, s2
	v_mul_f32_e32 v27, s4, v13
	flat_store_short_d16_hi v[4:5], v28 offset:96
	v_and_b32_e32 v26, 0x7f800000, v27
	v_cmp_ne_u32_e32 vcc_lo, 0x7f800000, v26
                                        ; implicit-def: $vgpr26
	s_and_saveexec_b32 s2, vcc_lo
	s_xor_b32 s2, exec_lo, s2
; %bb.37:
	v_bfe_u32 v4, v27, 16, 1
	v_add3_u32 v26, v27, v4, 0x7fff
                                        ; implicit-def: $vgpr27
; %bb.38:
	s_or_saveexec_b32 s6, s2
	s_lshl_b64 s[2:3], s[0:1], 4
	s_xor_b32 exec_lo, exec_lo, s6
; %bb.39:
	v_mov_b32_e32 v4, 0
	v_or_b32_e32 v5, 0x10000, v27
	v_cmp_eq_u32_sdwa vcc_lo, v27, v4 src0_sel:WORD_0 src1_sel:DWORD
	v_cndmask_b32_e32 v26, v5, v27, vcc_lo
; %bb.40:
	s_or_b32 exec_lo, exec_lo, s6
	v_mul_f32_e32 v27, s4, v12
	s_lshl_b64 s[2:3], s[2:3], 1
	v_add_co_u32 v24, vcc_lo, v24, s2
	v_add_co_ci_u32_e64 v25, null, s3, v25, vcc_lo
	v_and_b32_e32 v28, 0x7f800000, v27
	v_add_co_u32 v4, vcc_lo, v24, v2
	v_add_co_ci_u32_e64 v5, null, v25, v3, vcc_lo
	v_cmp_ne_u32_e32 vcc_lo, 0x7f800000, v28
                                        ; implicit-def: $vgpr28
	flat_store_short_d16_hi v[4:5], v26
	s_and_saveexec_b32 s6, vcc_lo
	s_xor_b32 s6, exec_lo, s6
; %bb.41:
	v_bfe_u32 v26, v27, 16, 1
	v_add3_u32 v28, v27, v26, 0x7fff
                                        ; implicit-def: $vgpr27
; %bb.42:
	s_andn2_saveexec_b32 s6, s6
; %bb.43:
	v_mov_b32_e32 v26, 0
	v_or_b32_e32 v28, 0x10000, v27
	v_cmp_eq_u32_sdwa vcc_lo, v27, v26 src0_sel:WORD_0 src1_sel:DWORD
	v_cndmask_b32_e32 v28, v28, v27, vcc_lo
; %bb.44:
	s_or_b32 exec_lo, exec_lo, s6
	v_mul_f32_e32 v26, s4, v11
	flat_store_short_d16_hi v[4:5], v28 offset:32
	v_and_b32_e32 v27, 0x7f800000, v26
	v_cmp_ne_u32_e32 vcc_lo, 0x7f800000, v27
                                        ; implicit-def: $vgpr27
	s_and_saveexec_b32 s6, vcc_lo
	s_xor_b32 s6, exec_lo, s6
; %bb.45:
	v_bfe_u32 v27, v26, 16, 1
	v_add3_u32 v27, v26, v27, 0x7fff
                                        ; implicit-def: $vgpr26
; %bb.46:
	s_andn2_saveexec_b32 s6, s6
; %bb.47:
	v_mov_b32_e32 v27, 0
	v_or_b32_e32 v28, 0x10000, v26
	v_cmp_eq_u32_sdwa vcc_lo, v26, v27 src0_sel:WORD_0 src1_sel:DWORD
	v_cndmask_b32_e32 v27, v28, v26, vcc_lo
; %bb.48:
	s_or_b32 exec_lo, exec_lo, s6
	v_mul_f32_e32 v26, s4, v10
	s_mov_b32 s6, exec_lo
	flat_store_short_d16_hi v[4:5], v27 offset:64
                                        ; implicit-def: $vgpr27
	v_and_b32_e32 v28, 0x7f800000, v26
	v_cmpx_ne_u32_e32 0x7f800000, v28
	s_xor_b32 s6, exec_lo, s6
; %bb.49:
	v_bfe_u32 v27, v26, 16, 1
	v_add3_u32 v27, v26, v27, 0x7fff
                                        ; implicit-def: $vgpr26
; %bb.50:
	s_andn2_saveexec_b32 s6, s6
; %bb.51:
	v_mov_b32_e32 v27, 0
	v_or_b32_e32 v28, 0x10000, v26
	v_cmp_eq_u32_sdwa vcc_lo, v26, v27 src0_sel:WORD_0 src1_sel:DWORD
	v_cndmask_b32_e32 v27, v28, v26, vcc_lo
; %bb.52:
	s_or_b32 exec_lo, exec_lo, s6
	v_mul_f32_e32 v26, s4, v9
	s_mov_b32 s6, exec_lo
	flat_store_short_d16_hi v[4:5], v27 offset:96
                                        ; implicit-def: $vgpr4
	v_and_b32_e32 v28, 0x7f800000, v26
	v_cmpx_ne_u32_e32 0x7f800000, v28
	s_xor_b32 s6, exec_lo, s6
; %bb.53:
	v_bfe_u32 v4, v26, 16, 1
	v_add3_u32 v4, v26, v4, 0x7fff
                                        ; implicit-def: $vgpr26
; %bb.54:
	s_andn2_saveexec_b32 s6, s6
; %bb.55:
	v_mov_b32_e32 v4, 0
	v_or_b32_e32 v5, 0x10000, v26
	v_cmp_eq_u32_sdwa vcc_lo, v26, v4 src0_sel:WORD_0 src1_sel:DWORD
	v_cndmask_b32_e32 v4, v5, v26, vcc_lo
; %bb.56:
	s_or_b32 exec_lo, exec_lo, s6
	v_add_co_u32 v24, vcc_lo, v24, s2
	v_mul_f32_e32 v5, s4, v8
	v_add_co_ci_u32_e64 v25, null, s3, v25, vcc_lo
	v_add_co_u32 v2, vcc_lo, v24, v2
	v_and_b32_e32 v26, 0x7f800000, v5
	v_add_co_ci_u32_e64 v3, null, v25, v3, vcc_lo
	s_mov_b32 s2, exec_lo
                                        ; implicit-def: $vgpr24
	flat_store_short_d16_hi v[2:3], v4
	v_cmpx_ne_u32_e32 0x7f800000, v26
	s_xor_b32 s2, exec_lo, s2
; %bb.57:
	v_bfe_u32 v4, v5, 16, 1
	v_add3_u32 v24, v5, v4, 0x7fff
                                        ; implicit-def: $vgpr5
; %bb.58:
	s_andn2_saveexec_b32 s2, s2
; %bb.59:
	v_mov_b32_e32 v4, 0
	v_or_b32_e32 v24, 0x10000, v5
	v_cmp_eq_u32_sdwa vcc_lo, v5, v4 src0_sel:WORD_0 src1_sel:DWORD
	v_cndmask_b32_e32 v24, v24, v5, vcc_lo
; %bb.60:
	s_or_b32 exec_lo, exec_lo, s2
	v_mul_f32_e32 v4, s4, v7
	flat_store_short_d16_hi v[2:3], v24 offset:32
	v_and_b32_e32 v5, 0x7f800000, v4
	v_cmp_ne_u32_e32 vcc_lo, 0x7f800000, v5
                                        ; implicit-def: $vgpr5
	s_and_saveexec_b32 s2, vcc_lo
	s_xor_b32 s2, exec_lo, s2
; %bb.61:
	v_bfe_u32 v5, v4, 16, 1
	v_add3_u32 v5, v4, v5, 0x7fff
                                        ; implicit-def: $vgpr4
; %bb.62:
	s_andn2_saveexec_b32 s2, s2
; %bb.63:
	v_mov_b32_e32 v5, 0
	v_or_b32_e32 v24, 0x10000, v4
	v_cmp_eq_u32_sdwa vcc_lo, v4, v5 src0_sel:WORD_0 src1_sel:DWORD
	v_cndmask_b32_e32 v5, v24, v4, vcc_lo
; %bb.64:
	s_or_b32 exec_lo, exec_lo, s2
	v_mul_f32_e32 v4, s4, v6
	s_mov_b32 s2, exec_lo
	flat_store_short_d16_hi v[2:3], v5 offset:64
                                        ; implicit-def: $vgpr5
	v_and_b32_e32 v24, 0x7f800000, v4
	v_cmpx_ne_u32_e32 0x7f800000, v24
	s_xor_b32 s2, exec_lo, s2
; %bb.65:
	v_bfe_u32 v5, v4, 16, 1
	v_add3_u32 v5, v4, v5, 0x7fff
                                        ; implicit-def: $vgpr4
; %bb.66:
	s_andn2_saveexec_b32 s2, s2
; %bb.67:
	v_mov_b32_e32 v5, 0
	v_or_b32_e32 v24, 0x10000, v4
	v_cmp_eq_u32_sdwa vcc_lo, v4, v5 src0_sel:WORD_0 src1_sel:DWORD
	v_cndmask_b32_e32 v5, v24, v4, vcc_lo
; %bb.68:
	s_or_b32 exec_lo, exec_lo, s2
	flat_store_short_d16_hi v[2:3], v5 offset:96
	s_branch .LBB143_197
.LBB143_69:
	v_mul_lo_u32 v4, v23, s14
	v_mul_lo_u32 v5, v22, s15
	v_mad_u64_u32 v[2:3], null, v22, s14, 0
	s_lshl_b64 s[2:3], s[16:17], 1
	v_lshlrev_b64 v[0:1], 1, v[0:1]
	s_add_u32 s2, s12, s2
	s_addc_u32 s3, s13, s3
	v_add3_u32 v3, v3, v5, v4
	v_lshlrev_b64 v[2:3], 1, v[2:3]
	v_add_co_u32 v24, vcc_lo, s2, v2
	v_add_co_ci_u32_e64 v25, null, s3, v3, vcc_lo
	v_add_co_u32 v2, vcc_lo, v24, v0
	v_add_co_ci_u32_e64 v3, null, v25, v1, vcc_lo
	flat_load_ushort v4, v[2:3]
	s_waitcnt vmcnt(0) lgkmcnt(0)
	v_lshlrev_b32_e32 v4, 16, v4
	v_mul_f32_e32 v4, s8, v4
	v_and_b32_e32 v5, 0x7f800000, v4
	v_cmp_ne_u32_e32 vcc_lo, 0x7f800000, v5
                                        ; implicit-def: $vgpr5
	s_and_saveexec_b32 s2, vcc_lo
	s_xor_b32 s2, exec_lo, s2
; %bb.70:
	v_bfe_u32 v5, v4, 16, 1
	v_add3_u32 v5, v4, v5, 0x7fff
                                        ; implicit-def: $vgpr4
; %bb.71:
	s_andn2_saveexec_b32 s2, s2
; %bb.72:
	v_mov_b32_e32 v5, 0
	v_or_b32_e32 v26, 0x10000, v4
	v_cmp_eq_u32_sdwa vcc_lo, v4, v5 src0_sel:WORD_0 src1_sel:DWORD
	v_cndmask_b32_e32 v5, v26, v4, vcc_lo
; %bb.73:
	s_or_b32 exec_lo, exec_lo, s2
	v_and_b32_e32 v4, 0xffff0000, v5
	s_mov_b32 s2, exec_lo
                                        ; implicit-def: $vgpr26
	v_fmac_f32_e32 v4, s4, v21
	v_and_b32_e32 v5, 0x7f800000, v4
	v_cmpx_ne_u32_e32 0x7f800000, v5
	s_xor_b32 s2, exec_lo, s2
; %bb.74:
	v_bfe_u32 v5, v4, 16, 1
	v_add3_u32 v26, v4, v5, 0x7fff
                                        ; implicit-def: $vgpr4
; %bb.75:
	s_andn2_saveexec_b32 s2, s2
; %bb.76:
	v_mov_b32_e32 v5, 0
	v_or_b32_e32 v21, 0x10000, v4
	v_cmp_eq_u32_sdwa vcc_lo, v4, v5 src0_sel:WORD_0 src1_sel:DWORD
	v_cndmask_b32_e32 v26, v21, v4, vcc_lo
; %bb.77:
	s_or_b32 exec_lo, exec_lo, s2
	v_mul_lo_u32 v21, v23, s0
	v_mul_lo_u32 v23, v22, s1
	v_mad_u64_u32 v[4:5], null, v22, s0, 0
	v_add3_u32 v5, v5, v23, v21
	v_lshlrev_b64 v[4:5], 1, v[4:5]
	v_add_co_u32 v21, vcc_lo, s5, v4
	v_add_co_ci_u32_e64 v22, null, s9, v5, vcc_lo
	v_add_co_u32 v4, vcc_lo, v21, v0
	v_add_co_ci_u32_e64 v5, null, v22, v1, vcc_lo
	flat_store_short_d16_hi v[4:5], v26
	flat_load_ushort v23, v[2:3] offset:32
	s_waitcnt vmcnt(0) lgkmcnt(0)
	v_lshlrev_b32_e32 v23, 16, v23
	v_mul_f32_e32 v23, s8, v23
	v_and_b32_e32 v26, 0x7f800000, v23
	v_cmp_ne_u32_e32 vcc_lo, 0x7f800000, v26
                                        ; implicit-def: $vgpr26
	s_and_saveexec_b32 s2, vcc_lo
	s_xor_b32 s2, exec_lo, s2
; %bb.78:
	v_bfe_u32 v26, v23, 16, 1
	v_add3_u32 v26, v23, v26, 0x7fff
                                        ; implicit-def: $vgpr23
; %bb.79:
	s_andn2_saveexec_b32 s2, s2
; %bb.80:
	v_mov_b32_e32 v26, 0
	v_or_b32_e32 v27, 0x10000, v23
	v_cmp_eq_u32_sdwa vcc_lo, v23, v26 src0_sel:WORD_0 src1_sel:DWORD
	v_cndmask_b32_e32 v26, v27, v23, vcc_lo
; %bb.81:
	s_or_b32 exec_lo, exec_lo, s2
	v_and_b32_e32 v23, 0xffff0000, v26
	v_fmac_f32_e32 v23, s4, v20
	v_and_b32_e32 v20, 0x7f800000, v23
	v_cmp_ne_u32_e32 vcc_lo, 0x7f800000, v20
                                        ; implicit-def: $vgpr20
	s_and_saveexec_b32 s2, vcc_lo
	s_xor_b32 s2, exec_lo, s2
; %bb.82:
	v_bfe_u32 v20, v23, 16, 1
	v_add3_u32 v20, v23, v20, 0x7fff
                                        ; implicit-def: $vgpr23
; %bb.83:
	s_andn2_saveexec_b32 s2, s2
; %bb.84:
	v_mov_b32_e32 v20, 0
	v_or_b32_e32 v26, 0x10000, v23
	v_cmp_eq_u32_sdwa vcc_lo, v23, v20 src0_sel:WORD_0 src1_sel:DWORD
	v_cndmask_b32_e32 v20, v26, v23, vcc_lo
; %bb.85:
	s_or_b32 exec_lo, exec_lo, s2
	flat_store_short_d16_hi v[4:5], v20 offset:32
	flat_load_ushort v20, v[2:3] offset:64
	s_waitcnt vmcnt(0) lgkmcnt(0)
	v_lshlrev_b32_e32 v20, 16, v20
	v_mul_f32_e32 v20, s8, v20
	v_and_b32_e32 v23, 0x7f800000, v20
	v_cmp_ne_u32_e32 vcc_lo, 0x7f800000, v23
                                        ; implicit-def: $vgpr23
	s_and_saveexec_b32 s2, vcc_lo
	s_xor_b32 s2, exec_lo, s2
; %bb.86:
	v_bfe_u32 v23, v20, 16, 1
	v_add3_u32 v23, v20, v23, 0x7fff
                                        ; implicit-def: $vgpr20
; %bb.87:
	s_andn2_saveexec_b32 s2, s2
; %bb.88:
	v_mov_b32_e32 v23, 0
	v_or_b32_e32 v26, 0x10000, v20
	v_cmp_eq_u32_sdwa vcc_lo, v20, v23 src0_sel:WORD_0 src1_sel:DWORD
	v_cndmask_b32_e32 v23, v26, v20, vcc_lo
; %bb.89:
	s_or_b32 exec_lo, exec_lo, s2
	v_and_b32_e32 v20, 0xffff0000, v23
	v_fmac_f32_e32 v20, s4, v19
	v_and_b32_e32 v19, 0x7f800000, v20
	v_cmp_ne_u32_e32 vcc_lo, 0x7f800000, v19
                                        ; implicit-def: $vgpr19
	s_and_saveexec_b32 s2, vcc_lo
	s_xor_b32 s2, exec_lo, s2
; %bb.90:
	v_bfe_u32 v19, v20, 16, 1
	v_add3_u32 v19, v20, v19, 0x7fff
                                        ; implicit-def: $vgpr20
; %bb.91:
	s_andn2_saveexec_b32 s2, s2
; %bb.92:
	v_mov_b32_e32 v19, 0
	v_or_b32_e32 v23, 0x10000, v20
	v_cmp_eq_u32_sdwa vcc_lo, v20, v19 src0_sel:WORD_0 src1_sel:DWORD
	v_cndmask_b32_e32 v19, v23, v20, vcc_lo
; %bb.93:
	s_or_b32 exec_lo, exec_lo, s2
	flat_store_short_d16_hi v[4:5], v19 offset:64
	flat_load_ushort v2, v[2:3] offset:96
	s_waitcnt vmcnt(0) lgkmcnt(0)
	v_lshlrev_b32_e32 v2, 16, v2
	v_mul_f32_e32 v2, s8, v2
	v_and_b32_e32 v3, 0x7f800000, v2
	v_cmp_ne_u32_e32 vcc_lo, 0x7f800000, v3
                                        ; implicit-def: $vgpr3
	s_and_saveexec_b32 s2, vcc_lo
	s_xor_b32 s2, exec_lo, s2
; %bb.94:
	v_bfe_u32 v3, v2, 16, 1
	v_add3_u32 v3, v2, v3, 0x7fff
                                        ; implicit-def: $vgpr2
; %bb.95:
	s_andn2_saveexec_b32 s2, s2
; %bb.96:
	v_mov_b32_e32 v3, 0
	v_or_b32_e32 v19, 0x10000, v2
	v_cmp_eq_u32_sdwa vcc_lo, v2, v3 src0_sel:WORD_0 src1_sel:DWORD
	v_cndmask_b32_e32 v3, v19, v2, vcc_lo
; %bb.97:
	s_or_b32 exec_lo, exec_lo, s2
	v_and_b32_e32 v2, 0xffff0000, v3
	s_mov_b32 s2, exec_lo
	v_fmac_f32_e32 v2, s4, v18
                                        ; implicit-def: $vgpr18
	v_and_b32_e32 v3, 0x7f800000, v2
	v_cmpx_ne_u32_e32 0x7f800000, v3
	s_xor_b32 s2, exec_lo, s2
; %bb.98:
	v_bfe_u32 v3, v2, 16, 1
	v_add3_u32 v18, v2, v3, 0x7fff
                                        ; implicit-def: $vgpr2
; %bb.99:
	s_andn2_saveexec_b32 s2, s2
; %bb.100:
	v_mov_b32_e32 v3, 0
	v_or_b32_e32 v18, 0x10000, v2
	v_cmp_eq_u32_sdwa vcc_lo, v2, v3 src0_sel:WORD_0 src1_sel:DWORD
	v_cndmask_b32_e32 v18, v18, v2, vcc_lo
; %bb.101:
	s_or_b32 exec_lo, exec_lo, s2
	s_lshl_b64 s[2:3], s[14:15], 5
	flat_store_short_d16_hi v[4:5], v18 offset:96
	v_add_co_u32 v19, vcc_lo, v24, s2
	v_add_co_ci_u32_e64 v20, null, s3, v25, vcc_lo
	v_add_co_u32 v2, vcc_lo, v19, v0
	v_add_co_ci_u32_e64 v3, null, v20, v1, vcc_lo
	flat_load_ushort v4, v[2:3]
	s_waitcnt vmcnt(0) lgkmcnt(0)
	v_lshlrev_b32_e32 v4, 16, v4
	v_mul_f32_e32 v4, s8, v4
	v_and_b32_e32 v5, 0x7f800000, v4
	v_cmp_ne_u32_e32 vcc_lo, 0x7f800000, v5
                                        ; implicit-def: $vgpr5
	s_and_saveexec_b32 s2, vcc_lo
	s_xor_b32 s2, exec_lo, s2
; %bb.102:
	v_bfe_u32 v5, v4, 16, 1
	v_add3_u32 v5, v4, v5, 0x7fff
                                        ; implicit-def: $vgpr4
; %bb.103:
	s_andn2_saveexec_b32 s2, s2
; %bb.104:
	v_mov_b32_e32 v5, 0
	v_or_b32_e32 v18, 0x10000, v4
	v_cmp_eq_u32_sdwa vcc_lo, v4, v5 src0_sel:WORD_0 src1_sel:DWORD
	v_cndmask_b32_e32 v5, v18, v4, vcc_lo
; %bb.105:
	s_or_b32 exec_lo, exec_lo, s2
	v_and_b32_e32 v4, 0xffff0000, v5
	s_mov_b32 s2, exec_lo
                                        ; implicit-def: $vgpr23
	v_fmac_f32_e32 v4, s4, v17
	v_and_b32_e32 v5, 0x7f800000, v4
	v_cmpx_ne_u32_e32 0x7f800000, v5
	s_xor_b32 s2, exec_lo, s2
; %bb.106:
	v_bfe_u32 v5, v4, 16, 1
	v_add3_u32 v23, v4, v5, 0x7fff
                                        ; implicit-def: $vgpr4
; %bb.107:
	s_andn2_saveexec_b32 s2, s2
; %bb.108:
	v_mov_b32_e32 v5, 0
	v_or_b32_e32 v17, 0x10000, v4
	v_cmp_eq_u32_sdwa vcc_lo, v4, v5 src0_sel:WORD_0 src1_sel:DWORD
	v_cndmask_b32_e32 v23, v17, v4, vcc_lo
; %bb.109:
	s_or_b32 exec_lo, exec_lo, s2
	s_lshl_b64 s[2:3], s[0:1], 5
	v_add_co_u32 v17, vcc_lo, v21, s2
	v_add_co_ci_u32_e64 v18, null, s3, v22, vcc_lo
	v_add_co_u32 v4, vcc_lo, v17, v0
	v_add_co_ci_u32_e64 v5, null, v18, v1, vcc_lo
	flat_store_short_d16_hi v[4:5], v23
	flat_load_ushort v21, v[2:3] offset:32
	s_waitcnt vmcnt(0) lgkmcnt(0)
	v_lshlrev_b32_e32 v21, 16, v21
	v_mul_f32_e32 v21, s8, v21
	v_and_b32_e32 v22, 0x7f800000, v21
	v_cmp_ne_u32_e32 vcc_lo, 0x7f800000, v22
                                        ; implicit-def: $vgpr22
	s_and_saveexec_b32 s2, vcc_lo
	s_xor_b32 s2, exec_lo, s2
; %bb.110:
	v_bfe_u32 v22, v21, 16, 1
	v_add3_u32 v22, v21, v22, 0x7fff
                                        ; implicit-def: $vgpr21
; %bb.111:
	s_andn2_saveexec_b32 s2, s2
; %bb.112:
	v_mov_b32_e32 v22, 0
	v_or_b32_e32 v23, 0x10000, v21
	v_cmp_eq_u32_sdwa vcc_lo, v21, v22 src0_sel:WORD_0 src1_sel:DWORD
	v_cndmask_b32_e32 v22, v23, v21, vcc_lo
; %bb.113:
	s_or_b32 exec_lo, exec_lo, s2
	v_and_b32_e32 v21, 0xffff0000, v22
	v_fmac_f32_e32 v21, s4, v16
	v_and_b32_e32 v16, 0x7f800000, v21
	v_cmp_ne_u32_e32 vcc_lo, 0x7f800000, v16
                                        ; implicit-def: $vgpr16
	s_and_saveexec_b32 s2, vcc_lo
	s_xor_b32 s2, exec_lo, s2
; %bb.114:
	v_bfe_u32 v16, v21, 16, 1
	v_add3_u32 v16, v21, v16, 0x7fff
                                        ; implicit-def: $vgpr21
; %bb.115:
	s_andn2_saveexec_b32 s2, s2
; %bb.116:
	v_mov_b32_e32 v16, 0
	v_or_b32_e32 v22, 0x10000, v21
	v_cmp_eq_u32_sdwa vcc_lo, v21, v16 src0_sel:WORD_0 src1_sel:DWORD
	v_cndmask_b32_e32 v16, v22, v21, vcc_lo
; %bb.117:
	s_or_b32 exec_lo, exec_lo, s2
	flat_store_short_d16_hi v[4:5], v16 offset:32
	flat_load_ushort v16, v[2:3] offset:64
	s_waitcnt vmcnt(0) lgkmcnt(0)
	v_lshlrev_b32_e32 v16, 16, v16
	v_mul_f32_e32 v16, s8, v16
	v_and_b32_e32 v21, 0x7f800000, v16
	v_cmp_ne_u32_e32 vcc_lo, 0x7f800000, v21
                                        ; implicit-def: $vgpr21
	s_and_saveexec_b32 s2, vcc_lo
	s_xor_b32 s2, exec_lo, s2
; %bb.118:
	v_bfe_u32 v21, v16, 16, 1
	v_add3_u32 v21, v16, v21, 0x7fff
                                        ; implicit-def: $vgpr16
; %bb.119:
	s_andn2_saveexec_b32 s2, s2
; %bb.120:
	v_mov_b32_e32 v21, 0
	v_or_b32_e32 v22, 0x10000, v16
	v_cmp_eq_u32_sdwa vcc_lo, v16, v21 src0_sel:WORD_0 src1_sel:DWORD
	v_cndmask_b32_e32 v21, v22, v16, vcc_lo
; %bb.121:
	s_or_b32 exec_lo, exec_lo, s2
	v_and_b32_e32 v16, 0xffff0000, v21
	v_fmac_f32_e32 v16, s4, v15
	v_and_b32_e32 v15, 0x7f800000, v16
	v_cmp_ne_u32_e32 vcc_lo, 0x7f800000, v15
                                        ; implicit-def: $vgpr15
	s_and_saveexec_b32 s2, vcc_lo
	s_xor_b32 s2, exec_lo, s2
; %bb.122:
	v_bfe_u32 v15, v16, 16, 1
	v_add3_u32 v15, v16, v15, 0x7fff
                                        ; implicit-def: $vgpr16
; %bb.123:
	s_andn2_saveexec_b32 s2, s2
; %bb.124:
	v_mov_b32_e32 v15, 0
	v_or_b32_e32 v21, 0x10000, v16
	v_cmp_eq_u32_sdwa vcc_lo, v16, v15 src0_sel:WORD_0 src1_sel:DWORD
	v_cndmask_b32_e32 v15, v21, v16, vcc_lo
; %bb.125:
	s_or_b32 exec_lo, exec_lo, s2
	flat_store_short_d16_hi v[4:5], v15 offset:64
	flat_load_ushort v2, v[2:3] offset:96
	s_waitcnt vmcnt(0) lgkmcnt(0)
	v_lshlrev_b32_e32 v2, 16, v2
	v_mul_f32_e32 v2, s8, v2
	v_and_b32_e32 v3, 0x7f800000, v2
	v_cmp_ne_u32_e32 vcc_lo, 0x7f800000, v3
                                        ; implicit-def: $vgpr3
	s_and_saveexec_b32 s2, vcc_lo
	s_xor_b32 s2, exec_lo, s2
; %bb.126:
	v_bfe_u32 v3, v2, 16, 1
	v_add3_u32 v3, v2, v3, 0x7fff
                                        ; implicit-def: $vgpr2
; %bb.127:
	s_andn2_saveexec_b32 s2, s2
; %bb.128:
	v_mov_b32_e32 v3, 0
	v_or_b32_e32 v15, 0x10000, v2
	v_cmp_eq_u32_sdwa vcc_lo, v2, v3 src0_sel:WORD_0 src1_sel:DWORD
	v_cndmask_b32_e32 v3, v15, v2, vcc_lo
; %bb.129:
	s_or_b32 exec_lo, exec_lo, s2
	v_and_b32_e32 v2, 0xffff0000, v3
	s_mov_b32 s2, exec_lo
                                        ; implicit-def: $vgpr16
	v_fmac_f32_e32 v2, s4, v14
	v_and_b32_e32 v3, 0x7f800000, v2
	v_cmpx_ne_u32_e32 0x7f800000, v3
	s_xor_b32 s2, exec_lo, s2
; %bb.130:
	v_bfe_u32 v3, v2, 16, 1
	v_add3_u32 v16, v2, v3, 0x7fff
                                        ; implicit-def: $vgpr2
; %bb.131:
	s_or_saveexec_b32 s5, s2
	s_lshl_b64 s[2:3], s[14:15], 4
	s_xor_b32 exec_lo, exec_lo, s5
; %bb.132:
	v_mov_b32_e32 v3, 0
	v_or_b32_e32 v14, 0x10000, v2
	v_cmp_eq_u32_sdwa vcc_lo, v2, v3 src0_sel:WORD_0 src1_sel:DWORD
	v_cndmask_b32_e32 v16, v14, v2, vcc_lo
; %bb.133:
	s_or_b32 exec_lo, exec_lo, s5
	s_lshl_b64 s[2:3], s[2:3], 1
	flat_store_short_d16_hi v[4:5], v16 offset:96
	v_add_co_u32 v14, vcc_lo, v19, s2
	v_add_co_ci_u32_e64 v15, null, s3, v20, vcc_lo
	v_add_co_u32 v2, vcc_lo, v14, v0
	v_add_co_ci_u32_e64 v3, null, v15, v1, vcc_lo
	flat_load_ushort v4, v[2:3]
	s_waitcnt vmcnt(0) lgkmcnt(0)
	v_lshlrev_b32_e32 v4, 16, v4
	v_mul_f32_e32 v4, s8, v4
	v_and_b32_e32 v5, 0x7f800000, v4
	v_cmp_ne_u32_e32 vcc_lo, 0x7f800000, v5
                                        ; implicit-def: $vgpr5
	s_and_saveexec_b32 s5, vcc_lo
	s_xor_b32 s5, exec_lo, s5
; %bb.134:
	v_bfe_u32 v5, v4, 16, 1
	v_add3_u32 v5, v4, v5, 0x7fff
                                        ; implicit-def: $vgpr4
; %bb.135:
	s_andn2_saveexec_b32 s5, s5
; %bb.136:
	v_mov_b32_e32 v5, 0
	v_or_b32_e32 v16, 0x10000, v4
	v_cmp_eq_u32_sdwa vcc_lo, v4, v5 src0_sel:WORD_0 src1_sel:DWORD
	v_cndmask_b32_e32 v5, v16, v4, vcc_lo
; %bb.137:
	s_or_b32 exec_lo, exec_lo, s5
	v_and_b32_e32 v4, 0xffff0000, v5
	s_mov_b32 s5, exec_lo
                                        ; implicit-def: $vgpr19
	v_fmac_f32_e32 v4, s4, v13
	v_and_b32_e32 v5, 0x7f800000, v4
	v_cmpx_ne_u32_e32 0x7f800000, v5
	s_xor_b32 s5, exec_lo, s5
; %bb.138:
	v_bfe_u32 v5, v4, 16, 1
	v_add3_u32 v19, v4, v5, 0x7fff
                                        ; implicit-def: $vgpr4
; %bb.139:
	s_or_saveexec_b32 s5, s5
	s_lshl_b64 s[0:1], s[0:1], 4
	s_xor_b32 exec_lo, exec_lo, s5
; %bb.140:
	v_mov_b32_e32 v5, 0
	v_or_b32_e32 v13, 0x10000, v4
	v_cmp_eq_u32_sdwa vcc_lo, v4, v5 src0_sel:WORD_0 src1_sel:DWORD
	v_cndmask_b32_e32 v19, v13, v4, vcc_lo
; %bb.141:
	s_or_b32 exec_lo, exec_lo, s5
	s_lshl_b64 s[0:1], s[0:1], 1
	v_add_co_u32 v13, vcc_lo, v17, s0
	v_add_co_ci_u32_e64 v16, null, s1, v18, vcc_lo
	v_add_co_u32 v4, vcc_lo, v13, v0
	v_add_co_ci_u32_e64 v5, null, v16, v1, vcc_lo
	flat_store_short_d16_hi v[4:5], v19
	flat_load_ushort v17, v[2:3] offset:32
	s_waitcnt vmcnt(0) lgkmcnt(0)
	v_lshlrev_b32_e32 v17, 16, v17
	v_mul_f32_e32 v17, s8, v17
	v_and_b32_e32 v18, 0x7f800000, v17
	v_cmp_ne_u32_e32 vcc_lo, 0x7f800000, v18
                                        ; implicit-def: $vgpr18
	s_and_saveexec_b32 s5, vcc_lo
	s_xor_b32 s5, exec_lo, s5
; %bb.142:
	v_bfe_u32 v18, v17, 16, 1
	v_add3_u32 v18, v17, v18, 0x7fff
                                        ; implicit-def: $vgpr17
; %bb.143:
	s_andn2_saveexec_b32 s5, s5
; %bb.144:
	v_mov_b32_e32 v18, 0
	v_or_b32_e32 v19, 0x10000, v17
	v_cmp_eq_u32_sdwa vcc_lo, v17, v18 src0_sel:WORD_0 src1_sel:DWORD
	v_cndmask_b32_e32 v18, v19, v17, vcc_lo
; %bb.145:
	s_or_b32 exec_lo, exec_lo, s5
	v_and_b32_e32 v17, 0xffff0000, v18
	v_fmac_f32_e32 v17, s4, v12
	v_and_b32_e32 v12, 0x7f800000, v17
	v_cmp_ne_u32_e32 vcc_lo, 0x7f800000, v12
                                        ; implicit-def: $vgpr12
	s_and_saveexec_b32 s5, vcc_lo
	s_xor_b32 s5, exec_lo, s5
; %bb.146:
	v_bfe_u32 v12, v17, 16, 1
	v_add3_u32 v12, v17, v12, 0x7fff
                                        ; implicit-def: $vgpr17
; %bb.147:
	s_andn2_saveexec_b32 s5, s5
; %bb.148:
	v_mov_b32_e32 v12, 0
	v_or_b32_e32 v18, 0x10000, v17
	v_cmp_eq_u32_sdwa vcc_lo, v17, v12 src0_sel:WORD_0 src1_sel:DWORD
	v_cndmask_b32_e32 v12, v18, v17, vcc_lo
; %bb.149:
	s_or_b32 exec_lo, exec_lo, s5
	flat_store_short_d16_hi v[4:5], v12 offset:32
	flat_load_ushort v12, v[2:3] offset:64
	s_waitcnt vmcnt(0) lgkmcnt(0)
	v_lshlrev_b32_e32 v12, 16, v12
	v_mul_f32_e32 v12, s8, v12
	v_and_b32_e32 v17, 0x7f800000, v12
	v_cmp_ne_u32_e32 vcc_lo, 0x7f800000, v17
                                        ; implicit-def: $vgpr17
	s_and_saveexec_b32 s5, vcc_lo
	s_xor_b32 s5, exec_lo, s5
; %bb.150:
	v_bfe_u32 v17, v12, 16, 1
	v_add3_u32 v17, v12, v17, 0x7fff
                                        ; implicit-def: $vgpr12
; %bb.151:
	s_andn2_saveexec_b32 s5, s5
; %bb.152:
	v_mov_b32_e32 v17, 0
	v_or_b32_e32 v18, 0x10000, v12
	v_cmp_eq_u32_sdwa vcc_lo, v12, v17 src0_sel:WORD_0 src1_sel:DWORD
	v_cndmask_b32_e32 v17, v18, v12, vcc_lo
; %bb.153:
	s_or_b32 exec_lo, exec_lo, s5
	v_and_b32_e32 v12, 0xffff0000, v17
	v_fmac_f32_e32 v12, s4, v11
	v_and_b32_e32 v11, 0x7f800000, v12
	v_cmp_ne_u32_e32 vcc_lo, 0x7f800000, v11
                                        ; implicit-def: $vgpr11
	s_and_saveexec_b32 s5, vcc_lo
	s_xor_b32 s5, exec_lo, s5
; %bb.154:
	v_bfe_u32 v11, v12, 16, 1
	v_add3_u32 v11, v12, v11, 0x7fff
                                        ; implicit-def: $vgpr12
; %bb.155:
	s_andn2_saveexec_b32 s5, s5
; %bb.156:
	v_mov_b32_e32 v11, 0
	v_or_b32_e32 v17, 0x10000, v12
	v_cmp_eq_u32_sdwa vcc_lo, v12, v11 src0_sel:WORD_0 src1_sel:DWORD
	v_cndmask_b32_e32 v11, v17, v12, vcc_lo
; %bb.157:
	s_or_b32 exec_lo, exec_lo, s5
	flat_store_short_d16_hi v[4:5], v11 offset:64
	flat_load_ushort v2, v[2:3] offset:96
	s_waitcnt vmcnt(0) lgkmcnt(0)
	v_lshlrev_b32_e32 v2, 16, v2
	v_mul_f32_e32 v2, s8, v2
	v_and_b32_e32 v3, 0x7f800000, v2
	v_cmp_ne_u32_e32 vcc_lo, 0x7f800000, v3
                                        ; implicit-def: $vgpr3
	s_and_saveexec_b32 s5, vcc_lo
	s_xor_b32 s5, exec_lo, s5
; %bb.158:
	v_bfe_u32 v3, v2, 16, 1
	v_add3_u32 v3, v2, v3, 0x7fff
                                        ; implicit-def: $vgpr2
; %bb.159:
	s_andn2_saveexec_b32 s5, s5
; %bb.160:
	v_mov_b32_e32 v3, 0
	v_or_b32_e32 v11, 0x10000, v2
	v_cmp_eq_u32_sdwa vcc_lo, v2, v3 src0_sel:WORD_0 src1_sel:DWORD
	v_cndmask_b32_e32 v3, v11, v2, vcc_lo
; %bb.161:
	s_or_b32 exec_lo, exec_lo, s5
	v_and_b32_e32 v2, 0xffff0000, v3
	s_mov_b32 s5, exec_lo
	v_fmac_f32_e32 v2, s4, v10
                                        ; implicit-def: $vgpr10
	v_and_b32_e32 v3, 0x7f800000, v2
	v_cmpx_ne_u32_e32 0x7f800000, v3
	s_xor_b32 s5, exec_lo, s5
; %bb.162:
	v_bfe_u32 v3, v2, 16, 1
	v_add3_u32 v10, v2, v3, 0x7fff
                                        ; implicit-def: $vgpr2
; %bb.163:
	s_andn2_saveexec_b32 s5, s5
; %bb.164:
	v_mov_b32_e32 v3, 0
	v_or_b32_e32 v10, 0x10000, v2
	v_cmp_eq_u32_sdwa vcc_lo, v2, v3 src0_sel:WORD_0 src1_sel:DWORD
	v_cndmask_b32_e32 v10, v10, v2, vcc_lo
; %bb.165:
	s_or_b32 exec_lo, exec_lo, s5
	v_add_co_u32 v2, vcc_lo, v14, s2
	v_add_co_ci_u32_e64 v3, null, s3, v15, vcc_lo
	flat_store_short_d16_hi v[4:5], v10 offset:96
	v_add_co_u32 v2, vcc_lo, v2, v0
	v_add_co_ci_u32_e64 v3, null, v3, v1, vcc_lo
	flat_load_ushort v4, v[2:3]
	s_waitcnt vmcnt(0) lgkmcnt(0)
	v_lshlrev_b32_e32 v4, 16, v4
	v_mul_f32_e32 v4, s8, v4
	v_and_b32_e32 v5, 0x7f800000, v4
	v_cmp_ne_u32_e32 vcc_lo, 0x7f800000, v5
                                        ; implicit-def: $vgpr5
	s_and_saveexec_b32 s2, vcc_lo
	s_xor_b32 s2, exec_lo, s2
; %bb.166:
	v_bfe_u32 v5, v4, 16, 1
	v_add3_u32 v5, v4, v5, 0x7fff
                                        ; implicit-def: $vgpr4
; %bb.167:
	s_andn2_saveexec_b32 s2, s2
; %bb.168:
	v_mov_b32_e32 v5, 0
	v_or_b32_e32 v10, 0x10000, v4
	v_cmp_eq_u32_sdwa vcc_lo, v4, v5 src0_sel:WORD_0 src1_sel:DWORD
	v_cndmask_b32_e32 v5, v10, v4, vcc_lo
; %bb.169:
	s_or_b32 exec_lo, exec_lo, s2
	v_and_b32_e32 v5, 0xffff0000, v5
	v_fmac_f32_e32 v5, s4, v9
	v_and_b32_e32 v4, 0x7f800000, v5
	v_cmp_ne_u32_e32 vcc_lo, 0x7f800000, v4
                                        ; implicit-def: $vgpr4
	s_and_saveexec_b32 s2, vcc_lo
	s_xor_b32 s2, exec_lo, s2
; %bb.170:
	v_bfe_u32 v4, v5, 16, 1
	v_add3_u32 v4, v5, v4, 0x7fff
                                        ; implicit-def: $vgpr5
; %bb.171:
	s_andn2_saveexec_b32 s2, s2
; %bb.172:
	v_mov_b32_e32 v4, 0
	v_or_b32_e32 v9, 0x10000, v5
	v_cmp_eq_u32_sdwa vcc_lo, v5, v4 src0_sel:WORD_0 src1_sel:DWORD
	v_cndmask_b32_e32 v4, v9, v5, vcc_lo
; %bb.173:
	s_or_b32 exec_lo, exec_lo, s2
	v_add_co_u32 v5, vcc_lo, v13, s0
	v_add_co_ci_u32_e64 v9, null, s1, v16, vcc_lo
	v_add_co_u32 v0, vcc_lo, v5, v0
	v_add_co_ci_u32_e64 v1, null, v9, v1, vcc_lo
	flat_store_short_d16_hi v[0:1], v4
	flat_load_ushort v4, v[2:3] offset:32
	s_waitcnt vmcnt(0) lgkmcnt(0)
	v_lshlrev_b32_e32 v4, 16, v4
	v_mul_f32_e32 v4, s8, v4
	v_and_b32_e32 v5, 0x7f800000, v4
	v_cmp_ne_u32_e32 vcc_lo, 0x7f800000, v5
                                        ; implicit-def: $vgpr5
	s_and_saveexec_b32 s0, vcc_lo
	s_xor_b32 s0, exec_lo, s0
; %bb.174:
	v_bfe_u32 v5, v4, 16, 1
	v_add3_u32 v5, v4, v5, 0x7fff
                                        ; implicit-def: $vgpr4
; %bb.175:
	s_andn2_saveexec_b32 s0, s0
; %bb.176:
	v_mov_b32_e32 v5, 0
	v_or_b32_e32 v9, 0x10000, v4
	v_cmp_eq_u32_sdwa vcc_lo, v4, v5 src0_sel:WORD_0 src1_sel:DWORD
	v_cndmask_b32_e32 v5, v9, v4, vcc_lo
; %bb.177:
	s_or_b32 exec_lo, exec_lo, s0
	v_and_b32_e32 v4, 0xffff0000, v5
	v_fmac_f32_e32 v4, s4, v8
	v_and_b32_e32 v5, 0x7f800000, v4
	v_cmp_ne_u32_e32 vcc_lo, 0x7f800000, v5
                                        ; implicit-def: $vgpr5
	s_and_saveexec_b32 s0, vcc_lo
	s_xor_b32 s0, exec_lo, s0
; %bb.178:
	v_bfe_u32 v5, v4, 16, 1
	v_add3_u32 v5, v4, v5, 0x7fff
                                        ; implicit-def: $vgpr4
; %bb.179:
	s_andn2_saveexec_b32 s0, s0
; %bb.180:
	v_mov_b32_e32 v5, 0
	v_or_b32_e32 v8, 0x10000, v4
	v_cmp_eq_u32_sdwa vcc_lo, v4, v5 src0_sel:WORD_0 src1_sel:DWORD
	v_cndmask_b32_e32 v5, v8, v4, vcc_lo
; %bb.181:
	s_or_b32 exec_lo, exec_lo, s0
	flat_store_short_d16_hi v[0:1], v5 offset:32
	flat_load_ushort v4, v[2:3] offset:64
	s_waitcnt vmcnt(0) lgkmcnt(0)
	v_lshlrev_b32_e32 v4, 16, v4
	v_mul_f32_e32 v4, s8, v4
	v_and_b32_e32 v5, 0x7f800000, v4
	v_cmp_ne_u32_e32 vcc_lo, 0x7f800000, v5
                                        ; implicit-def: $vgpr5
	s_and_saveexec_b32 s0, vcc_lo
	s_xor_b32 s0, exec_lo, s0
; %bb.182:
	v_bfe_u32 v5, v4, 16, 1
	v_add3_u32 v5, v4, v5, 0x7fff
                                        ; implicit-def: $vgpr4
; %bb.183:
	s_andn2_saveexec_b32 s0, s0
; %bb.184:
	v_mov_b32_e32 v5, 0
	v_or_b32_e32 v8, 0x10000, v4
	v_cmp_eq_u32_sdwa vcc_lo, v4, v5 src0_sel:WORD_0 src1_sel:DWORD
	v_cndmask_b32_e32 v5, v8, v4, vcc_lo
; %bb.185:
	s_or_b32 exec_lo, exec_lo, s0
	v_and_b32_e32 v4, 0xffff0000, v5
	v_fmac_f32_e32 v4, s4, v7
	v_and_b32_e32 v5, 0x7f800000, v4
	v_cmp_ne_u32_e32 vcc_lo, 0x7f800000, v5
                                        ; implicit-def: $vgpr5
	s_and_saveexec_b32 s0, vcc_lo
	s_xor_b32 s0, exec_lo, s0
; %bb.186:
	v_bfe_u32 v5, v4, 16, 1
	v_add3_u32 v5, v4, v5, 0x7fff
                                        ; implicit-def: $vgpr4
; %bb.187:
	s_andn2_saveexec_b32 s0, s0
; %bb.188:
	v_mov_b32_e32 v5, 0
	v_or_b32_e32 v7, 0x10000, v4
	v_cmp_eq_u32_sdwa vcc_lo, v4, v5 src0_sel:WORD_0 src1_sel:DWORD
	v_cndmask_b32_e32 v5, v7, v4, vcc_lo
; %bb.189:
	s_or_b32 exec_lo, exec_lo, s0
	flat_store_short_d16_hi v[0:1], v5 offset:64
	flat_load_ushort v2, v[2:3] offset:96
	s_waitcnt vmcnt(0) lgkmcnt(0)
	v_lshlrev_b32_e32 v2, 16, v2
	v_mul_f32_e32 v2, s8, v2
	v_and_b32_e32 v3, 0x7f800000, v2
	v_cmp_ne_u32_e32 vcc_lo, 0x7f800000, v3
                                        ; implicit-def: $vgpr3
	s_and_saveexec_b32 s0, vcc_lo
	s_xor_b32 s0, exec_lo, s0
; %bb.190:
	v_bfe_u32 v3, v2, 16, 1
	v_add3_u32 v3, v2, v3, 0x7fff
                                        ; implicit-def: $vgpr2
; %bb.191:
	s_andn2_saveexec_b32 s0, s0
; %bb.192:
	v_mov_b32_e32 v3, 0
	v_or_b32_e32 v4, 0x10000, v2
	v_cmp_eq_u32_sdwa vcc_lo, v2, v3 src0_sel:WORD_0 src1_sel:DWORD
	v_cndmask_b32_e32 v3, v4, v2, vcc_lo
; %bb.193:
	s_or_b32 exec_lo, exec_lo, s0
	v_and_b32_e32 v2, 0xffff0000, v3
	v_fmac_f32_e32 v2, s4, v6
	v_and_b32_e32 v3, 0x7f800000, v2
	v_cmp_ne_u32_e32 vcc_lo, 0x7f800000, v3
                                        ; implicit-def: $vgpr3
	s_and_saveexec_b32 s0, vcc_lo
	s_xor_b32 s0, exec_lo, s0
	s_cbranch_execnz .LBB143_198
; %bb.194:
	s_andn2_saveexec_b32 s0, s0
	s_cbranch_execnz .LBB143_199
.LBB143_195:
	s_or_b32 exec_lo, exec_lo, s0
	flat_store_short_d16_hi v[0:1], v3 offset:96
	s_endpgm
.LBB143_196:
	s_cbranch_execnz .LBB143_69
.LBB143_197:
	s_endpgm
.LBB143_198:
	v_bfe_u32 v3, v2, 16, 1
	v_add3_u32 v3, v2, v3, 0x7fff
                                        ; implicit-def: $vgpr2
	s_andn2_saveexec_b32 s0, s0
	s_cbranch_execz .LBB143_195
.LBB143_199:
	v_mov_b32_e32 v3, 0
	v_or_b32_e32 v4, 0x10000, v2
	v_cmp_eq_u32_sdwa vcc_lo, v2, v3 src0_sel:WORD_0 src1_sel:DWORD
	v_cndmask_b32_e32 v3, v4, v2, vcc_lo
	s_or_b32 exec_lo, exec_lo, s0
	flat_store_short_d16_hi v[0:1], v3 offset:96
	s_endpgm
	.section	.rodata,"a",@progbits
	.p2align	6, 0x0
	.amdhsa_kernel _ZN12_GLOBAL__N_127rocblas_gemm_batched_kernelIfLi16ELi16ELi64ELi64ELi4ELi64ELi4ELi4ELi64ELc84ELc84EKPK16rocblas_bfloat16S4_KPS1_EEvlllT_PT11_llS9_llS7_PT12_llPT13_lli
		.amdhsa_group_segment_fixed_size 2048
		.amdhsa_private_segment_fixed_size 0
		.amdhsa_kernarg_size 140
		.amdhsa_user_sgpr_count 6
		.amdhsa_user_sgpr_private_segment_buffer 1
		.amdhsa_user_sgpr_dispatch_ptr 0
		.amdhsa_user_sgpr_queue_ptr 0
		.amdhsa_user_sgpr_kernarg_segment_ptr 1
		.amdhsa_user_sgpr_dispatch_id 0
		.amdhsa_user_sgpr_flat_scratch_init 0
		.amdhsa_user_sgpr_private_segment_size 0
		.amdhsa_wavefront_size32 1
		.amdhsa_uses_dynamic_stack 0
		.amdhsa_system_sgpr_private_segment_wavefront_offset 0
		.amdhsa_system_sgpr_workgroup_id_x 1
		.amdhsa_system_sgpr_workgroup_id_y 1
		.amdhsa_system_sgpr_workgroup_id_z 1
		.amdhsa_system_sgpr_workgroup_info 0
		.amdhsa_system_vgpr_workitem_id 1
		.amdhsa_next_free_vgpr 58
		.amdhsa_next_free_sgpr 36
		.amdhsa_reserve_vcc 1
		.amdhsa_reserve_flat_scratch 0
		.amdhsa_float_round_mode_32 0
		.amdhsa_float_round_mode_16_64 0
		.amdhsa_float_denorm_mode_32 3
		.amdhsa_float_denorm_mode_16_64 3
		.amdhsa_dx10_clamp 1
		.amdhsa_ieee_mode 1
		.amdhsa_fp16_overflow 0
		.amdhsa_workgroup_processor_mode 1
		.amdhsa_memory_ordered 1
		.amdhsa_forward_progress 1
		.amdhsa_shared_vgpr_count 0
		.amdhsa_exception_fp_ieee_invalid_op 0
		.amdhsa_exception_fp_denorm_src 0
		.amdhsa_exception_fp_ieee_div_zero 0
		.amdhsa_exception_fp_ieee_overflow 0
		.amdhsa_exception_fp_ieee_underflow 0
		.amdhsa_exception_fp_ieee_inexact 0
		.amdhsa_exception_int_div_zero 0
	.end_amdhsa_kernel
	.section	.text._ZN12_GLOBAL__N_127rocblas_gemm_batched_kernelIfLi16ELi16ELi64ELi64ELi4ELi64ELi4ELi4ELi64ELc84ELc84EKPK16rocblas_bfloat16S4_KPS1_EEvlllT_PT11_llS9_llS7_PT12_llPT13_lli,"axG",@progbits,_ZN12_GLOBAL__N_127rocblas_gemm_batched_kernelIfLi16ELi16ELi64ELi64ELi4ELi64ELi4ELi4ELi64ELc84ELc84EKPK16rocblas_bfloat16S4_KPS1_EEvlllT_PT11_llS9_llS7_PT12_llPT13_lli,comdat
.Lfunc_end143:
	.size	_ZN12_GLOBAL__N_127rocblas_gemm_batched_kernelIfLi16ELi16ELi64ELi64ELi4ELi64ELi4ELi4ELi64ELc84ELc84EKPK16rocblas_bfloat16S4_KPS1_EEvlllT_PT11_llS9_llS7_PT12_llPT13_lli, .Lfunc_end143-_ZN12_GLOBAL__N_127rocblas_gemm_batched_kernelIfLi16ELi16ELi64ELi64ELi4ELi64ELi4ELi4ELi64ELc84ELc84EKPK16rocblas_bfloat16S4_KPS1_EEvlllT_PT11_llS9_llS7_PT12_llPT13_lli
                                        ; -- End function
	.set _ZN12_GLOBAL__N_127rocblas_gemm_batched_kernelIfLi16ELi16ELi64ELi64ELi4ELi64ELi4ELi4ELi64ELc84ELc84EKPK16rocblas_bfloat16S4_KPS1_EEvlllT_PT11_llS9_llS7_PT12_llPT13_lli.num_vgpr, 58
	.set _ZN12_GLOBAL__N_127rocblas_gemm_batched_kernelIfLi16ELi16ELi64ELi64ELi4ELi64ELi4ELi4ELi64ELc84ELc84EKPK16rocblas_bfloat16S4_KPS1_EEvlllT_PT11_llS9_llS7_PT12_llPT13_lli.num_agpr, 0
	.set _ZN12_GLOBAL__N_127rocblas_gemm_batched_kernelIfLi16ELi16ELi64ELi64ELi4ELi64ELi4ELi4ELi64ELc84ELc84EKPK16rocblas_bfloat16S4_KPS1_EEvlllT_PT11_llS9_llS7_PT12_llPT13_lli.numbered_sgpr, 36
	.set _ZN12_GLOBAL__N_127rocblas_gemm_batched_kernelIfLi16ELi16ELi64ELi64ELi4ELi64ELi4ELi4ELi64ELc84ELc84EKPK16rocblas_bfloat16S4_KPS1_EEvlllT_PT11_llS9_llS7_PT12_llPT13_lli.num_named_barrier, 0
	.set _ZN12_GLOBAL__N_127rocblas_gemm_batched_kernelIfLi16ELi16ELi64ELi64ELi4ELi64ELi4ELi4ELi64ELc84ELc84EKPK16rocblas_bfloat16S4_KPS1_EEvlllT_PT11_llS9_llS7_PT12_llPT13_lli.private_seg_size, 0
	.set _ZN12_GLOBAL__N_127rocblas_gemm_batched_kernelIfLi16ELi16ELi64ELi64ELi4ELi64ELi4ELi4ELi64ELc84ELc84EKPK16rocblas_bfloat16S4_KPS1_EEvlllT_PT11_llS9_llS7_PT12_llPT13_lli.uses_vcc, 1
	.set _ZN12_GLOBAL__N_127rocblas_gemm_batched_kernelIfLi16ELi16ELi64ELi64ELi4ELi64ELi4ELi4ELi64ELc84ELc84EKPK16rocblas_bfloat16S4_KPS1_EEvlllT_PT11_llS9_llS7_PT12_llPT13_lli.uses_flat_scratch, 0
	.set _ZN12_GLOBAL__N_127rocblas_gemm_batched_kernelIfLi16ELi16ELi64ELi64ELi4ELi64ELi4ELi4ELi64ELc84ELc84EKPK16rocblas_bfloat16S4_KPS1_EEvlllT_PT11_llS9_llS7_PT12_llPT13_lli.has_dyn_sized_stack, 0
	.set _ZN12_GLOBAL__N_127rocblas_gemm_batched_kernelIfLi16ELi16ELi64ELi64ELi4ELi64ELi4ELi4ELi64ELc84ELc84EKPK16rocblas_bfloat16S4_KPS1_EEvlllT_PT11_llS9_llS7_PT12_llPT13_lli.has_recursion, 0
	.set _ZN12_GLOBAL__N_127rocblas_gemm_batched_kernelIfLi16ELi16ELi64ELi64ELi4ELi64ELi4ELi4ELi64ELc84ELc84EKPK16rocblas_bfloat16S4_KPS1_EEvlllT_PT11_llS9_llS7_PT12_llPT13_lli.has_indirect_call, 0
	.section	.AMDGPU.csdata,"",@progbits
; Kernel info:
; codeLenInByte = 6236
; TotalNumSgprs: 38
; NumVgprs: 58
; ScratchSize: 0
; MemoryBound: 0
; FloatMode: 240
; IeeeMode: 1
; LDSByteSize: 2048 bytes/workgroup (compile time only)
; SGPRBlocks: 0
; VGPRBlocks: 7
; NumSGPRsForWavesPerEU: 38
; NumVGPRsForWavesPerEU: 58
; Occupancy: 16
; WaveLimiterHint : 1
; COMPUTE_PGM_RSRC2:SCRATCH_EN: 0
; COMPUTE_PGM_RSRC2:USER_SGPR: 6
; COMPUTE_PGM_RSRC2:TRAP_HANDLER: 0
; COMPUTE_PGM_RSRC2:TGID_X_EN: 1
; COMPUTE_PGM_RSRC2:TGID_Y_EN: 1
; COMPUTE_PGM_RSRC2:TGID_Z_EN: 1
; COMPUTE_PGM_RSRC2:TIDIG_COMP_CNT: 1
	.section	.text._ZN12_GLOBAL__N_127rocblas_gemm_batched_kernelIfLi16ELi16ELi64ELi64ELi4ELi64ELi4ELi4ELi64ELc67ELc67EKPK16rocblas_bfloat16S4_KPS1_EEvlllT_PT11_llS9_llS7_PT12_llPT13_lli,"axG",@progbits,_ZN12_GLOBAL__N_127rocblas_gemm_batched_kernelIfLi16ELi16ELi64ELi64ELi4ELi64ELi4ELi4ELi64ELc67ELc67EKPK16rocblas_bfloat16S4_KPS1_EEvlllT_PT11_llS9_llS7_PT12_llPT13_lli,comdat
	.globl	_ZN12_GLOBAL__N_127rocblas_gemm_batched_kernelIfLi16ELi16ELi64ELi64ELi4ELi64ELi4ELi4ELi64ELc67ELc67EKPK16rocblas_bfloat16S4_KPS1_EEvlllT_PT11_llS9_llS7_PT12_llPT13_lli ; -- Begin function _ZN12_GLOBAL__N_127rocblas_gemm_batched_kernelIfLi16ELi16ELi64ELi64ELi4ELi64ELi4ELi4ELi64ELc67ELc67EKPK16rocblas_bfloat16S4_KPS1_EEvlllT_PT11_llS9_llS7_PT12_llPT13_lli
	.p2align	8
	.type	_ZN12_GLOBAL__N_127rocblas_gemm_batched_kernelIfLi16ELi16ELi64ELi64ELi4ELi64ELi4ELi4ELi64ELc67ELc67EKPK16rocblas_bfloat16S4_KPS1_EEvlllT_PT11_llS9_llS7_PT12_llPT13_lli,@function
_ZN12_GLOBAL__N_127rocblas_gemm_batched_kernelIfLi16ELi16ELi64ELi64ELi4ELi64ELi4ELi4ELi64ELc67ELc67EKPK16rocblas_bfloat16S4_KPS1_EEvlllT_PT11_llS9_llS7_PT12_llPT13_lli: ; @_ZN12_GLOBAL__N_127rocblas_gemm_batched_kernelIfLi16ELi16ELi64ELi64ELi4ELi64ELi4ELi4ELi64ELc67ELc67EKPK16rocblas_bfloat16S4_KPS1_EEvlllT_PT11_llS9_llS7_PT12_llPT13_lli
; %bb.0:
	s_clause 0x1
	s_load_dwordx8 s[12:19], s[4:5], 0x58
	s_load_dwordx2 s[28:29], s[4:5], 0x10
	s_mov_b32 s9, 0
	s_load_dwordx4 s[0:3], s[4:5], 0x78
	s_lshl_b64 s[34:35], s[8:9], 3
	s_mov_b32 s10, s7
	v_mov_b32_e32 v21, 0
	v_mov_b32_e32 v20, 0
	;; [unrolled: 1-line block ×14, first 2 shown]
	s_waitcnt lgkmcnt(0)
	s_add_u32 s8, s12, s34
	s_addc_u32 s9, s13, s35
	s_add_u32 s18, s18, s34
	s_addc_u32 s19, s19, s35
	s_load_dwordx2 s[12:13], s[8:9], 0x0
	s_load_dwordx2 s[18:19], s[18:19], 0x0
	v_cmp_lt_i64_e64 s20, s[28:29], 1
	v_mov_b32_e32 v7, 0
	v_mov_b32_e32 v6, 0
	s_ashr_i32 s7, s6, 31
	s_ashr_i32 s11, s10, 31
	s_lshl_b64 s[6:7], s[6:7], 6
	s_and_b32 vcc_lo, exec_lo, s20
	s_lshl_b64 s[30:31], s[10:11], 6
	s_cbranch_vccnz .LBB144_3
; %bb.1:
	v_lshlrev_b32_e32 v9, 4, v1
	s_clause 0x1
	s_load_dwordx8 s[20:27], s[4:5], 0x20
	s_load_dwordx4 s[8:11], s[4:5], 0x40
	v_and_b32_e32 v10, 3, v0
	v_mov_b32_e32 v6, 0
	v_lshlrev_b32_e32 v22, 2, v0
	v_add_nc_u32_e32 v7, v9, v0
	v_add_nc_u32_e32 v25, 0x400, v9
	v_lshlrev_b32_e32 v12, 2, v10
	v_mov_b32_e32 v9, 0
	v_mov_b32_e32 v16, 0
	v_lshrrev_b32_e32 v8, 2, v7
	v_and_b32_e32 v11, 63, v7
	v_lshrrev_b32_e32 v15, 6, v7
	v_mov_b32_e32 v17, 0
	v_mov_b32_e32 v18, 0
	v_add_co_u32 v2, s33, v8, s30
	v_add_co_ci_u32_e64 v3, null, 0, s31, s33
	v_add_co_u32 v4, s33, s6, v11
	v_add_co_ci_u32_e64 v5, null, s7, 0, s33
	s_waitcnt lgkmcnt(0)
	v_mad_u64_u32 v[2:3], null, s8, v10, v[2:3]
	v_mul_lo_u32 v13, s23, v4
	v_mul_lo_u32 v14, s22, v5
	v_mad_u64_u32 v[4:5], null, s22, v4, 0
	s_add_u32 s20, s20, s34
	s_addc_u32 s21, s21, s35
	s_add_u32 s22, s26, s34
	s_addc_u32 s23, s27, s35
	s_load_dwordx2 s[20:21], s[20:21], 0x0
	s_load_dwordx2 s[22:23], s[22:23], 0x0
	v_add3_u32 v5, v5, v14, v13
	v_lshl_or_b32 v12, v8, 4, v12
	v_mad_u64_u32 v[7:8], null, s9, v10, v[3:4]
	s_lshl_b64 s[24:25], s[24:25], 1
	v_lshlrev_b64 v[4:5], 1, v[4:5]
	s_lshl_b64 s[10:11], s[10:11], 1
	v_lshlrev_b32_e32 v11, 2, v11
	v_add_nc_u32_e32 v24, 0x400, v12
	v_mov_b32_e32 v10, 0
	v_mov_b32_e32 v3, v7
	v_lshlrev_b32_e32 v7, 1, v15
	v_add_co_u32 v4, vcc_lo, v4, s24
	v_add_co_ci_u32_e64 v5, null, s25, v5, vcc_lo
	v_lshl_or_b32 v23, v15, 8, v11
	v_add_co_u32 v7, vcc_lo, v4, v7
	v_add_co_ci_u32_e64 v8, null, 0, v5, vcc_lo
	v_lshlrev_b64 v[4:5], 1, v[2:3]
	s_waitcnt lgkmcnt(0)
	v_add_co_u32 v2, vcc_lo, s20, v7
	s_add_u32 s10, s22, s10
	v_add_co_ci_u32_e64 v3, null, s21, v8, vcc_lo
	s_addc_u32 s11, s23, s11
	v_add_co_u32 v4, vcc_lo, s10, v4
	v_add_co_ci_u32_e64 v5, null, s11, v5, vcc_lo
	v_mov_b32_e32 v7, 0
	v_mov_b32_e32 v8, 0
	v_mov_b32_e32 v11, 0
	v_mov_b32_e32 v12, 0
	v_mov_b32_e32 v13, 0
	v_mov_b32_e32 v14, 0
	v_mov_b32_e32 v15, 0
	v_mov_b32_e32 v19, 0
	v_mov_b32_e32 v20, 0
	v_mov_b32_e32 v21, 0
	s_lshl_b64 s[8:9], s[8:9], 3
	s_mov_b64 s[10:11], 0
.LBB144_2:                              ; =>This Inner Loop Header: Depth=1
	flat_load_ushort v26, v[2:3]
	flat_load_ushort v27, v[4:5]
	s_add_u32 s10, s10, 4
	s_addc_u32 s11, s11, 0
	v_add_co_u32 v2, vcc_lo, v2, 8
	v_cmp_lt_i64_e64 s20, s[10:11], s[28:29]
	v_add_co_ci_u32_e64 v3, null, 0, v3, vcc_lo
	v_add_co_u32 v4, vcc_lo, v4, s8
	v_add_co_ci_u32_e64 v5, null, s9, v5, vcc_lo
	s_and_b32 vcc_lo, exec_lo, s20
	s_waitcnt vmcnt(1) lgkmcnt(1)
	v_lshlrev_b32_e32 v26, 16, v26
	s_waitcnt vmcnt(0) lgkmcnt(0)
	v_lshlrev_b32_e32 v27, 16, v27
	ds_write_b32 v23, v26
	ds_write_b32 v24, v27
	s_waitcnt lgkmcnt(0)
	s_barrier
	buffer_gl0_inv
	ds_read_b128 v[26:29], v25
	ds_read2_b32 v[42:43], v22 offset1:16
	ds_read2_b32 v[44:45], v22 offset0:32 offset1:48
	ds_read_b128 v[30:33], v25 offset:256
	ds_read_b128 v[34:37], v25 offset:512
	;; [unrolled: 1-line block ×3, first 2 shown]
	ds_read2_b32 v[46:47], v22 offset0:64 offset1:80
	ds_read2_b32 v[48:49], v22 offset0:96 offset1:112
	;; [unrolled: 1-line block ×6, first 2 shown]
	s_waitcnt lgkmcnt(0)
	s_barrier
	buffer_gl0_inv
	v_fmac_f32_e32 v21, v42, v26
	v_fmac_f32_e32 v20, v43, v26
	;; [unrolled: 1-line block ×64, first 2 shown]
	s_cbranch_vccnz .LBB144_2
.LBB144_3:
	s_clause 0x1
	s_load_dword s8, s[4:5], 0x50
	s_load_dword s4, s[4:5], 0x18
	s_lshl_b64 s[2:3], s[2:3], 1
	s_waitcnt lgkmcnt(0)
	s_add_u32 s5, s18, s2
	v_add_co_u32 v22, s2, s30, v1
	s_addc_u32 s9, s19, s3
	v_add_co_ci_u32_e64 v23, null, s31, 0, s2
	v_add_co_u32 v0, s3, s6, v0
	v_add_co_ci_u32_e64 v1, null, s7, 0, s3
	v_cmp_neq_f32_e64 s2, s8, 0
	s_and_b32 vcc_lo, exec_lo, s2
	s_cbranch_vccnz .LBB144_196
; %bb.4:
	v_mul_f32_e32 v2, s4, v21
	s_mov_b32 s2, exec_lo
                                        ; implicit-def: $vgpr26
	v_and_b32_e32 v3, 0x7f800000, v2
	v_cmpx_ne_u32_e32 0x7f800000, v3
	s_xor_b32 s2, exec_lo, s2
; %bb.5:
	v_bfe_u32 v3, v2, 16, 1
	v_add3_u32 v26, v2, v3, 0x7fff
                                        ; implicit-def: $vgpr2
; %bb.6:
	s_andn2_saveexec_b32 s2, s2
; %bb.7:
	v_mov_b32_e32 v3, 0
	v_or_b32_e32 v4, 0x10000, v2
	v_cmp_eq_u32_sdwa vcc_lo, v2, v3 src0_sel:WORD_0 src1_sel:DWORD
	v_cndmask_b32_e32 v26, v4, v2, vcc_lo
; %bb.8:
	s_or_b32 exec_lo, exec_lo, s2
	v_mul_lo_u32 v4, v23, s0
	v_mul_lo_u32 v5, v22, s1
	v_mad_u64_u32 v[2:3], null, v22, s0, 0
	v_mul_f32_e32 v27, s4, v20
	v_and_b32_e32 v28, 0x7f800000, v27
	v_add3_u32 v3, v3, v5, v4
	v_lshlrev_b64 v[4:5], 1, v[2:3]
	v_lshlrev_b64 v[2:3], 1, v[0:1]
	v_add_co_u32 v24, vcc_lo, s5, v4
	v_add_co_ci_u32_e64 v25, null, s9, v5, vcc_lo
	v_add_co_u32 v4, vcc_lo, v24, v2
	v_add_co_ci_u32_e64 v5, null, v25, v3, vcc_lo
	v_cmp_ne_u32_e32 vcc_lo, 0x7f800000, v28
                                        ; implicit-def: $vgpr28
	flat_store_short_d16_hi v[4:5], v26
	s_and_saveexec_b32 s2, vcc_lo
	s_xor_b32 s2, exec_lo, s2
; %bb.9:
	v_bfe_u32 v26, v27, 16, 1
	v_add3_u32 v28, v27, v26, 0x7fff
                                        ; implicit-def: $vgpr27
; %bb.10:
	s_andn2_saveexec_b32 s2, s2
; %bb.11:
	v_mov_b32_e32 v26, 0
	v_or_b32_e32 v28, 0x10000, v27
	v_cmp_eq_u32_sdwa vcc_lo, v27, v26 src0_sel:WORD_0 src1_sel:DWORD
	v_cndmask_b32_e32 v28, v28, v27, vcc_lo
; %bb.12:
	s_or_b32 exec_lo, exec_lo, s2
	v_mul_f32_e32 v26, s4, v19
	flat_store_short_d16_hi v[4:5], v28 offset:32
	v_and_b32_e32 v27, 0x7f800000, v26
	v_cmp_ne_u32_e32 vcc_lo, 0x7f800000, v27
                                        ; implicit-def: $vgpr27
	s_and_saveexec_b32 s2, vcc_lo
	s_xor_b32 s2, exec_lo, s2
; %bb.13:
	v_bfe_u32 v27, v26, 16, 1
	v_add3_u32 v27, v26, v27, 0x7fff
                                        ; implicit-def: $vgpr26
; %bb.14:
	s_andn2_saveexec_b32 s2, s2
; %bb.15:
	v_mov_b32_e32 v27, 0
	v_or_b32_e32 v28, 0x10000, v26
	v_cmp_eq_u32_sdwa vcc_lo, v26, v27 src0_sel:WORD_0 src1_sel:DWORD
	v_cndmask_b32_e32 v27, v28, v26, vcc_lo
; %bb.16:
	s_or_b32 exec_lo, exec_lo, s2
	v_mul_f32_e32 v26, s4, v18
	flat_store_short_d16_hi v[4:5], v27 offset:64
	v_and_b32_e32 v28, 0x7f800000, v26
	v_cmp_ne_u32_e32 vcc_lo, 0x7f800000, v28
                                        ; implicit-def: $vgpr28
	s_and_saveexec_b32 s2, vcc_lo
	s_xor_b32 s2, exec_lo, s2
; %bb.17:
	v_bfe_u32 v27, v26, 16, 1
	v_add3_u32 v28, v26, v27, 0x7fff
                                        ; implicit-def: $vgpr26
; %bb.18:
	s_andn2_saveexec_b32 s2, s2
; %bb.19:
	v_mov_b32_e32 v27, 0
	v_or_b32_e32 v28, 0x10000, v26
	v_cmp_eq_u32_sdwa vcc_lo, v26, v27 src0_sel:WORD_0 src1_sel:DWORD
	v_cndmask_b32_e32 v28, v28, v26, vcc_lo
; %bb.20:
	s_or_b32 exec_lo, exec_lo, s2
	v_mul_f32_e32 v27, s4, v17
	flat_store_short_d16_hi v[4:5], v28 offset:96
	v_and_b32_e32 v26, 0x7f800000, v27
	v_cmp_ne_u32_e32 vcc_lo, 0x7f800000, v26
                                        ; implicit-def: $vgpr26
	s_and_saveexec_b32 s2, vcc_lo
	s_xor_b32 s2, exec_lo, s2
; %bb.21:
	v_bfe_u32 v4, v27, 16, 1
	v_add3_u32 v26, v27, v4, 0x7fff
                                        ; implicit-def: $vgpr27
; %bb.22:
	s_andn2_saveexec_b32 s2, s2
; %bb.23:
	v_mov_b32_e32 v4, 0
	v_or_b32_e32 v5, 0x10000, v27
	v_cmp_eq_u32_sdwa vcc_lo, v27, v4 src0_sel:WORD_0 src1_sel:DWORD
	v_cndmask_b32_e32 v26, v5, v27, vcc_lo
; %bb.24:
	s_or_b32 exec_lo, exec_lo, s2
	v_mul_f32_e32 v27, s4, v16
	s_lshl_b64 s[2:3], s[0:1], 5
	v_add_co_u32 v24, vcc_lo, v24, s2
	v_add_co_ci_u32_e64 v25, null, s3, v25, vcc_lo
	v_and_b32_e32 v28, 0x7f800000, v27
	v_add_co_u32 v4, vcc_lo, v24, v2
	v_add_co_ci_u32_e64 v5, null, v25, v3, vcc_lo
	v_cmp_ne_u32_e32 vcc_lo, 0x7f800000, v28
                                        ; implicit-def: $vgpr28
	flat_store_short_d16_hi v[4:5], v26
	s_and_saveexec_b32 s2, vcc_lo
	s_xor_b32 s2, exec_lo, s2
; %bb.25:
	v_bfe_u32 v26, v27, 16, 1
	v_add3_u32 v28, v27, v26, 0x7fff
                                        ; implicit-def: $vgpr27
; %bb.26:
	s_andn2_saveexec_b32 s2, s2
; %bb.27:
	v_mov_b32_e32 v26, 0
	v_or_b32_e32 v28, 0x10000, v27
	v_cmp_eq_u32_sdwa vcc_lo, v27, v26 src0_sel:WORD_0 src1_sel:DWORD
	v_cndmask_b32_e32 v28, v28, v27, vcc_lo
; %bb.28:
	s_or_b32 exec_lo, exec_lo, s2
	v_mul_f32_e32 v26, s4, v15
	flat_store_short_d16_hi v[4:5], v28 offset:32
	v_and_b32_e32 v27, 0x7f800000, v26
	v_cmp_ne_u32_e32 vcc_lo, 0x7f800000, v27
                                        ; implicit-def: $vgpr27
	s_and_saveexec_b32 s2, vcc_lo
	s_xor_b32 s2, exec_lo, s2
; %bb.29:
	v_bfe_u32 v27, v26, 16, 1
	v_add3_u32 v27, v26, v27, 0x7fff
                                        ; implicit-def: $vgpr26
; %bb.30:
	s_andn2_saveexec_b32 s2, s2
; %bb.31:
	v_mov_b32_e32 v27, 0
	v_or_b32_e32 v28, 0x10000, v26
	v_cmp_eq_u32_sdwa vcc_lo, v26, v27 src0_sel:WORD_0 src1_sel:DWORD
	v_cndmask_b32_e32 v27, v28, v26, vcc_lo
; %bb.32:
	s_or_b32 exec_lo, exec_lo, s2
	v_mul_f32_e32 v26, s4, v14
	flat_store_short_d16_hi v[4:5], v27 offset:64
	v_and_b32_e32 v28, 0x7f800000, v26
	v_cmp_ne_u32_e32 vcc_lo, 0x7f800000, v28
                                        ; implicit-def: $vgpr28
	s_and_saveexec_b32 s2, vcc_lo
	s_xor_b32 s2, exec_lo, s2
; %bb.33:
	v_bfe_u32 v27, v26, 16, 1
	v_add3_u32 v28, v26, v27, 0x7fff
                                        ; implicit-def: $vgpr26
; %bb.34:
	s_andn2_saveexec_b32 s2, s2
; %bb.35:
	v_mov_b32_e32 v27, 0
	v_or_b32_e32 v28, 0x10000, v26
	v_cmp_eq_u32_sdwa vcc_lo, v26, v27 src0_sel:WORD_0 src1_sel:DWORD
	v_cndmask_b32_e32 v28, v28, v26, vcc_lo
; %bb.36:
	s_or_b32 exec_lo, exec_lo, s2
	v_mul_f32_e32 v27, s4, v13
	flat_store_short_d16_hi v[4:5], v28 offset:96
	v_and_b32_e32 v26, 0x7f800000, v27
	v_cmp_ne_u32_e32 vcc_lo, 0x7f800000, v26
                                        ; implicit-def: $vgpr26
	s_and_saveexec_b32 s2, vcc_lo
	s_xor_b32 s2, exec_lo, s2
; %bb.37:
	v_bfe_u32 v4, v27, 16, 1
	v_add3_u32 v26, v27, v4, 0x7fff
                                        ; implicit-def: $vgpr27
; %bb.38:
	s_or_saveexec_b32 s6, s2
	s_lshl_b64 s[2:3], s[0:1], 4
	s_xor_b32 exec_lo, exec_lo, s6
; %bb.39:
	v_mov_b32_e32 v4, 0
	v_or_b32_e32 v5, 0x10000, v27
	v_cmp_eq_u32_sdwa vcc_lo, v27, v4 src0_sel:WORD_0 src1_sel:DWORD
	v_cndmask_b32_e32 v26, v5, v27, vcc_lo
; %bb.40:
	s_or_b32 exec_lo, exec_lo, s6
	v_mul_f32_e32 v27, s4, v12
	s_lshl_b64 s[2:3], s[2:3], 1
	v_add_co_u32 v24, vcc_lo, v24, s2
	v_add_co_ci_u32_e64 v25, null, s3, v25, vcc_lo
	v_and_b32_e32 v28, 0x7f800000, v27
	v_add_co_u32 v4, vcc_lo, v24, v2
	v_add_co_ci_u32_e64 v5, null, v25, v3, vcc_lo
	v_cmp_ne_u32_e32 vcc_lo, 0x7f800000, v28
                                        ; implicit-def: $vgpr28
	flat_store_short_d16_hi v[4:5], v26
	s_and_saveexec_b32 s6, vcc_lo
	s_xor_b32 s6, exec_lo, s6
; %bb.41:
	v_bfe_u32 v26, v27, 16, 1
	v_add3_u32 v28, v27, v26, 0x7fff
                                        ; implicit-def: $vgpr27
; %bb.42:
	s_andn2_saveexec_b32 s6, s6
; %bb.43:
	v_mov_b32_e32 v26, 0
	v_or_b32_e32 v28, 0x10000, v27
	v_cmp_eq_u32_sdwa vcc_lo, v27, v26 src0_sel:WORD_0 src1_sel:DWORD
	v_cndmask_b32_e32 v28, v28, v27, vcc_lo
; %bb.44:
	s_or_b32 exec_lo, exec_lo, s6
	v_mul_f32_e32 v26, s4, v11
	flat_store_short_d16_hi v[4:5], v28 offset:32
	v_and_b32_e32 v27, 0x7f800000, v26
	v_cmp_ne_u32_e32 vcc_lo, 0x7f800000, v27
                                        ; implicit-def: $vgpr27
	s_and_saveexec_b32 s6, vcc_lo
	s_xor_b32 s6, exec_lo, s6
; %bb.45:
	v_bfe_u32 v27, v26, 16, 1
	v_add3_u32 v27, v26, v27, 0x7fff
                                        ; implicit-def: $vgpr26
; %bb.46:
	s_andn2_saveexec_b32 s6, s6
; %bb.47:
	v_mov_b32_e32 v27, 0
	v_or_b32_e32 v28, 0x10000, v26
	v_cmp_eq_u32_sdwa vcc_lo, v26, v27 src0_sel:WORD_0 src1_sel:DWORD
	v_cndmask_b32_e32 v27, v28, v26, vcc_lo
; %bb.48:
	s_or_b32 exec_lo, exec_lo, s6
	v_mul_f32_e32 v26, s4, v10
	s_mov_b32 s6, exec_lo
	flat_store_short_d16_hi v[4:5], v27 offset:64
                                        ; implicit-def: $vgpr27
	v_and_b32_e32 v28, 0x7f800000, v26
	v_cmpx_ne_u32_e32 0x7f800000, v28
	s_xor_b32 s6, exec_lo, s6
; %bb.49:
	v_bfe_u32 v27, v26, 16, 1
	v_add3_u32 v27, v26, v27, 0x7fff
                                        ; implicit-def: $vgpr26
; %bb.50:
	s_andn2_saveexec_b32 s6, s6
; %bb.51:
	v_mov_b32_e32 v27, 0
	v_or_b32_e32 v28, 0x10000, v26
	v_cmp_eq_u32_sdwa vcc_lo, v26, v27 src0_sel:WORD_0 src1_sel:DWORD
	v_cndmask_b32_e32 v27, v28, v26, vcc_lo
; %bb.52:
	s_or_b32 exec_lo, exec_lo, s6
	v_mul_f32_e32 v26, s4, v9
	s_mov_b32 s6, exec_lo
	flat_store_short_d16_hi v[4:5], v27 offset:96
                                        ; implicit-def: $vgpr4
	v_and_b32_e32 v28, 0x7f800000, v26
	v_cmpx_ne_u32_e32 0x7f800000, v28
	s_xor_b32 s6, exec_lo, s6
; %bb.53:
	v_bfe_u32 v4, v26, 16, 1
	v_add3_u32 v4, v26, v4, 0x7fff
                                        ; implicit-def: $vgpr26
; %bb.54:
	s_andn2_saveexec_b32 s6, s6
; %bb.55:
	v_mov_b32_e32 v4, 0
	v_or_b32_e32 v5, 0x10000, v26
	v_cmp_eq_u32_sdwa vcc_lo, v26, v4 src0_sel:WORD_0 src1_sel:DWORD
	v_cndmask_b32_e32 v4, v5, v26, vcc_lo
; %bb.56:
	s_or_b32 exec_lo, exec_lo, s6
	v_add_co_u32 v24, vcc_lo, v24, s2
	v_mul_f32_e32 v5, s4, v8
	v_add_co_ci_u32_e64 v25, null, s3, v25, vcc_lo
	v_add_co_u32 v2, vcc_lo, v24, v2
	v_and_b32_e32 v26, 0x7f800000, v5
	v_add_co_ci_u32_e64 v3, null, v25, v3, vcc_lo
	s_mov_b32 s2, exec_lo
                                        ; implicit-def: $vgpr24
	flat_store_short_d16_hi v[2:3], v4
	v_cmpx_ne_u32_e32 0x7f800000, v26
	s_xor_b32 s2, exec_lo, s2
; %bb.57:
	v_bfe_u32 v4, v5, 16, 1
	v_add3_u32 v24, v5, v4, 0x7fff
                                        ; implicit-def: $vgpr5
; %bb.58:
	s_andn2_saveexec_b32 s2, s2
; %bb.59:
	v_mov_b32_e32 v4, 0
	v_or_b32_e32 v24, 0x10000, v5
	v_cmp_eq_u32_sdwa vcc_lo, v5, v4 src0_sel:WORD_0 src1_sel:DWORD
	v_cndmask_b32_e32 v24, v24, v5, vcc_lo
; %bb.60:
	s_or_b32 exec_lo, exec_lo, s2
	v_mul_f32_e32 v4, s4, v7
	flat_store_short_d16_hi v[2:3], v24 offset:32
	v_and_b32_e32 v5, 0x7f800000, v4
	v_cmp_ne_u32_e32 vcc_lo, 0x7f800000, v5
                                        ; implicit-def: $vgpr5
	s_and_saveexec_b32 s2, vcc_lo
	s_xor_b32 s2, exec_lo, s2
; %bb.61:
	v_bfe_u32 v5, v4, 16, 1
	v_add3_u32 v5, v4, v5, 0x7fff
                                        ; implicit-def: $vgpr4
; %bb.62:
	s_andn2_saveexec_b32 s2, s2
; %bb.63:
	v_mov_b32_e32 v5, 0
	v_or_b32_e32 v24, 0x10000, v4
	v_cmp_eq_u32_sdwa vcc_lo, v4, v5 src0_sel:WORD_0 src1_sel:DWORD
	v_cndmask_b32_e32 v5, v24, v4, vcc_lo
; %bb.64:
	s_or_b32 exec_lo, exec_lo, s2
	v_mul_f32_e32 v4, s4, v6
	s_mov_b32 s2, exec_lo
	flat_store_short_d16_hi v[2:3], v5 offset:64
                                        ; implicit-def: $vgpr5
	v_and_b32_e32 v24, 0x7f800000, v4
	v_cmpx_ne_u32_e32 0x7f800000, v24
	s_xor_b32 s2, exec_lo, s2
; %bb.65:
	v_bfe_u32 v5, v4, 16, 1
	v_add3_u32 v5, v4, v5, 0x7fff
                                        ; implicit-def: $vgpr4
; %bb.66:
	s_andn2_saveexec_b32 s2, s2
; %bb.67:
	v_mov_b32_e32 v5, 0
	v_or_b32_e32 v24, 0x10000, v4
	v_cmp_eq_u32_sdwa vcc_lo, v4, v5 src0_sel:WORD_0 src1_sel:DWORD
	v_cndmask_b32_e32 v5, v24, v4, vcc_lo
; %bb.68:
	s_or_b32 exec_lo, exec_lo, s2
	flat_store_short_d16_hi v[2:3], v5 offset:96
	s_branch .LBB144_197
.LBB144_69:
	v_mul_lo_u32 v4, v23, s14
	v_mul_lo_u32 v5, v22, s15
	v_mad_u64_u32 v[2:3], null, v22, s14, 0
	s_lshl_b64 s[2:3], s[16:17], 1
	v_lshlrev_b64 v[0:1], 1, v[0:1]
	s_add_u32 s2, s12, s2
	s_addc_u32 s3, s13, s3
	v_add3_u32 v3, v3, v5, v4
	v_lshlrev_b64 v[2:3], 1, v[2:3]
	v_add_co_u32 v24, vcc_lo, s2, v2
	v_add_co_ci_u32_e64 v25, null, s3, v3, vcc_lo
	v_add_co_u32 v2, vcc_lo, v24, v0
	v_add_co_ci_u32_e64 v3, null, v25, v1, vcc_lo
	flat_load_ushort v4, v[2:3]
	s_waitcnt vmcnt(0) lgkmcnt(0)
	v_lshlrev_b32_e32 v4, 16, v4
	v_mul_f32_e32 v4, s8, v4
	v_and_b32_e32 v5, 0x7f800000, v4
	v_cmp_ne_u32_e32 vcc_lo, 0x7f800000, v5
                                        ; implicit-def: $vgpr5
	s_and_saveexec_b32 s2, vcc_lo
	s_xor_b32 s2, exec_lo, s2
; %bb.70:
	v_bfe_u32 v5, v4, 16, 1
	v_add3_u32 v5, v4, v5, 0x7fff
                                        ; implicit-def: $vgpr4
; %bb.71:
	s_andn2_saveexec_b32 s2, s2
; %bb.72:
	v_mov_b32_e32 v5, 0
	v_or_b32_e32 v26, 0x10000, v4
	v_cmp_eq_u32_sdwa vcc_lo, v4, v5 src0_sel:WORD_0 src1_sel:DWORD
	v_cndmask_b32_e32 v5, v26, v4, vcc_lo
; %bb.73:
	s_or_b32 exec_lo, exec_lo, s2
	v_and_b32_e32 v4, 0xffff0000, v5
	s_mov_b32 s2, exec_lo
                                        ; implicit-def: $vgpr26
	v_fmac_f32_e32 v4, s4, v21
	v_and_b32_e32 v5, 0x7f800000, v4
	v_cmpx_ne_u32_e32 0x7f800000, v5
	s_xor_b32 s2, exec_lo, s2
; %bb.74:
	v_bfe_u32 v5, v4, 16, 1
	v_add3_u32 v26, v4, v5, 0x7fff
                                        ; implicit-def: $vgpr4
; %bb.75:
	s_andn2_saveexec_b32 s2, s2
; %bb.76:
	v_mov_b32_e32 v5, 0
	v_or_b32_e32 v21, 0x10000, v4
	v_cmp_eq_u32_sdwa vcc_lo, v4, v5 src0_sel:WORD_0 src1_sel:DWORD
	v_cndmask_b32_e32 v26, v21, v4, vcc_lo
; %bb.77:
	s_or_b32 exec_lo, exec_lo, s2
	v_mul_lo_u32 v21, v23, s0
	v_mul_lo_u32 v23, v22, s1
	v_mad_u64_u32 v[4:5], null, v22, s0, 0
	v_add3_u32 v5, v5, v23, v21
	v_lshlrev_b64 v[4:5], 1, v[4:5]
	v_add_co_u32 v21, vcc_lo, s5, v4
	v_add_co_ci_u32_e64 v22, null, s9, v5, vcc_lo
	v_add_co_u32 v4, vcc_lo, v21, v0
	v_add_co_ci_u32_e64 v5, null, v22, v1, vcc_lo
	flat_store_short_d16_hi v[4:5], v26
	flat_load_ushort v23, v[2:3] offset:32
	s_waitcnt vmcnt(0) lgkmcnt(0)
	v_lshlrev_b32_e32 v23, 16, v23
	v_mul_f32_e32 v23, s8, v23
	v_and_b32_e32 v26, 0x7f800000, v23
	v_cmp_ne_u32_e32 vcc_lo, 0x7f800000, v26
                                        ; implicit-def: $vgpr26
	s_and_saveexec_b32 s2, vcc_lo
	s_xor_b32 s2, exec_lo, s2
; %bb.78:
	v_bfe_u32 v26, v23, 16, 1
	v_add3_u32 v26, v23, v26, 0x7fff
                                        ; implicit-def: $vgpr23
; %bb.79:
	s_andn2_saveexec_b32 s2, s2
; %bb.80:
	v_mov_b32_e32 v26, 0
	v_or_b32_e32 v27, 0x10000, v23
	v_cmp_eq_u32_sdwa vcc_lo, v23, v26 src0_sel:WORD_0 src1_sel:DWORD
	v_cndmask_b32_e32 v26, v27, v23, vcc_lo
; %bb.81:
	s_or_b32 exec_lo, exec_lo, s2
	v_and_b32_e32 v23, 0xffff0000, v26
	v_fmac_f32_e32 v23, s4, v20
	v_and_b32_e32 v20, 0x7f800000, v23
	v_cmp_ne_u32_e32 vcc_lo, 0x7f800000, v20
                                        ; implicit-def: $vgpr20
	s_and_saveexec_b32 s2, vcc_lo
	s_xor_b32 s2, exec_lo, s2
; %bb.82:
	v_bfe_u32 v20, v23, 16, 1
	v_add3_u32 v20, v23, v20, 0x7fff
                                        ; implicit-def: $vgpr23
; %bb.83:
	s_andn2_saveexec_b32 s2, s2
; %bb.84:
	v_mov_b32_e32 v20, 0
	v_or_b32_e32 v26, 0x10000, v23
	v_cmp_eq_u32_sdwa vcc_lo, v23, v20 src0_sel:WORD_0 src1_sel:DWORD
	v_cndmask_b32_e32 v20, v26, v23, vcc_lo
; %bb.85:
	s_or_b32 exec_lo, exec_lo, s2
	flat_store_short_d16_hi v[4:5], v20 offset:32
	flat_load_ushort v20, v[2:3] offset:64
	s_waitcnt vmcnt(0) lgkmcnt(0)
	v_lshlrev_b32_e32 v20, 16, v20
	v_mul_f32_e32 v20, s8, v20
	v_and_b32_e32 v23, 0x7f800000, v20
	v_cmp_ne_u32_e32 vcc_lo, 0x7f800000, v23
                                        ; implicit-def: $vgpr23
	s_and_saveexec_b32 s2, vcc_lo
	s_xor_b32 s2, exec_lo, s2
; %bb.86:
	v_bfe_u32 v23, v20, 16, 1
	v_add3_u32 v23, v20, v23, 0x7fff
                                        ; implicit-def: $vgpr20
; %bb.87:
	s_andn2_saveexec_b32 s2, s2
; %bb.88:
	v_mov_b32_e32 v23, 0
	v_or_b32_e32 v26, 0x10000, v20
	v_cmp_eq_u32_sdwa vcc_lo, v20, v23 src0_sel:WORD_0 src1_sel:DWORD
	v_cndmask_b32_e32 v23, v26, v20, vcc_lo
; %bb.89:
	s_or_b32 exec_lo, exec_lo, s2
	v_and_b32_e32 v20, 0xffff0000, v23
	v_fmac_f32_e32 v20, s4, v19
	v_and_b32_e32 v19, 0x7f800000, v20
	v_cmp_ne_u32_e32 vcc_lo, 0x7f800000, v19
                                        ; implicit-def: $vgpr19
	s_and_saveexec_b32 s2, vcc_lo
	s_xor_b32 s2, exec_lo, s2
; %bb.90:
	v_bfe_u32 v19, v20, 16, 1
	v_add3_u32 v19, v20, v19, 0x7fff
                                        ; implicit-def: $vgpr20
; %bb.91:
	s_andn2_saveexec_b32 s2, s2
; %bb.92:
	v_mov_b32_e32 v19, 0
	v_or_b32_e32 v23, 0x10000, v20
	v_cmp_eq_u32_sdwa vcc_lo, v20, v19 src0_sel:WORD_0 src1_sel:DWORD
	v_cndmask_b32_e32 v19, v23, v20, vcc_lo
; %bb.93:
	s_or_b32 exec_lo, exec_lo, s2
	flat_store_short_d16_hi v[4:5], v19 offset:64
	flat_load_ushort v2, v[2:3] offset:96
	s_waitcnt vmcnt(0) lgkmcnt(0)
	v_lshlrev_b32_e32 v2, 16, v2
	v_mul_f32_e32 v2, s8, v2
	v_and_b32_e32 v3, 0x7f800000, v2
	v_cmp_ne_u32_e32 vcc_lo, 0x7f800000, v3
                                        ; implicit-def: $vgpr3
	s_and_saveexec_b32 s2, vcc_lo
	s_xor_b32 s2, exec_lo, s2
; %bb.94:
	v_bfe_u32 v3, v2, 16, 1
	v_add3_u32 v3, v2, v3, 0x7fff
                                        ; implicit-def: $vgpr2
; %bb.95:
	s_andn2_saveexec_b32 s2, s2
; %bb.96:
	v_mov_b32_e32 v3, 0
	v_or_b32_e32 v19, 0x10000, v2
	v_cmp_eq_u32_sdwa vcc_lo, v2, v3 src0_sel:WORD_0 src1_sel:DWORD
	v_cndmask_b32_e32 v3, v19, v2, vcc_lo
; %bb.97:
	s_or_b32 exec_lo, exec_lo, s2
	v_and_b32_e32 v2, 0xffff0000, v3
	s_mov_b32 s2, exec_lo
	v_fmac_f32_e32 v2, s4, v18
                                        ; implicit-def: $vgpr18
	v_and_b32_e32 v3, 0x7f800000, v2
	v_cmpx_ne_u32_e32 0x7f800000, v3
	s_xor_b32 s2, exec_lo, s2
; %bb.98:
	v_bfe_u32 v3, v2, 16, 1
	v_add3_u32 v18, v2, v3, 0x7fff
                                        ; implicit-def: $vgpr2
; %bb.99:
	s_andn2_saveexec_b32 s2, s2
; %bb.100:
	v_mov_b32_e32 v3, 0
	v_or_b32_e32 v18, 0x10000, v2
	v_cmp_eq_u32_sdwa vcc_lo, v2, v3 src0_sel:WORD_0 src1_sel:DWORD
	v_cndmask_b32_e32 v18, v18, v2, vcc_lo
; %bb.101:
	s_or_b32 exec_lo, exec_lo, s2
	s_lshl_b64 s[2:3], s[14:15], 5
	flat_store_short_d16_hi v[4:5], v18 offset:96
	v_add_co_u32 v19, vcc_lo, v24, s2
	v_add_co_ci_u32_e64 v20, null, s3, v25, vcc_lo
	v_add_co_u32 v2, vcc_lo, v19, v0
	v_add_co_ci_u32_e64 v3, null, v20, v1, vcc_lo
	flat_load_ushort v4, v[2:3]
	s_waitcnt vmcnt(0) lgkmcnt(0)
	v_lshlrev_b32_e32 v4, 16, v4
	v_mul_f32_e32 v4, s8, v4
	v_and_b32_e32 v5, 0x7f800000, v4
	v_cmp_ne_u32_e32 vcc_lo, 0x7f800000, v5
                                        ; implicit-def: $vgpr5
	s_and_saveexec_b32 s2, vcc_lo
	s_xor_b32 s2, exec_lo, s2
; %bb.102:
	v_bfe_u32 v5, v4, 16, 1
	v_add3_u32 v5, v4, v5, 0x7fff
                                        ; implicit-def: $vgpr4
; %bb.103:
	s_andn2_saveexec_b32 s2, s2
; %bb.104:
	v_mov_b32_e32 v5, 0
	v_or_b32_e32 v18, 0x10000, v4
	v_cmp_eq_u32_sdwa vcc_lo, v4, v5 src0_sel:WORD_0 src1_sel:DWORD
	v_cndmask_b32_e32 v5, v18, v4, vcc_lo
; %bb.105:
	s_or_b32 exec_lo, exec_lo, s2
	v_and_b32_e32 v4, 0xffff0000, v5
	s_mov_b32 s2, exec_lo
                                        ; implicit-def: $vgpr23
	v_fmac_f32_e32 v4, s4, v17
	v_and_b32_e32 v5, 0x7f800000, v4
	v_cmpx_ne_u32_e32 0x7f800000, v5
	s_xor_b32 s2, exec_lo, s2
; %bb.106:
	v_bfe_u32 v5, v4, 16, 1
	v_add3_u32 v23, v4, v5, 0x7fff
                                        ; implicit-def: $vgpr4
; %bb.107:
	s_andn2_saveexec_b32 s2, s2
; %bb.108:
	v_mov_b32_e32 v5, 0
	v_or_b32_e32 v17, 0x10000, v4
	v_cmp_eq_u32_sdwa vcc_lo, v4, v5 src0_sel:WORD_0 src1_sel:DWORD
	v_cndmask_b32_e32 v23, v17, v4, vcc_lo
; %bb.109:
	s_or_b32 exec_lo, exec_lo, s2
	s_lshl_b64 s[2:3], s[0:1], 5
	v_add_co_u32 v17, vcc_lo, v21, s2
	v_add_co_ci_u32_e64 v18, null, s3, v22, vcc_lo
	v_add_co_u32 v4, vcc_lo, v17, v0
	v_add_co_ci_u32_e64 v5, null, v18, v1, vcc_lo
	flat_store_short_d16_hi v[4:5], v23
	flat_load_ushort v21, v[2:3] offset:32
	s_waitcnt vmcnt(0) lgkmcnt(0)
	v_lshlrev_b32_e32 v21, 16, v21
	v_mul_f32_e32 v21, s8, v21
	v_and_b32_e32 v22, 0x7f800000, v21
	v_cmp_ne_u32_e32 vcc_lo, 0x7f800000, v22
                                        ; implicit-def: $vgpr22
	s_and_saveexec_b32 s2, vcc_lo
	s_xor_b32 s2, exec_lo, s2
; %bb.110:
	v_bfe_u32 v22, v21, 16, 1
	v_add3_u32 v22, v21, v22, 0x7fff
                                        ; implicit-def: $vgpr21
; %bb.111:
	s_andn2_saveexec_b32 s2, s2
; %bb.112:
	v_mov_b32_e32 v22, 0
	v_or_b32_e32 v23, 0x10000, v21
	v_cmp_eq_u32_sdwa vcc_lo, v21, v22 src0_sel:WORD_0 src1_sel:DWORD
	v_cndmask_b32_e32 v22, v23, v21, vcc_lo
; %bb.113:
	s_or_b32 exec_lo, exec_lo, s2
	v_and_b32_e32 v21, 0xffff0000, v22
	v_fmac_f32_e32 v21, s4, v16
	v_and_b32_e32 v16, 0x7f800000, v21
	v_cmp_ne_u32_e32 vcc_lo, 0x7f800000, v16
                                        ; implicit-def: $vgpr16
	s_and_saveexec_b32 s2, vcc_lo
	s_xor_b32 s2, exec_lo, s2
; %bb.114:
	v_bfe_u32 v16, v21, 16, 1
	v_add3_u32 v16, v21, v16, 0x7fff
                                        ; implicit-def: $vgpr21
; %bb.115:
	s_andn2_saveexec_b32 s2, s2
; %bb.116:
	v_mov_b32_e32 v16, 0
	v_or_b32_e32 v22, 0x10000, v21
	v_cmp_eq_u32_sdwa vcc_lo, v21, v16 src0_sel:WORD_0 src1_sel:DWORD
	v_cndmask_b32_e32 v16, v22, v21, vcc_lo
; %bb.117:
	s_or_b32 exec_lo, exec_lo, s2
	flat_store_short_d16_hi v[4:5], v16 offset:32
	flat_load_ushort v16, v[2:3] offset:64
	s_waitcnt vmcnt(0) lgkmcnt(0)
	v_lshlrev_b32_e32 v16, 16, v16
	v_mul_f32_e32 v16, s8, v16
	v_and_b32_e32 v21, 0x7f800000, v16
	v_cmp_ne_u32_e32 vcc_lo, 0x7f800000, v21
                                        ; implicit-def: $vgpr21
	s_and_saveexec_b32 s2, vcc_lo
	s_xor_b32 s2, exec_lo, s2
; %bb.118:
	v_bfe_u32 v21, v16, 16, 1
	v_add3_u32 v21, v16, v21, 0x7fff
                                        ; implicit-def: $vgpr16
; %bb.119:
	s_andn2_saveexec_b32 s2, s2
; %bb.120:
	v_mov_b32_e32 v21, 0
	v_or_b32_e32 v22, 0x10000, v16
	v_cmp_eq_u32_sdwa vcc_lo, v16, v21 src0_sel:WORD_0 src1_sel:DWORD
	v_cndmask_b32_e32 v21, v22, v16, vcc_lo
; %bb.121:
	s_or_b32 exec_lo, exec_lo, s2
	v_and_b32_e32 v16, 0xffff0000, v21
	v_fmac_f32_e32 v16, s4, v15
	v_and_b32_e32 v15, 0x7f800000, v16
	v_cmp_ne_u32_e32 vcc_lo, 0x7f800000, v15
                                        ; implicit-def: $vgpr15
	s_and_saveexec_b32 s2, vcc_lo
	s_xor_b32 s2, exec_lo, s2
; %bb.122:
	v_bfe_u32 v15, v16, 16, 1
	v_add3_u32 v15, v16, v15, 0x7fff
                                        ; implicit-def: $vgpr16
; %bb.123:
	s_andn2_saveexec_b32 s2, s2
; %bb.124:
	v_mov_b32_e32 v15, 0
	v_or_b32_e32 v21, 0x10000, v16
	v_cmp_eq_u32_sdwa vcc_lo, v16, v15 src0_sel:WORD_0 src1_sel:DWORD
	v_cndmask_b32_e32 v15, v21, v16, vcc_lo
; %bb.125:
	s_or_b32 exec_lo, exec_lo, s2
	flat_store_short_d16_hi v[4:5], v15 offset:64
	flat_load_ushort v2, v[2:3] offset:96
	s_waitcnt vmcnt(0) lgkmcnt(0)
	v_lshlrev_b32_e32 v2, 16, v2
	v_mul_f32_e32 v2, s8, v2
	v_and_b32_e32 v3, 0x7f800000, v2
	v_cmp_ne_u32_e32 vcc_lo, 0x7f800000, v3
                                        ; implicit-def: $vgpr3
	s_and_saveexec_b32 s2, vcc_lo
	s_xor_b32 s2, exec_lo, s2
; %bb.126:
	v_bfe_u32 v3, v2, 16, 1
	v_add3_u32 v3, v2, v3, 0x7fff
                                        ; implicit-def: $vgpr2
; %bb.127:
	s_andn2_saveexec_b32 s2, s2
; %bb.128:
	v_mov_b32_e32 v3, 0
	v_or_b32_e32 v15, 0x10000, v2
	v_cmp_eq_u32_sdwa vcc_lo, v2, v3 src0_sel:WORD_0 src1_sel:DWORD
	v_cndmask_b32_e32 v3, v15, v2, vcc_lo
; %bb.129:
	s_or_b32 exec_lo, exec_lo, s2
	v_and_b32_e32 v2, 0xffff0000, v3
	s_mov_b32 s2, exec_lo
                                        ; implicit-def: $vgpr16
	v_fmac_f32_e32 v2, s4, v14
	v_and_b32_e32 v3, 0x7f800000, v2
	v_cmpx_ne_u32_e32 0x7f800000, v3
	s_xor_b32 s2, exec_lo, s2
; %bb.130:
	v_bfe_u32 v3, v2, 16, 1
	v_add3_u32 v16, v2, v3, 0x7fff
                                        ; implicit-def: $vgpr2
; %bb.131:
	s_or_saveexec_b32 s5, s2
	s_lshl_b64 s[2:3], s[14:15], 4
	s_xor_b32 exec_lo, exec_lo, s5
; %bb.132:
	v_mov_b32_e32 v3, 0
	v_or_b32_e32 v14, 0x10000, v2
	v_cmp_eq_u32_sdwa vcc_lo, v2, v3 src0_sel:WORD_0 src1_sel:DWORD
	v_cndmask_b32_e32 v16, v14, v2, vcc_lo
; %bb.133:
	s_or_b32 exec_lo, exec_lo, s5
	s_lshl_b64 s[2:3], s[2:3], 1
	flat_store_short_d16_hi v[4:5], v16 offset:96
	v_add_co_u32 v14, vcc_lo, v19, s2
	v_add_co_ci_u32_e64 v15, null, s3, v20, vcc_lo
	v_add_co_u32 v2, vcc_lo, v14, v0
	v_add_co_ci_u32_e64 v3, null, v15, v1, vcc_lo
	flat_load_ushort v4, v[2:3]
	s_waitcnt vmcnt(0) lgkmcnt(0)
	v_lshlrev_b32_e32 v4, 16, v4
	v_mul_f32_e32 v4, s8, v4
	v_and_b32_e32 v5, 0x7f800000, v4
	v_cmp_ne_u32_e32 vcc_lo, 0x7f800000, v5
                                        ; implicit-def: $vgpr5
	s_and_saveexec_b32 s5, vcc_lo
	s_xor_b32 s5, exec_lo, s5
; %bb.134:
	v_bfe_u32 v5, v4, 16, 1
	v_add3_u32 v5, v4, v5, 0x7fff
                                        ; implicit-def: $vgpr4
; %bb.135:
	s_andn2_saveexec_b32 s5, s5
; %bb.136:
	v_mov_b32_e32 v5, 0
	v_or_b32_e32 v16, 0x10000, v4
	v_cmp_eq_u32_sdwa vcc_lo, v4, v5 src0_sel:WORD_0 src1_sel:DWORD
	v_cndmask_b32_e32 v5, v16, v4, vcc_lo
; %bb.137:
	s_or_b32 exec_lo, exec_lo, s5
	v_and_b32_e32 v4, 0xffff0000, v5
	s_mov_b32 s5, exec_lo
                                        ; implicit-def: $vgpr19
	v_fmac_f32_e32 v4, s4, v13
	v_and_b32_e32 v5, 0x7f800000, v4
	v_cmpx_ne_u32_e32 0x7f800000, v5
	s_xor_b32 s5, exec_lo, s5
; %bb.138:
	v_bfe_u32 v5, v4, 16, 1
	v_add3_u32 v19, v4, v5, 0x7fff
                                        ; implicit-def: $vgpr4
; %bb.139:
	s_or_saveexec_b32 s5, s5
	s_lshl_b64 s[0:1], s[0:1], 4
	s_xor_b32 exec_lo, exec_lo, s5
; %bb.140:
	v_mov_b32_e32 v5, 0
	v_or_b32_e32 v13, 0x10000, v4
	v_cmp_eq_u32_sdwa vcc_lo, v4, v5 src0_sel:WORD_0 src1_sel:DWORD
	v_cndmask_b32_e32 v19, v13, v4, vcc_lo
; %bb.141:
	s_or_b32 exec_lo, exec_lo, s5
	s_lshl_b64 s[0:1], s[0:1], 1
	v_add_co_u32 v13, vcc_lo, v17, s0
	v_add_co_ci_u32_e64 v16, null, s1, v18, vcc_lo
	v_add_co_u32 v4, vcc_lo, v13, v0
	v_add_co_ci_u32_e64 v5, null, v16, v1, vcc_lo
	flat_store_short_d16_hi v[4:5], v19
	flat_load_ushort v17, v[2:3] offset:32
	s_waitcnt vmcnt(0) lgkmcnt(0)
	v_lshlrev_b32_e32 v17, 16, v17
	v_mul_f32_e32 v17, s8, v17
	v_and_b32_e32 v18, 0x7f800000, v17
	v_cmp_ne_u32_e32 vcc_lo, 0x7f800000, v18
                                        ; implicit-def: $vgpr18
	s_and_saveexec_b32 s5, vcc_lo
	s_xor_b32 s5, exec_lo, s5
; %bb.142:
	v_bfe_u32 v18, v17, 16, 1
	v_add3_u32 v18, v17, v18, 0x7fff
                                        ; implicit-def: $vgpr17
; %bb.143:
	s_andn2_saveexec_b32 s5, s5
; %bb.144:
	v_mov_b32_e32 v18, 0
	v_or_b32_e32 v19, 0x10000, v17
	v_cmp_eq_u32_sdwa vcc_lo, v17, v18 src0_sel:WORD_0 src1_sel:DWORD
	v_cndmask_b32_e32 v18, v19, v17, vcc_lo
; %bb.145:
	s_or_b32 exec_lo, exec_lo, s5
	v_and_b32_e32 v17, 0xffff0000, v18
	v_fmac_f32_e32 v17, s4, v12
	v_and_b32_e32 v12, 0x7f800000, v17
	v_cmp_ne_u32_e32 vcc_lo, 0x7f800000, v12
                                        ; implicit-def: $vgpr12
	s_and_saveexec_b32 s5, vcc_lo
	s_xor_b32 s5, exec_lo, s5
; %bb.146:
	v_bfe_u32 v12, v17, 16, 1
	v_add3_u32 v12, v17, v12, 0x7fff
                                        ; implicit-def: $vgpr17
; %bb.147:
	s_andn2_saveexec_b32 s5, s5
; %bb.148:
	v_mov_b32_e32 v12, 0
	v_or_b32_e32 v18, 0x10000, v17
	v_cmp_eq_u32_sdwa vcc_lo, v17, v12 src0_sel:WORD_0 src1_sel:DWORD
	v_cndmask_b32_e32 v12, v18, v17, vcc_lo
; %bb.149:
	s_or_b32 exec_lo, exec_lo, s5
	flat_store_short_d16_hi v[4:5], v12 offset:32
	flat_load_ushort v12, v[2:3] offset:64
	s_waitcnt vmcnt(0) lgkmcnt(0)
	v_lshlrev_b32_e32 v12, 16, v12
	v_mul_f32_e32 v12, s8, v12
	v_and_b32_e32 v17, 0x7f800000, v12
	v_cmp_ne_u32_e32 vcc_lo, 0x7f800000, v17
                                        ; implicit-def: $vgpr17
	s_and_saveexec_b32 s5, vcc_lo
	s_xor_b32 s5, exec_lo, s5
; %bb.150:
	v_bfe_u32 v17, v12, 16, 1
	v_add3_u32 v17, v12, v17, 0x7fff
                                        ; implicit-def: $vgpr12
; %bb.151:
	s_andn2_saveexec_b32 s5, s5
; %bb.152:
	v_mov_b32_e32 v17, 0
	v_or_b32_e32 v18, 0x10000, v12
	v_cmp_eq_u32_sdwa vcc_lo, v12, v17 src0_sel:WORD_0 src1_sel:DWORD
	v_cndmask_b32_e32 v17, v18, v12, vcc_lo
; %bb.153:
	s_or_b32 exec_lo, exec_lo, s5
	v_and_b32_e32 v12, 0xffff0000, v17
	v_fmac_f32_e32 v12, s4, v11
	v_and_b32_e32 v11, 0x7f800000, v12
	v_cmp_ne_u32_e32 vcc_lo, 0x7f800000, v11
                                        ; implicit-def: $vgpr11
	s_and_saveexec_b32 s5, vcc_lo
	s_xor_b32 s5, exec_lo, s5
; %bb.154:
	v_bfe_u32 v11, v12, 16, 1
	v_add3_u32 v11, v12, v11, 0x7fff
                                        ; implicit-def: $vgpr12
; %bb.155:
	s_andn2_saveexec_b32 s5, s5
; %bb.156:
	v_mov_b32_e32 v11, 0
	v_or_b32_e32 v17, 0x10000, v12
	v_cmp_eq_u32_sdwa vcc_lo, v12, v11 src0_sel:WORD_0 src1_sel:DWORD
	v_cndmask_b32_e32 v11, v17, v12, vcc_lo
; %bb.157:
	s_or_b32 exec_lo, exec_lo, s5
	flat_store_short_d16_hi v[4:5], v11 offset:64
	flat_load_ushort v2, v[2:3] offset:96
	s_waitcnt vmcnt(0) lgkmcnt(0)
	v_lshlrev_b32_e32 v2, 16, v2
	v_mul_f32_e32 v2, s8, v2
	v_and_b32_e32 v3, 0x7f800000, v2
	v_cmp_ne_u32_e32 vcc_lo, 0x7f800000, v3
                                        ; implicit-def: $vgpr3
	s_and_saveexec_b32 s5, vcc_lo
	s_xor_b32 s5, exec_lo, s5
; %bb.158:
	v_bfe_u32 v3, v2, 16, 1
	v_add3_u32 v3, v2, v3, 0x7fff
                                        ; implicit-def: $vgpr2
; %bb.159:
	s_andn2_saveexec_b32 s5, s5
; %bb.160:
	v_mov_b32_e32 v3, 0
	v_or_b32_e32 v11, 0x10000, v2
	v_cmp_eq_u32_sdwa vcc_lo, v2, v3 src0_sel:WORD_0 src1_sel:DWORD
	v_cndmask_b32_e32 v3, v11, v2, vcc_lo
; %bb.161:
	s_or_b32 exec_lo, exec_lo, s5
	v_and_b32_e32 v2, 0xffff0000, v3
	s_mov_b32 s5, exec_lo
	v_fmac_f32_e32 v2, s4, v10
                                        ; implicit-def: $vgpr10
	v_and_b32_e32 v3, 0x7f800000, v2
	v_cmpx_ne_u32_e32 0x7f800000, v3
	s_xor_b32 s5, exec_lo, s5
; %bb.162:
	v_bfe_u32 v3, v2, 16, 1
	v_add3_u32 v10, v2, v3, 0x7fff
                                        ; implicit-def: $vgpr2
; %bb.163:
	s_andn2_saveexec_b32 s5, s5
; %bb.164:
	v_mov_b32_e32 v3, 0
	v_or_b32_e32 v10, 0x10000, v2
	v_cmp_eq_u32_sdwa vcc_lo, v2, v3 src0_sel:WORD_0 src1_sel:DWORD
	v_cndmask_b32_e32 v10, v10, v2, vcc_lo
; %bb.165:
	s_or_b32 exec_lo, exec_lo, s5
	v_add_co_u32 v2, vcc_lo, v14, s2
	v_add_co_ci_u32_e64 v3, null, s3, v15, vcc_lo
	flat_store_short_d16_hi v[4:5], v10 offset:96
	v_add_co_u32 v2, vcc_lo, v2, v0
	v_add_co_ci_u32_e64 v3, null, v3, v1, vcc_lo
	flat_load_ushort v4, v[2:3]
	s_waitcnt vmcnt(0) lgkmcnt(0)
	v_lshlrev_b32_e32 v4, 16, v4
	v_mul_f32_e32 v4, s8, v4
	v_and_b32_e32 v5, 0x7f800000, v4
	v_cmp_ne_u32_e32 vcc_lo, 0x7f800000, v5
                                        ; implicit-def: $vgpr5
	s_and_saveexec_b32 s2, vcc_lo
	s_xor_b32 s2, exec_lo, s2
; %bb.166:
	v_bfe_u32 v5, v4, 16, 1
	v_add3_u32 v5, v4, v5, 0x7fff
                                        ; implicit-def: $vgpr4
; %bb.167:
	s_andn2_saveexec_b32 s2, s2
; %bb.168:
	v_mov_b32_e32 v5, 0
	v_or_b32_e32 v10, 0x10000, v4
	v_cmp_eq_u32_sdwa vcc_lo, v4, v5 src0_sel:WORD_0 src1_sel:DWORD
	v_cndmask_b32_e32 v5, v10, v4, vcc_lo
; %bb.169:
	s_or_b32 exec_lo, exec_lo, s2
	v_and_b32_e32 v5, 0xffff0000, v5
	v_fmac_f32_e32 v5, s4, v9
	v_and_b32_e32 v4, 0x7f800000, v5
	v_cmp_ne_u32_e32 vcc_lo, 0x7f800000, v4
                                        ; implicit-def: $vgpr4
	s_and_saveexec_b32 s2, vcc_lo
	s_xor_b32 s2, exec_lo, s2
; %bb.170:
	v_bfe_u32 v4, v5, 16, 1
	v_add3_u32 v4, v5, v4, 0x7fff
                                        ; implicit-def: $vgpr5
; %bb.171:
	s_andn2_saveexec_b32 s2, s2
; %bb.172:
	v_mov_b32_e32 v4, 0
	v_or_b32_e32 v9, 0x10000, v5
	v_cmp_eq_u32_sdwa vcc_lo, v5, v4 src0_sel:WORD_0 src1_sel:DWORD
	v_cndmask_b32_e32 v4, v9, v5, vcc_lo
; %bb.173:
	s_or_b32 exec_lo, exec_lo, s2
	v_add_co_u32 v5, vcc_lo, v13, s0
	v_add_co_ci_u32_e64 v9, null, s1, v16, vcc_lo
	v_add_co_u32 v0, vcc_lo, v5, v0
	v_add_co_ci_u32_e64 v1, null, v9, v1, vcc_lo
	flat_store_short_d16_hi v[0:1], v4
	flat_load_ushort v4, v[2:3] offset:32
	s_waitcnt vmcnt(0) lgkmcnt(0)
	v_lshlrev_b32_e32 v4, 16, v4
	v_mul_f32_e32 v4, s8, v4
	v_and_b32_e32 v5, 0x7f800000, v4
	v_cmp_ne_u32_e32 vcc_lo, 0x7f800000, v5
                                        ; implicit-def: $vgpr5
	s_and_saveexec_b32 s0, vcc_lo
	s_xor_b32 s0, exec_lo, s0
; %bb.174:
	v_bfe_u32 v5, v4, 16, 1
	v_add3_u32 v5, v4, v5, 0x7fff
                                        ; implicit-def: $vgpr4
; %bb.175:
	s_andn2_saveexec_b32 s0, s0
; %bb.176:
	v_mov_b32_e32 v5, 0
	v_or_b32_e32 v9, 0x10000, v4
	v_cmp_eq_u32_sdwa vcc_lo, v4, v5 src0_sel:WORD_0 src1_sel:DWORD
	v_cndmask_b32_e32 v5, v9, v4, vcc_lo
; %bb.177:
	s_or_b32 exec_lo, exec_lo, s0
	v_and_b32_e32 v4, 0xffff0000, v5
	v_fmac_f32_e32 v4, s4, v8
	v_and_b32_e32 v5, 0x7f800000, v4
	v_cmp_ne_u32_e32 vcc_lo, 0x7f800000, v5
                                        ; implicit-def: $vgpr5
	s_and_saveexec_b32 s0, vcc_lo
	s_xor_b32 s0, exec_lo, s0
; %bb.178:
	v_bfe_u32 v5, v4, 16, 1
	v_add3_u32 v5, v4, v5, 0x7fff
                                        ; implicit-def: $vgpr4
; %bb.179:
	s_andn2_saveexec_b32 s0, s0
; %bb.180:
	v_mov_b32_e32 v5, 0
	v_or_b32_e32 v8, 0x10000, v4
	v_cmp_eq_u32_sdwa vcc_lo, v4, v5 src0_sel:WORD_0 src1_sel:DWORD
	v_cndmask_b32_e32 v5, v8, v4, vcc_lo
; %bb.181:
	s_or_b32 exec_lo, exec_lo, s0
	flat_store_short_d16_hi v[0:1], v5 offset:32
	flat_load_ushort v4, v[2:3] offset:64
	s_waitcnt vmcnt(0) lgkmcnt(0)
	v_lshlrev_b32_e32 v4, 16, v4
	v_mul_f32_e32 v4, s8, v4
	v_and_b32_e32 v5, 0x7f800000, v4
	v_cmp_ne_u32_e32 vcc_lo, 0x7f800000, v5
                                        ; implicit-def: $vgpr5
	s_and_saveexec_b32 s0, vcc_lo
	s_xor_b32 s0, exec_lo, s0
; %bb.182:
	v_bfe_u32 v5, v4, 16, 1
	v_add3_u32 v5, v4, v5, 0x7fff
                                        ; implicit-def: $vgpr4
; %bb.183:
	s_andn2_saveexec_b32 s0, s0
; %bb.184:
	v_mov_b32_e32 v5, 0
	v_or_b32_e32 v8, 0x10000, v4
	v_cmp_eq_u32_sdwa vcc_lo, v4, v5 src0_sel:WORD_0 src1_sel:DWORD
	v_cndmask_b32_e32 v5, v8, v4, vcc_lo
; %bb.185:
	s_or_b32 exec_lo, exec_lo, s0
	v_and_b32_e32 v4, 0xffff0000, v5
	v_fmac_f32_e32 v4, s4, v7
	v_and_b32_e32 v5, 0x7f800000, v4
	v_cmp_ne_u32_e32 vcc_lo, 0x7f800000, v5
                                        ; implicit-def: $vgpr5
	s_and_saveexec_b32 s0, vcc_lo
	s_xor_b32 s0, exec_lo, s0
; %bb.186:
	v_bfe_u32 v5, v4, 16, 1
	v_add3_u32 v5, v4, v5, 0x7fff
                                        ; implicit-def: $vgpr4
; %bb.187:
	s_andn2_saveexec_b32 s0, s0
; %bb.188:
	v_mov_b32_e32 v5, 0
	v_or_b32_e32 v7, 0x10000, v4
	v_cmp_eq_u32_sdwa vcc_lo, v4, v5 src0_sel:WORD_0 src1_sel:DWORD
	v_cndmask_b32_e32 v5, v7, v4, vcc_lo
; %bb.189:
	s_or_b32 exec_lo, exec_lo, s0
	flat_store_short_d16_hi v[0:1], v5 offset:64
	flat_load_ushort v2, v[2:3] offset:96
	s_waitcnt vmcnt(0) lgkmcnt(0)
	v_lshlrev_b32_e32 v2, 16, v2
	v_mul_f32_e32 v2, s8, v2
	v_and_b32_e32 v3, 0x7f800000, v2
	v_cmp_ne_u32_e32 vcc_lo, 0x7f800000, v3
                                        ; implicit-def: $vgpr3
	s_and_saveexec_b32 s0, vcc_lo
	s_xor_b32 s0, exec_lo, s0
; %bb.190:
	v_bfe_u32 v3, v2, 16, 1
	v_add3_u32 v3, v2, v3, 0x7fff
                                        ; implicit-def: $vgpr2
; %bb.191:
	s_andn2_saveexec_b32 s0, s0
; %bb.192:
	v_mov_b32_e32 v3, 0
	v_or_b32_e32 v4, 0x10000, v2
	v_cmp_eq_u32_sdwa vcc_lo, v2, v3 src0_sel:WORD_0 src1_sel:DWORD
	v_cndmask_b32_e32 v3, v4, v2, vcc_lo
; %bb.193:
	s_or_b32 exec_lo, exec_lo, s0
	v_and_b32_e32 v2, 0xffff0000, v3
	v_fmac_f32_e32 v2, s4, v6
	v_and_b32_e32 v3, 0x7f800000, v2
	v_cmp_ne_u32_e32 vcc_lo, 0x7f800000, v3
                                        ; implicit-def: $vgpr3
	s_and_saveexec_b32 s0, vcc_lo
	s_xor_b32 s0, exec_lo, s0
	s_cbranch_execnz .LBB144_198
; %bb.194:
	s_andn2_saveexec_b32 s0, s0
	s_cbranch_execnz .LBB144_199
.LBB144_195:
	s_or_b32 exec_lo, exec_lo, s0
	flat_store_short_d16_hi v[0:1], v3 offset:96
	s_endpgm
.LBB144_196:
	s_cbranch_execnz .LBB144_69
.LBB144_197:
	s_endpgm
.LBB144_198:
	v_bfe_u32 v3, v2, 16, 1
	v_add3_u32 v3, v2, v3, 0x7fff
                                        ; implicit-def: $vgpr2
	s_andn2_saveexec_b32 s0, s0
	s_cbranch_execz .LBB144_195
.LBB144_199:
	v_mov_b32_e32 v3, 0
	v_or_b32_e32 v4, 0x10000, v2
	v_cmp_eq_u32_sdwa vcc_lo, v2, v3 src0_sel:WORD_0 src1_sel:DWORD
	v_cndmask_b32_e32 v3, v4, v2, vcc_lo
	s_or_b32 exec_lo, exec_lo, s0
	flat_store_short_d16_hi v[0:1], v3 offset:96
	s_endpgm
	.section	.rodata,"a",@progbits
	.p2align	6, 0x0
	.amdhsa_kernel _ZN12_GLOBAL__N_127rocblas_gemm_batched_kernelIfLi16ELi16ELi64ELi64ELi4ELi64ELi4ELi4ELi64ELc67ELc67EKPK16rocblas_bfloat16S4_KPS1_EEvlllT_PT11_llS9_llS7_PT12_llPT13_lli
		.amdhsa_group_segment_fixed_size 2048
		.amdhsa_private_segment_fixed_size 0
		.amdhsa_kernarg_size 140
		.amdhsa_user_sgpr_count 6
		.amdhsa_user_sgpr_private_segment_buffer 1
		.amdhsa_user_sgpr_dispatch_ptr 0
		.amdhsa_user_sgpr_queue_ptr 0
		.amdhsa_user_sgpr_kernarg_segment_ptr 1
		.amdhsa_user_sgpr_dispatch_id 0
		.amdhsa_user_sgpr_flat_scratch_init 0
		.amdhsa_user_sgpr_private_segment_size 0
		.amdhsa_wavefront_size32 1
		.amdhsa_uses_dynamic_stack 0
		.amdhsa_system_sgpr_private_segment_wavefront_offset 0
		.amdhsa_system_sgpr_workgroup_id_x 1
		.amdhsa_system_sgpr_workgroup_id_y 1
		.amdhsa_system_sgpr_workgroup_id_z 1
		.amdhsa_system_sgpr_workgroup_info 0
		.amdhsa_system_vgpr_workitem_id 1
		.amdhsa_next_free_vgpr 58
		.amdhsa_next_free_sgpr 36
		.amdhsa_reserve_vcc 1
		.amdhsa_reserve_flat_scratch 0
		.amdhsa_float_round_mode_32 0
		.amdhsa_float_round_mode_16_64 0
		.amdhsa_float_denorm_mode_32 3
		.amdhsa_float_denorm_mode_16_64 3
		.amdhsa_dx10_clamp 1
		.amdhsa_ieee_mode 1
		.amdhsa_fp16_overflow 0
		.amdhsa_workgroup_processor_mode 1
		.amdhsa_memory_ordered 1
		.amdhsa_forward_progress 1
		.amdhsa_shared_vgpr_count 0
		.amdhsa_exception_fp_ieee_invalid_op 0
		.amdhsa_exception_fp_denorm_src 0
		.amdhsa_exception_fp_ieee_div_zero 0
		.amdhsa_exception_fp_ieee_overflow 0
		.amdhsa_exception_fp_ieee_underflow 0
		.amdhsa_exception_fp_ieee_inexact 0
		.amdhsa_exception_int_div_zero 0
	.end_amdhsa_kernel
	.section	.text._ZN12_GLOBAL__N_127rocblas_gemm_batched_kernelIfLi16ELi16ELi64ELi64ELi4ELi64ELi4ELi4ELi64ELc67ELc67EKPK16rocblas_bfloat16S4_KPS1_EEvlllT_PT11_llS9_llS7_PT12_llPT13_lli,"axG",@progbits,_ZN12_GLOBAL__N_127rocblas_gemm_batched_kernelIfLi16ELi16ELi64ELi64ELi4ELi64ELi4ELi4ELi64ELc67ELc67EKPK16rocblas_bfloat16S4_KPS1_EEvlllT_PT11_llS9_llS7_PT12_llPT13_lli,comdat
.Lfunc_end144:
	.size	_ZN12_GLOBAL__N_127rocblas_gemm_batched_kernelIfLi16ELi16ELi64ELi64ELi4ELi64ELi4ELi4ELi64ELc67ELc67EKPK16rocblas_bfloat16S4_KPS1_EEvlllT_PT11_llS9_llS7_PT12_llPT13_lli, .Lfunc_end144-_ZN12_GLOBAL__N_127rocblas_gemm_batched_kernelIfLi16ELi16ELi64ELi64ELi4ELi64ELi4ELi4ELi64ELc67ELc67EKPK16rocblas_bfloat16S4_KPS1_EEvlllT_PT11_llS9_llS7_PT12_llPT13_lli
                                        ; -- End function
	.set _ZN12_GLOBAL__N_127rocblas_gemm_batched_kernelIfLi16ELi16ELi64ELi64ELi4ELi64ELi4ELi4ELi64ELc67ELc67EKPK16rocblas_bfloat16S4_KPS1_EEvlllT_PT11_llS9_llS7_PT12_llPT13_lli.num_vgpr, 58
	.set _ZN12_GLOBAL__N_127rocblas_gemm_batched_kernelIfLi16ELi16ELi64ELi64ELi4ELi64ELi4ELi4ELi64ELc67ELc67EKPK16rocblas_bfloat16S4_KPS1_EEvlllT_PT11_llS9_llS7_PT12_llPT13_lli.num_agpr, 0
	.set _ZN12_GLOBAL__N_127rocblas_gemm_batched_kernelIfLi16ELi16ELi64ELi64ELi4ELi64ELi4ELi4ELi64ELc67ELc67EKPK16rocblas_bfloat16S4_KPS1_EEvlllT_PT11_llS9_llS7_PT12_llPT13_lli.numbered_sgpr, 36
	.set _ZN12_GLOBAL__N_127rocblas_gemm_batched_kernelIfLi16ELi16ELi64ELi64ELi4ELi64ELi4ELi4ELi64ELc67ELc67EKPK16rocblas_bfloat16S4_KPS1_EEvlllT_PT11_llS9_llS7_PT12_llPT13_lli.num_named_barrier, 0
	.set _ZN12_GLOBAL__N_127rocblas_gemm_batched_kernelIfLi16ELi16ELi64ELi64ELi4ELi64ELi4ELi4ELi64ELc67ELc67EKPK16rocblas_bfloat16S4_KPS1_EEvlllT_PT11_llS9_llS7_PT12_llPT13_lli.private_seg_size, 0
	.set _ZN12_GLOBAL__N_127rocblas_gemm_batched_kernelIfLi16ELi16ELi64ELi64ELi4ELi64ELi4ELi4ELi64ELc67ELc67EKPK16rocblas_bfloat16S4_KPS1_EEvlllT_PT11_llS9_llS7_PT12_llPT13_lli.uses_vcc, 1
	.set _ZN12_GLOBAL__N_127rocblas_gemm_batched_kernelIfLi16ELi16ELi64ELi64ELi4ELi64ELi4ELi4ELi64ELc67ELc67EKPK16rocblas_bfloat16S4_KPS1_EEvlllT_PT11_llS9_llS7_PT12_llPT13_lli.uses_flat_scratch, 0
	.set _ZN12_GLOBAL__N_127rocblas_gemm_batched_kernelIfLi16ELi16ELi64ELi64ELi4ELi64ELi4ELi4ELi64ELc67ELc67EKPK16rocblas_bfloat16S4_KPS1_EEvlllT_PT11_llS9_llS7_PT12_llPT13_lli.has_dyn_sized_stack, 0
	.set _ZN12_GLOBAL__N_127rocblas_gemm_batched_kernelIfLi16ELi16ELi64ELi64ELi4ELi64ELi4ELi4ELi64ELc67ELc67EKPK16rocblas_bfloat16S4_KPS1_EEvlllT_PT11_llS9_llS7_PT12_llPT13_lli.has_recursion, 0
	.set _ZN12_GLOBAL__N_127rocblas_gemm_batched_kernelIfLi16ELi16ELi64ELi64ELi4ELi64ELi4ELi4ELi64ELc67ELc67EKPK16rocblas_bfloat16S4_KPS1_EEvlllT_PT11_llS9_llS7_PT12_llPT13_lli.has_indirect_call, 0
	.section	.AMDGPU.csdata,"",@progbits
; Kernel info:
; codeLenInByte = 6236
; TotalNumSgprs: 38
; NumVgprs: 58
; ScratchSize: 0
; MemoryBound: 0
; FloatMode: 240
; IeeeMode: 1
; LDSByteSize: 2048 bytes/workgroup (compile time only)
; SGPRBlocks: 0
; VGPRBlocks: 7
; NumSGPRsForWavesPerEU: 38
; NumVGPRsForWavesPerEU: 58
; Occupancy: 16
; WaveLimiterHint : 1
; COMPUTE_PGM_RSRC2:SCRATCH_EN: 0
; COMPUTE_PGM_RSRC2:USER_SGPR: 6
; COMPUTE_PGM_RSRC2:TRAP_HANDLER: 0
; COMPUTE_PGM_RSRC2:TGID_X_EN: 1
; COMPUTE_PGM_RSRC2:TGID_Y_EN: 1
; COMPUTE_PGM_RSRC2:TGID_Z_EN: 1
; COMPUTE_PGM_RSRC2:TIDIG_COMP_CNT: 1
	.section	.text._ZN12_GLOBAL__N_127rocblas_gemm_batched_kernelIfLi16ELi16ELi64ELi64ELi4ELi64ELi4ELi4ELi64ELc67ELc78EKPK16rocblas_bfloat16S4_KPS1_EEvlllT_PT11_llS9_llS7_PT12_llPT13_lli,"axG",@progbits,_ZN12_GLOBAL__N_127rocblas_gemm_batched_kernelIfLi16ELi16ELi64ELi64ELi4ELi64ELi4ELi4ELi64ELc67ELc78EKPK16rocblas_bfloat16S4_KPS1_EEvlllT_PT11_llS9_llS7_PT12_llPT13_lli,comdat
	.globl	_ZN12_GLOBAL__N_127rocblas_gemm_batched_kernelIfLi16ELi16ELi64ELi64ELi4ELi64ELi4ELi4ELi64ELc67ELc78EKPK16rocblas_bfloat16S4_KPS1_EEvlllT_PT11_llS9_llS7_PT12_llPT13_lli ; -- Begin function _ZN12_GLOBAL__N_127rocblas_gemm_batched_kernelIfLi16ELi16ELi64ELi64ELi4ELi64ELi4ELi4ELi64ELc67ELc78EKPK16rocblas_bfloat16S4_KPS1_EEvlllT_PT11_llS9_llS7_PT12_llPT13_lli
	.p2align	8
	.type	_ZN12_GLOBAL__N_127rocblas_gemm_batched_kernelIfLi16ELi16ELi64ELi64ELi4ELi64ELi4ELi4ELi64ELc67ELc78EKPK16rocblas_bfloat16S4_KPS1_EEvlllT_PT11_llS9_llS7_PT12_llPT13_lli,@function
_ZN12_GLOBAL__N_127rocblas_gemm_batched_kernelIfLi16ELi16ELi64ELi64ELi4ELi64ELi4ELi4ELi64ELc67ELc78EKPK16rocblas_bfloat16S4_KPS1_EEvlllT_PT11_llS9_llS7_PT12_llPT13_lli: ; @_ZN12_GLOBAL__N_127rocblas_gemm_batched_kernelIfLi16ELi16ELi64ELi64ELi4ELi64ELi4ELi4ELi64ELc67ELc78EKPK16rocblas_bfloat16S4_KPS1_EEvlllT_PT11_llS9_llS7_PT12_llPT13_lli
; %bb.0:
	s_clause 0x1
	s_load_dwordx8 s[12:19], s[4:5], 0x58
	s_load_dwordx2 s[28:29], s[4:5], 0x10
	s_mov_b32 s9, 0
	s_load_dwordx4 s[0:3], s[4:5], 0x78
	s_lshl_b64 s[34:35], s[8:9], 3
	s_mov_b32 s10, s7
	v_mov_b32_e32 v21, 0
	v_mov_b32_e32 v20, 0
	;; [unrolled: 1-line block ×14, first 2 shown]
	s_waitcnt lgkmcnt(0)
	s_add_u32 s8, s12, s34
	s_addc_u32 s9, s13, s35
	s_add_u32 s18, s18, s34
	s_addc_u32 s19, s19, s35
	s_load_dwordx2 s[12:13], s[8:9], 0x0
	s_load_dwordx2 s[18:19], s[18:19], 0x0
	v_cmp_lt_i64_e64 s20, s[28:29], 1
	v_mov_b32_e32 v7, 0
	v_mov_b32_e32 v6, 0
	s_ashr_i32 s7, s6, 31
	s_ashr_i32 s11, s10, 31
	s_lshl_b64 s[6:7], s[6:7], 6
	s_and_b32 vcc_lo, exec_lo, s20
	s_lshl_b64 s[30:31], s[10:11], 6
	s_cbranch_vccnz .LBB145_3
; %bb.1:
	v_lshlrev_b32_e32 v7, 4, v1
	s_clause 0x1
	s_load_dwordx8 s[20:27], s[4:5], 0x20
	s_load_dwordx4 s[8:11], s[4:5], 0x40
	v_and_b32_e32 v8, 3, v0
	v_lshlrev_b32_e32 v24, 2, v0
	v_add_nc_u32_e32 v2, v7, v0
	v_add_nc_u32_e32 v25, 0x400, v7
	v_mov_b32_e32 v17, 0
	v_lshlrev_b32_e32 v9, 2, v8
	v_lshlrev_b32_e32 v8, 1, v8
	v_and_b32_e32 v6, 63, v2
	v_lshrrev_b32_e32 v10, 2, v2
	v_lshrrev_b32_e32 v11, 6, v2
	v_mov_b32_e32 v18, 0
	v_mov_b32_e32 v19, 0
	v_add_co_u32 v2, s33, s6, v6
	v_add_co_ci_u32_e64 v3, null, s7, 0, s33
	v_add_co_u32 v4, s33, v10, s30
	v_add_co_ci_u32_e64 v5, null, 0, s31, s33
	s_waitcnt lgkmcnt(0)
	v_mul_lo_u32 v12, s23, v2
	v_mul_lo_u32 v13, s22, v3
	v_mad_u64_u32 v[2:3], null, s22, v2, 0
	v_mul_lo_u32 v14, s9, v4
	v_mul_lo_u32 v15, s8, v5
	v_mad_u64_u32 v[4:5], null, s8, v4, 0
	s_add_u32 s20, s20, s34
	s_addc_u32 s21, s21, s35
	s_add_u32 s26, s26, s34
	v_add3_u32 v3, v3, v13, v12
	s_load_dwordx2 s[20:21], s[20:21], 0x0
	s_addc_u32 s27, s27, s35
	v_add3_u32 v5, v5, v15, v14
	s_load_dwordx2 s[8:9], s[26:27], 0x0
	v_lshlrev_b64 v[2:3], 1, v[2:3]
	s_lshl_b64 s[22:23], s[24:25], 1
	v_lshlrev_b32_e32 v7, 1, v11
	v_lshlrev_b64 v[4:5], 1, v[4:5]
	s_lshl_b64 s[10:11], s[10:11], 1
	v_lshlrev_b32_e32 v16, 2, v6
	v_add_co_u32 v2, vcc_lo, v2, s22
	v_add_co_ci_u32_e64 v3, null, s23, v3, vcc_lo
	v_add_co_u32 v4, vcc_lo, v4, s10
	v_add_co_ci_u32_e64 v5, null, s11, v5, vcc_lo
	;; [unrolled: 2-line block ×3, first 2 shown]
	v_add_co_u32 v4, vcc_lo, v4, v8
	v_lshl_or_b32 v9, v10, 4, v9
	v_add_co_ci_u32_e64 v5, null, 0, v5, vcc_lo
	s_waitcnt lgkmcnt(0)
	v_add_co_u32 v2, vcc_lo, s20, v2
	v_add_co_ci_u32_e64 v3, null, s21, v3, vcc_lo
	v_add_co_u32 v4, vcc_lo, s8, v4
	v_mov_b32_e32 v6, 0
	v_lshl_or_b32 v22, v11, 8, v16
	v_add_nc_u32_e32 v23, 0x400, v9
	v_add_co_ci_u32_e64 v5, null, s9, v5, vcc_lo
	v_mov_b32_e32 v7, 0
	v_mov_b32_e32 v8, 0
	;; [unrolled: 1-line block ×12, first 2 shown]
	s_mov_b64 s[8:9], 0
.LBB145_2:                              ; =>This Inner Loop Header: Depth=1
	flat_load_ushort v26, v[2:3]
	flat_load_ushort v27, v[4:5]
	s_add_u32 s8, s8, 4
	s_addc_u32 s9, s9, 0
	v_add_co_u32 v2, vcc_lo, v2, 8
	v_cmp_lt_i64_e64 s10, s[8:9], s[28:29]
	v_add_co_ci_u32_e64 v3, null, 0, v3, vcc_lo
	v_add_co_u32 v4, vcc_lo, v4, 8
	v_add_co_ci_u32_e64 v5, null, 0, v5, vcc_lo
	s_and_b32 vcc_lo, exec_lo, s10
	s_waitcnt vmcnt(1) lgkmcnt(1)
	v_lshlrev_b32_e32 v26, 16, v26
	s_waitcnt vmcnt(0) lgkmcnt(0)
	v_lshlrev_b32_e32 v27, 16, v27
	ds_write_b32 v22, v26
	ds_write_b32 v23, v27
	s_waitcnt lgkmcnt(0)
	s_barrier
	buffer_gl0_inv
	ds_read_b128 v[26:29], v25
	ds_read2_b32 v[42:43], v24 offset1:16
	ds_read2_b32 v[44:45], v24 offset0:32 offset1:48
	ds_read_b128 v[30:33], v25 offset:256
	ds_read_b128 v[34:37], v25 offset:512
	;; [unrolled: 1-line block ×3, first 2 shown]
	ds_read2_b32 v[46:47], v24 offset0:64 offset1:80
	ds_read2_b32 v[48:49], v24 offset0:96 offset1:112
	;; [unrolled: 1-line block ×6, first 2 shown]
	s_waitcnt lgkmcnt(0)
	s_barrier
	buffer_gl0_inv
	v_fmac_f32_e32 v21, v42, v26
	v_fmac_f32_e32 v20, v43, v26
	;; [unrolled: 1-line block ×64, first 2 shown]
	s_cbranch_vccnz .LBB145_2
.LBB145_3:
	s_clause 0x1
	s_load_dword s8, s[4:5], 0x50
	s_load_dword s4, s[4:5], 0x18
	s_lshl_b64 s[2:3], s[2:3], 1
	s_waitcnt lgkmcnt(0)
	s_add_u32 s5, s18, s2
	v_add_co_u32 v22, s2, s30, v1
	s_addc_u32 s9, s19, s3
	v_add_co_ci_u32_e64 v23, null, s31, 0, s2
	v_add_co_u32 v0, s3, s6, v0
	v_add_co_ci_u32_e64 v1, null, s7, 0, s3
	v_cmp_neq_f32_e64 s2, s8, 0
	s_and_b32 vcc_lo, exec_lo, s2
	s_cbranch_vccnz .LBB145_196
; %bb.4:
	v_mul_f32_e32 v2, s4, v21
	s_mov_b32 s2, exec_lo
                                        ; implicit-def: $vgpr26
	v_and_b32_e32 v3, 0x7f800000, v2
	v_cmpx_ne_u32_e32 0x7f800000, v3
	s_xor_b32 s2, exec_lo, s2
; %bb.5:
	v_bfe_u32 v3, v2, 16, 1
	v_add3_u32 v26, v2, v3, 0x7fff
                                        ; implicit-def: $vgpr2
; %bb.6:
	s_andn2_saveexec_b32 s2, s2
; %bb.7:
	v_mov_b32_e32 v3, 0
	v_or_b32_e32 v4, 0x10000, v2
	v_cmp_eq_u32_sdwa vcc_lo, v2, v3 src0_sel:WORD_0 src1_sel:DWORD
	v_cndmask_b32_e32 v26, v4, v2, vcc_lo
; %bb.8:
	s_or_b32 exec_lo, exec_lo, s2
	v_mul_lo_u32 v4, v23, s0
	v_mul_lo_u32 v5, v22, s1
	v_mad_u64_u32 v[2:3], null, v22, s0, 0
	v_mul_f32_e32 v27, s4, v20
	v_and_b32_e32 v28, 0x7f800000, v27
	v_add3_u32 v3, v3, v5, v4
	v_lshlrev_b64 v[4:5], 1, v[2:3]
	v_lshlrev_b64 v[2:3], 1, v[0:1]
	v_add_co_u32 v24, vcc_lo, s5, v4
	v_add_co_ci_u32_e64 v25, null, s9, v5, vcc_lo
	v_add_co_u32 v4, vcc_lo, v24, v2
	v_add_co_ci_u32_e64 v5, null, v25, v3, vcc_lo
	v_cmp_ne_u32_e32 vcc_lo, 0x7f800000, v28
                                        ; implicit-def: $vgpr28
	flat_store_short_d16_hi v[4:5], v26
	s_and_saveexec_b32 s2, vcc_lo
	s_xor_b32 s2, exec_lo, s2
; %bb.9:
	v_bfe_u32 v26, v27, 16, 1
	v_add3_u32 v28, v27, v26, 0x7fff
                                        ; implicit-def: $vgpr27
; %bb.10:
	s_andn2_saveexec_b32 s2, s2
; %bb.11:
	v_mov_b32_e32 v26, 0
	v_or_b32_e32 v28, 0x10000, v27
	v_cmp_eq_u32_sdwa vcc_lo, v27, v26 src0_sel:WORD_0 src1_sel:DWORD
	v_cndmask_b32_e32 v28, v28, v27, vcc_lo
; %bb.12:
	s_or_b32 exec_lo, exec_lo, s2
	v_mul_f32_e32 v26, s4, v19
	flat_store_short_d16_hi v[4:5], v28 offset:32
	v_and_b32_e32 v27, 0x7f800000, v26
	v_cmp_ne_u32_e32 vcc_lo, 0x7f800000, v27
                                        ; implicit-def: $vgpr27
	s_and_saveexec_b32 s2, vcc_lo
	s_xor_b32 s2, exec_lo, s2
; %bb.13:
	v_bfe_u32 v27, v26, 16, 1
	v_add3_u32 v27, v26, v27, 0x7fff
                                        ; implicit-def: $vgpr26
; %bb.14:
	s_andn2_saveexec_b32 s2, s2
; %bb.15:
	v_mov_b32_e32 v27, 0
	v_or_b32_e32 v28, 0x10000, v26
	v_cmp_eq_u32_sdwa vcc_lo, v26, v27 src0_sel:WORD_0 src1_sel:DWORD
	v_cndmask_b32_e32 v27, v28, v26, vcc_lo
; %bb.16:
	s_or_b32 exec_lo, exec_lo, s2
	v_mul_f32_e32 v26, s4, v18
	flat_store_short_d16_hi v[4:5], v27 offset:64
	v_and_b32_e32 v28, 0x7f800000, v26
	v_cmp_ne_u32_e32 vcc_lo, 0x7f800000, v28
                                        ; implicit-def: $vgpr28
	s_and_saveexec_b32 s2, vcc_lo
	s_xor_b32 s2, exec_lo, s2
; %bb.17:
	v_bfe_u32 v27, v26, 16, 1
	v_add3_u32 v28, v26, v27, 0x7fff
                                        ; implicit-def: $vgpr26
; %bb.18:
	s_andn2_saveexec_b32 s2, s2
; %bb.19:
	v_mov_b32_e32 v27, 0
	v_or_b32_e32 v28, 0x10000, v26
	v_cmp_eq_u32_sdwa vcc_lo, v26, v27 src0_sel:WORD_0 src1_sel:DWORD
	v_cndmask_b32_e32 v28, v28, v26, vcc_lo
; %bb.20:
	s_or_b32 exec_lo, exec_lo, s2
	v_mul_f32_e32 v27, s4, v17
	flat_store_short_d16_hi v[4:5], v28 offset:96
	v_and_b32_e32 v26, 0x7f800000, v27
	v_cmp_ne_u32_e32 vcc_lo, 0x7f800000, v26
                                        ; implicit-def: $vgpr26
	s_and_saveexec_b32 s2, vcc_lo
	s_xor_b32 s2, exec_lo, s2
; %bb.21:
	v_bfe_u32 v4, v27, 16, 1
	v_add3_u32 v26, v27, v4, 0x7fff
                                        ; implicit-def: $vgpr27
; %bb.22:
	s_andn2_saveexec_b32 s2, s2
; %bb.23:
	v_mov_b32_e32 v4, 0
	v_or_b32_e32 v5, 0x10000, v27
	v_cmp_eq_u32_sdwa vcc_lo, v27, v4 src0_sel:WORD_0 src1_sel:DWORD
	v_cndmask_b32_e32 v26, v5, v27, vcc_lo
; %bb.24:
	s_or_b32 exec_lo, exec_lo, s2
	v_mul_f32_e32 v27, s4, v16
	s_lshl_b64 s[2:3], s[0:1], 5
	v_add_co_u32 v24, vcc_lo, v24, s2
	v_add_co_ci_u32_e64 v25, null, s3, v25, vcc_lo
	v_and_b32_e32 v28, 0x7f800000, v27
	v_add_co_u32 v4, vcc_lo, v24, v2
	v_add_co_ci_u32_e64 v5, null, v25, v3, vcc_lo
	v_cmp_ne_u32_e32 vcc_lo, 0x7f800000, v28
                                        ; implicit-def: $vgpr28
	flat_store_short_d16_hi v[4:5], v26
	s_and_saveexec_b32 s2, vcc_lo
	s_xor_b32 s2, exec_lo, s2
; %bb.25:
	v_bfe_u32 v26, v27, 16, 1
	v_add3_u32 v28, v27, v26, 0x7fff
                                        ; implicit-def: $vgpr27
; %bb.26:
	s_andn2_saveexec_b32 s2, s2
; %bb.27:
	v_mov_b32_e32 v26, 0
	v_or_b32_e32 v28, 0x10000, v27
	v_cmp_eq_u32_sdwa vcc_lo, v27, v26 src0_sel:WORD_0 src1_sel:DWORD
	v_cndmask_b32_e32 v28, v28, v27, vcc_lo
; %bb.28:
	s_or_b32 exec_lo, exec_lo, s2
	v_mul_f32_e32 v26, s4, v15
	flat_store_short_d16_hi v[4:5], v28 offset:32
	v_and_b32_e32 v27, 0x7f800000, v26
	v_cmp_ne_u32_e32 vcc_lo, 0x7f800000, v27
                                        ; implicit-def: $vgpr27
	s_and_saveexec_b32 s2, vcc_lo
	s_xor_b32 s2, exec_lo, s2
; %bb.29:
	v_bfe_u32 v27, v26, 16, 1
	v_add3_u32 v27, v26, v27, 0x7fff
                                        ; implicit-def: $vgpr26
; %bb.30:
	s_andn2_saveexec_b32 s2, s2
; %bb.31:
	v_mov_b32_e32 v27, 0
	v_or_b32_e32 v28, 0x10000, v26
	v_cmp_eq_u32_sdwa vcc_lo, v26, v27 src0_sel:WORD_0 src1_sel:DWORD
	v_cndmask_b32_e32 v27, v28, v26, vcc_lo
; %bb.32:
	s_or_b32 exec_lo, exec_lo, s2
	v_mul_f32_e32 v26, s4, v14
	flat_store_short_d16_hi v[4:5], v27 offset:64
	v_and_b32_e32 v28, 0x7f800000, v26
	v_cmp_ne_u32_e32 vcc_lo, 0x7f800000, v28
                                        ; implicit-def: $vgpr28
	s_and_saveexec_b32 s2, vcc_lo
	s_xor_b32 s2, exec_lo, s2
; %bb.33:
	v_bfe_u32 v27, v26, 16, 1
	v_add3_u32 v28, v26, v27, 0x7fff
                                        ; implicit-def: $vgpr26
; %bb.34:
	s_andn2_saveexec_b32 s2, s2
; %bb.35:
	v_mov_b32_e32 v27, 0
	v_or_b32_e32 v28, 0x10000, v26
	v_cmp_eq_u32_sdwa vcc_lo, v26, v27 src0_sel:WORD_0 src1_sel:DWORD
	v_cndmask_b32_e32 v28, v28, v26, vcc_lo
; %bb.36:
	s_or_b32 exec_lo, exec_lo, s2
	v_mul_f32_e32 v27, s4, v13
	flat_store_short_d16_hi v[4:5], v28 offset:96
	v_and_b32_e32 v26, 0x7f800000, v27
	v_cmp_ne_u32_e32 vcc_lo, 0x7f800000, v26
                                        ; implicit-def: $vgpr26
	s_and_saveexec_b32 s2, vcc_lo
	s_xor_b32 s2, exec_lo, s2
; %bb.37:
	v_bfe_u32 v4, v27, 16, 1
	v_add3_u32 v26, v27, v4, 0x7fff
                                        ; implicit-def: $vgpr27
; %bb.38:
	s_or_saveexec_b32 s6, s2
	s_lshl_b64 s[2:3], s[0:1], 4
	s_xor_b32 exec_lo, exec_lo, s6
; %bb.39:
	v_mov_b32_e32 v4, 0
	v_or_b32_e32 v5, 0x10000, v27
	v_cmp_eq_u32_sdwa vcc_lo, v27, v4 src0_sel:WORD_0 src1_sel:DWORD
	v_cndmask_b32_e32 v26, v5, v27, vcc_lo
; %bb.40:
	s_or_b32 exec_lo, exec_lo, s6
	v_mul_f32_e32 v27, s4, v12
	s_lshl_b64 s[2:3], s[2:3], 1
	v_add_co_u32 v24, vcc_lo, v24, s2
	v_add_co_ci_u32_e64 v25, null, s3, v25, vcc_lo
	v_and_b32_e32 v28, 0x7f800000, v27
	v_add_co_u32 v4, vcc_lo, v24, v2
	v_add_co_ci_u32_e64 v5, null, v25, v3, vcc_lo
	v_cmp_ne_u32_e32 vcc_lo, 0x7f800000, v28
                                        ; implicit-def: $vgpr28
	flat_store_short_d16_hi v[4:5], v26
	s_and_saveexec_b32 s6, vcc_lo
	s_xor_b32 s6, exec_lo, s6
; %bb.41:
	v_bfe_u32 v26, v27, 16, 1
	v_add3_u32 v28, v27, v26, 0x7fff
                                        ; implicit-def: $vgpr27
; %bb.42:
	s_andn2_saveexec_b32 s6, s6
; %bb.43:
	v_mov_b32_e32 v26, 0
	v_or_b32_e32 v28, 0x10000, v27
	v_cmp_eq_u32_sdwa vcc_lo, v27, v26 src0_sel:WORD_0 src1_sel:DWORD
	v_cndmask_b32_e32 v28, v28, v27, vcc_lo
; %bb.44:
	s_or_b32 exec_lo, exec_lo, s6
	v_mul_f32_e32 v26, s4, v11
	flat_store_short_d16_hi v[4:5], v28 offset:32
	v_and_b32_e32 v27, 0x7f800000, v26
	v_cmp_ne_u32_e32 vcc_lo, 0x7f800000, v27
                                        ; implicit-def: $vgpr27
	s_and_saveexec_b32 s6, vcc_lo
	s_xor_b32 s6, exec_lo, s6
; %bb.45:
	v_bfe_u32 v27, v26, 16, 1
	v_add3_u32 v27, v26, v27, 0x7fff
                                        ; implicit-def: $vgpr26
; %bb.46:
	s_andn2_saveexec_b32 s6, s6
; %bb.47:
	v_mov_b32_e32 v27, 0
	v_or_b32_e32 v28, 0x10000, v26
	v_cmp_eq_u32_sdwa vcc_lo, v26, v27 src0_sel:WORD_0 src1_sel:DWORD
	v_cndmask_b32_e32 v27, v28, v26, vcc_lo
; %bb.48:
	s_or_b32 exec_lo, exec_lo, s6
	v_mul_f32_e32 v26, s4, v10
	s_mov_b32 s6, exec_lo
	flat_store_short_d16_hi v[4:5], v27 offset:64
                                        ; implicit-def: $vgpr27
	v_and_b32_e32 v28, 0x7f800000, v26
	v_cmpx_ne_u32_e32 0x7f800000, v28
	s_xor_b32 s6, exec_lo, s6
; %bb.49:
	v_bfe_u32 v27, v26, 16, 1
	v_add3_u32 v27, v26, v27, 0x7fff
                                        ; implicit-def: $vgpr26
; %bb.50:
	s_andn2_saveexec_b32 s6, s6
; %bb.51:
	v_mov_b32_e32 v27, 0
	v_or_b32_e32 v28, 0x10000, v26
	v_cmp_eq_u32_sdwa vcc_lo, v26, v27 src0_sel:WORD_0 src1_sel:DWORD
	v_cndmask_b32_e32 v27, v28, v26, vcc_lo
; %bb.52:
	s_or_b32 exec_lo, exec_lo, s6
	v_mul_f32_e32 v26, s4, v9
	s_mov_b32 s6, exec_lo
	flat_store_short_d16_hi v[4:5], v27 offset:96
                                        ; implicit-def: $vgpr4
	v_and_b32_e32 v28, 0x7f800000, v26
	v_cmpx_ne_u32_e32 0x7f800000, v28
	s_xor_b32 s6, exec_lo, s6
; %bb.53:
	v_bfe_u32 v4, v26, 16, 1
	v_add3_u32 v4, v26, v4, 0x7fff
                                        ; implicit-def: $vgpr26
; %bb.54:
	s_andn2_saveexec_b32 s6, s6
; %bb.55:
	v_mov_b32_e32 v4, 0
	v_or_b32_e32 v5, 0x10000, v26
	v_cmp_eq_u32_sdwa vcc_lo, v26, v4 src0_sel:WORD_0 src1_sel:DWORD
	v_cndmask_b32_e32 v4, v5, v26, vcc_lo
; %bb.56:
	s_or_b32 exec_lo, exec_lo, s6
	v_add_co_u32 v24, vcc_lo, v24, s2
	v_mul_f32_e32 v5, s4, v8
	v_add_co_ci_u32_e64 v25, null, s3, v25, vcc_lo
	v_add_co_u32 v2, vcc_lo, v24, v2
	v_and_b32_e32 v26, 0x7f800000, v5
	v_add_co_ci_u32_e64 v3, null, v25, v3, vcc_lo
	s_mov_b32 s2, exec_lo
                                        ; implicit-def: $vgpr24
	flat_store_short_d16_hi v[2:3], v4
	v_cmpx_ne_u32_e32 0x7f800000, v26
	s_xor_b32 s2, exec_lo, s2
; %bb.57:
	v_bfe_u32 v4, v5, 16, 1
	v_add3_u32 v24, v5, v4, 0x7fff
                                        ; implicit-def: $vgpr5
; %bb.58:
	s_andn2_saveexec_b32 s2, s2
; %bb.59:
	v_mov_b32_e32 v4, 0
	v_or_b32_e32 v24, 0x10000, v5
	v_cmp_eq_u32_sdwa vcc_lo, v5, v4 src0_sel:WORD_0 src1_sel:DWORD
	v_cndmask_b32_e32 v24, v24, v5, vcc_lo
; %bb.60:
	s_or_b32 exec_lo, exec_lo, s2
	v_mul_f32_e32 v4, s4, v7
	flat_store_short_d16_hi v[2:3], v24 offset:32
	v_and_b32_e32 v5, 0x7f800000, v4
	v_cmp_ne_u32_e32 vcc_lo, 0x7f800000, v5
                                        ; implicit-def: $vgpr5
	s_and_saveexec_b32 s2, vcc_lo
	s_xor_b32 s2, exec_lo, s2
; %bb.61:
	v_bfe_u32 v5, v4, 16, 1
	v_add3_u32 v5, v4, v5, 0x7fff
                                        ; implicit-def: $vgpr4
; %bb.62:
	s_andn2_saveexec_b32 s2, s2
; %bb.63:
	v_mov_b32_e32 v5, 0
	v_or_b32_e32 v24, 0x10000, v4
	v_cmp_eq_u32_sdwa vcc_lo, v4, v5 src0_sel:WORD_0 src1_sel:DWORD
	v_cndmask_b32_e32 v5, v24, v4, vcc_lo
; %bb.64:
	s_or_b32 exec_lo, exec_lo, s2
	v_mul_f32_e32 v4, s4, v6
	s_mov_b32 s2, exec_lo
	flat_store_short_d16_hi v[2:3], v5 offset:64
                                        ; implicit-def: $vgpr5
	v_and_b32_e32 v24, 0x7f800000, v4
	v_cmpx_ne_u32_e32 0x7f800000, v24
	s_xor_b32 s2, exec_lo, s2
; %bb.65:
	v_bfe_u32 v5, v4, 16, 1
	v_add3_u32 v5, v4, v5, 0x7fff
                                        ; implicit-def: $vgpr4
; %bb.66:
	s_andn2_saveexec_b32 s2, s2
; %bb.67:
	v_mov_b32_e32 v5, 0
	v_or_b32_e32 v24, 0x10000, v4
	v_cmp_eq_u32_sdwa vcc_lo, v4, v5 src0_sel:WORD_0 src1_sel:DWORD
	v_cndmask_b32_e32 v5, v24, v4, vcc_lo
; %bb.68:
	s_or_b32 exec_lo, exec_lo, s2
	flat_store_short_d16_hi v[2:3], v5 offset:96
	s_branch .LBB145_197
.LBB145_69:
	v_mul_lo_u32 v4, v23, s14
	v_mul_lo_u32 v5, v22, s15
	v_mad_u64_u32 v[2:3], null, v22, s14, 0
	s_lshl_b64 s[2:3], s[16:17], 1
	v_lshlrev_b64 v[0:1], 1, v[0:1]
	s_add_u32 s2, s12, s2
	s_addc_u32 s3, s13, s3
	v_add3_u32 v3, v3, v5, v4
	v_lshlrev_b64 v[2:3], 1, v[2:3]
	v_add_co_u32 v24, vcc_lo, s2, v2
	v_add_co_ci_u32_e64 v25, null, s3, v3, vcc_lo
	v_add_co_u32 v2, vcc_lo, v24, v0
	v_add_co_ci_u32_e64 v3, null, v25, v1, vcc_lo
	flat_load_ushort v4, v[2:3]
	s_waitcnt vmcnt(0) lgkmcnt(0)
	v_lshlrev_b32_e32 v4, 16, v4
	v_mul_f32_e32 v4, s8, v4
	v_and_b32_e32 v5, 0x7f800000, v4
	v_cmp_ne_u32_e32 vcc_lo, 0x7f800000, v5
                                        ; implicit-def: $vgpr5
	s_and_saveexec_b32 s2, vcc_lo
	s_xor_b32 s2, exec_lo, s2
; %bb.70:
	v_bfe_u32 v5, v4, 16, 1
	v_add3_u32 v5, v4, v5, 0x7fff
                                        ; implicit-def: $vgpr4
; %bb.71:
	s_andn2_saveexec_b32 s2, s2
; %bb.72:
	v_mov_b32_e32 v5, 0
	v_or_b32_e32 v26, 0x10000, v4
	v_cmp_eq_u32_sdwa vcc_lo, v4, v5 src0_sel:WORD_0 src1_sel:DWORD
	v_cndmask_b32_e32 v5, v26, v4, vcc_lo
; %bb.73:
	s_or_b32 exec_lo, exec_lo, s2
	v_and_b32_e32 v4, 0xffff0000, v5
	s_mov_b32 s2, exec_lo
                                        ; implicit-def: $vgpr26
	v_fmac_f32_e32 v4, s4, v21
	v_and_b32_e32 v5, 0x7f800000, v4
	v_cmpx_ne_u32_e32 0x7f800000, v5
	s_xor_b32 s2, exec_lo, s2
; %bb.74:
	v_bfe_u32 v5, v4, 16, 1
	v_add3_u32 v26, v4, v5, 0x7fff
                                        ; implicit-def: $vgpr4
; %bb.75:
	s_andn2_saveexec_b32 s2, s2
; %bb.76:
	v_mov_b32_e32 v5, 0
	v_or_b32_e32 v21, 0x10000, v4
	v_cmp_eq_u32_sdwa vcc_lo, v4, v5 src0_sel:WORD_0 src1_sel:DWORD
	v_cndmask_b32_e32 v26, v21, v4, vcc_lo
; %bb.77:
	s_or_b32 exec_lo, exec_lo, s2
	v_mul_lo_u32 v21, v23, s0
	v_mul_lo_u32 v23, v22, s1
	v_mad_u64_u32 v[4:5], null, v22, s0, 0
	v_add3_u32 v5, v5, v23, v21
	v_lshlrev_b64 v[4:5], 1, v[4:5]
	v_add_co_u32 v21, vcc_lo, s5, v4
	v_add_co_ci_u32_e64 v22, null, s9, v5, vcc_lo
	v_add_co_u32 v4, vcc_lo, v21, v0
	v_add_co_ci_u32_e64 v5, null, v22, v1, vcc_lo
	flat_store_short_d16_hi v[4:5], v26
	flat_load_ushort v23, v[2:3] offset:32
	s_waitcnt vmcnt(0) lgkmcnt(0)
	v_lshlrev_b32_e32 v23, 16, v23
	v_mul_f32_e32 v23, s8, v23
	v_and_b32_e32 v26, 0x7f800000, v23
	v_cmp_ne_u32_e32 vcc_lo, 0x7f800000, v26
                                        ; implicit-def: $vgpr26
	s_and_saveexec_b32 s2, vcc_lo
	s_xor_b32 s2, exec_lo, s2
; %bb.78:
	v_bfe_u32 v26, v23, 16, 1
	v_add3_u32 v26, v23, v26, 0x7fff
                                        ; implicit-def: $vgpr23
; %bb.79:
	s_andn2_saveexec_b32 s2, s2
; %bb.80:
	v_mov_b32_e32 v26, 0
	v_or_b32_e32 v27, 0x10000, v23
	v_cmp_eq_u32_sdwa vcc_lo, v23, v26 src0_sel:WORD_0 src1_sel:DWORD
	v_cndmask_b32_e32 v26, v27, v23, vcc_lo
; %bb.81:
	s_or_b32 exec_lo, exec_lo, s2
	v_and_b32_e32 v23, 0xffff0000, v26
	v_fmac_f32_e32 v23, s4, v20
	v_and_b32_e32 v20, 0x7f800000, v23
	v_cmp_ne_u32_e32 vcc_lo, 0x7f800000, v20
                                        ; implicit-def: $vgpr20
	s_and_saveexec_b32 s2, vcc_lo
	s_xor_b32 s2, exec_lo, s2
; %bb.82:
	v_bfe_u32 v20, v23, 16, 1
	v_add3_u32 v20, v23, v20, 0x7fff
                                        ; implicit-def: $vgpr23
; %bb.83:
	s_andn2_saveexec_b32 s2, s2
; %bb.84:
	v_mov_b32_e32 v20, 0
	v_or_b32_e32 v26, 0x10000, v23
	v_cmp_eq_u32_sdwa vcc_lo, v23, v20 src0_sel:WORD_0 src1_sel:DWORD
	v_cndmask_b32_e32 v20, v26, v23, vcc_lo
; %bb.85:
	s_or_b32 exec_lo, exec_lo, s2
	flat_store_short_d16_hi v[4:5], v20 offset:32
	flat_load_ushort v20, v[2:3] offset:64
	s_waitcnt vmcnt(0) lgkmcnt(0)
	v_lshlrev_b32_e32 v20, 16, v20
	v_mul_f32_e32 v20, s8, v20
	v_and_b32_e32 v23, 0x7f800000, v20
	v_cmp_ne_u32_e32 vcc_lo, 0x7f800000, v23
                                        ; implicit-def: $vgpr23
	s_and_saveexec_b32 s2, vcc_lo
	s_xor_b32 s2, exec_lo, s2
; %bb.86:
	v_bfe_u32 v23, v20, 16, 1
	v_add3_u32 v23, v20, v23, 0x7fff
                                        ; implicit-def: $vgpr20
; %bb.87:
	s_andn2_saveexec_b32 s2, s2
; %bb.88:
	v_mov_b32_e32 v23, 0
	v_or_b32_e32 v26, 0x10000, v20
	v_cmp_eq_u32_sdwa vcc_lo, v20, v23 src0_sel:WORD_0 src1_sel:DWORD
	v_cndmask_b32_e32 v23, v26, v20, vcc_lo
; %bb.89:
	s_or_b32 exec_lo, exec_lo, s2
	v_and_b32_e32 v20, 0xffff0000, v23
	v_fmac_f32_e32 v20, s4, v19
	v_and_b32_e32 v19, 0x7f800000, v20
	v_cmp_ne_u32_e32 vcc_lo, 0x7f800000, v19
                                        ; implicit-def: $vgpr19
	s_and_saveexec_b32 s2, vcc_lo
	s_xor_b32 s2, exec_lo, s2
; %bb.90:
	v_bfe_u32 v19, v20, 16, 1
	v_add3_u32 v19, v20, v19, 0x7fff
                                        ; implicit-def: $vgpr20
; %bb.91:
	s_andn2_saveexec_b32 s2, s2
; %bb.92:
	v_mov_b32_e32 v19, 0
	v_or_b32_e32 v23, 0x10000, v20
	v_cmp_eq_u32_sdwa vcc_lo, v20, v19 src0_sel:WORD_0 src1_sel:DWORD
	v_cndmask_b32_e32 v19, v23, v20, vcc_lo
; %bb.93:
	s_or_b32 exec_lo, exec_lo, s2
	flat_store_short_d16_hi v[4:5], v19 offset:64
	flat_load_ushort v2, v[2:3] offset:96
	s_waitcnt vmcnt(0) lgkmcnt(0)
	v_lshlrev_b32_e32 v2, 16, v2
	v_mul_f32_e32 v2, s8, v2
	v_and_b32_e32 v3, 0x7f800000, v2
	v_cmp_ne_u32_e32 vcc_lo, 0x7f800000, v3
                                        ; implicit-def: $vgpr3
	s_and_saveexec_b32 s2, vcc_lo
	s_xor_b32 s2, exec_lo, s2
; %bb.94:
	v_bfe_u32 v3, v2, 16, 1
	v_add3_u32 v3, v2, v3, 0x7fff
                                        ; implicit-def: $vgpr2
; %bb.95:
	s_andn2_saveexec_b32 s2, s2
; %bb.96:
	v_mov_b32_e32 v3, 0
	v_or_b32_e32 v19, 0x10000, v2
	v_cmp_eq_u32_sdwa vcc_lo, v2, v3 src0_sel:WORD_0 src1_sel:DWORD
	v_cndmask_b32_e32 v3, v19, v2, vcc_lo
; %bb.97:
	s_or_b32 exec_lo, exec_lo, s2
	v_and_b32_e32 v2, 0xffff0000, v3
	s_mov_b32 s2, exec_lo
	v_fmac_f32_e32 v2, s4, v18
                                        ; implicit-def: $vgpr18
	v_and_b32_e32 v3, 0x7f800000, v2
	v_cmpx_ne_u32_e32 0x7f800000, v3
	s_xor_b32 s2, exec_lo, s2
; %bb.98:
	v_bfe_u32 v3, v2, 16, 1
	v_add3_u32 v18, v2, v3, 0x7fff
                                        ; implicit-def: $vgpr2
; %bb.99:
	s_andn2_saveexec_b32 s2, s2
; %bb.100:
	v_mov_b32_e32 v3, 0
	v_or_b32_e32 v18, 0x10000, v2
	v_cmp_eq_u32_sdwa vcc_lo, v2, v3 src0_sel:WORD_0 src1_sel:DWORD
	v_cndmask_b32_e32 v18, v18, v2, vcc_lo
; %bb.101:
	s_or_b32 exec_lo, exec_lo, s2
	s_lshl_b64 s[2:3], s[14:15], 5
	flat_store_short_d16_hi v[4:5], v18 offset:96
	v_add_co_u32 v19, vcc_lo, v24, s2
	v_add_co_ci_u32_e64 v20, null, s3, v25, vcc_lo
	v_add_co_u32 v2, vcc_lo, v19, v0
	v_add_co_ci_u32_e64 v3, null, v20, v1, vcc_lo
	flat_load_ushort v4, v[2:3]
	s_waitcnt vmcnt(0) lgkmcnt(0)
	v_lshlrev_b32_e32 v4, 16, v4
	v_mul_f32_e32 v4, s8, v4
	v_and_b32_e32 v5, 0x7f800000, v4
	v_cmp_ne_u32_e32 vcc_lo, 0x7f800000, v5
                                        ; implicit-def: $vgpr5
	s_and_saveexec_b32 s2, vcc_lo
	s_xor_b32 s2, exec_lo, s2
; %bb.102:
	v_bfe_u32 v5, v4, 16, 1
	v_add3_u32 v5, v4, v5, 0x7fff
                                        ; implicit-def: $vgpr4
; %bb.103:
	s_andn2_saveexec_b32 s2, s2
; %bb.104:
	v_mov_b32_e32 v5, 0
	v_or_b32_e32 v18, 0x10000, v4
	v_cmp_eq_u32_sdwa vcc_lo, v4, v5 src0_sel:WORD_0 src1_sel:DWORD
	v_cndmask_b32_e32 v5, v18, v4, vcc_lo
; %bb.105:
	s_or_b32 exec_lo, exec_lo, s2
	v_and_b32_e32 v4, 0xffff0000, v5
	s_mov_b32 s2, exec_lo
                                        ; implicit-def: $vgpr23
	v_fmac_f32_e32 v4, s4, v17
	v_and_b32_e32 v5, 0x7f800000, v4
	v_cmpx_ne_u32_e32 0x7f800000, v5
	s_xor_b32 s2, exec_lo, s2
; %bb.106:
	v_bfe_u32 v5, v4, 16, 1
	v_add3_u32 v23, v4, v5, 0x7fff
                                        ; implicit-def: $vgpr4
; %bb.107:
	s_andn2_saveexec_b32 s2, s2
; %bb.108:
	v_mov_b32_e32 v5, 0
	v_or_b32_e32 v17, 0x10000, v4
	v_cmp_eq_u32_sdwa vcc_lo, v4, v5 src0_sel:WORD_0 src1_sel:DWORD
	v_cndmask_b32_e32 v23, v17, v4, vcc_lo
; %bb.109:
	s_or_b32 exec_lo, exec_lo, s2
	s_lshl_b64 s[2:3], s[0:1], 5
	v_add_co_u32 v17, vcc_lo, v21, s2
	v_add_co_ci_u32_e64 v18, null, s3, v22, vcc_lo
	v_add_co_u32 v4, vcc_lo, v17, v0
	v_add_co_ci_u32_e64 v5, null, v18, v1, vcc_lo
	flat_store_short_d16_hi v[4:5], v23
	flat_load_ushort v21, v[2:3] offset:32
	s_waitcnt vmcnt(0) lgkmcnt(0)
	v_lshlrev_b32_e32 v21, 16, v21
	v_mul_f32_e32 v21, s8, v21
	v_and_b32_e32 v22, 0x7f800000, v21
	v_cmp_ne_u32_e32 vcc_lo, 0x7f800000, v22
                                        ; implicit-def: $vgpr22
	s_and_saveexec_b32 s2, vcc_lo
	s_xor_b32 s2, exec_lo, s2
; %bb.110:
	v_bfe_u32 v22, v21, 16, 1
	v_add3_u32 v22, v21, v22, 0x7fff
                                        ; implicit-def: $vgpr21
; %bb.111:
	s_andn2_saveexec_b32 s2, s2
; %bb.112:
	v_mov_b32_e32 v22, 0
	v_or_b32_e32 v23, 0x10000, v21
	v_cmp_eq_u32_sdwa vcc_lo, v21, v22 src0_sel:WORD_0 src1_sel:DWORD
	v_cndmask_b32_e32 v22, v23, v21, vcc_lo
; %bb.113:
	s_or_b32 exec_lo, exec_lo, s2
	v_and_b32_e32 v21, 0xffff0000, v22
	v_fmac_f32_e32 v21, s4, v16
	v_and_b32_e32 v16, 0x7f800000, v21
	v_cmp_ne_u32_e32 vcc_lo, 0x7f800000, v16
                                        ; implicit-def: $vgpr16
	s_and_saveexec_b32 s2, vcc_lo
	s_xor_b32 s2, exec_lo, s2
; %bb.114:
	v_bfe_u32 v16, v21, 16, 1
	v_add3_u32 v16, v21, v16, 0x7fff
                                        ; implicit-def: $vgpr21
; %bb.115:
	s_andn2_saveexec_b32 s2, s2
; %bb.116:
	v_mov_b32_e32 v16, 0
	v_or_b32_e32 v22, 0x10000, v21
	v_cmp_eq_u32_sdwa vcc_lo, v21, v16 src0_sel:WORD_0 src1_sel:DWORD
	v_cndmask_b32_e32 v16, v22, v21, vcc_lo
; %bb.117:
	s_or_b32 exec_lo, exec_lo, s2
	flat_store_short_d16_hi v[4:5], v16 offset:32
	flat_load_ushort v16, v[2:3] offset:64
	s_waitcnt vmcnt(0) lgkmcnt(0)
	v_lshlrev_b32_e32 v16, 16, v16
	v_mul_f32_e32 v16, s8, v16
	v_and_b32_e32 v21, 0x7f800000, v16
	v_cmp_ne_u32_e32 vcc_lo, 0x7f800000, v21
                                        ; implicit-def: $vgpr21
	s_and_saveexec_b32 s2, vcc_lo
	s_xor_b32 s2, exec_lo, s2
; %bb.118:
	v_bfe_u32 v21, v16, 16, 1
	v_add3_u32 v21, v16, v21, 0x7fff
                                        ; implicit-def: $vgpr16
; %bb.119:
	s_andn2_saveexec_b32 s2, s2
; %bb.120:
	v_mov_b32_e32 v21, 0
	v_or_b32_e32 v22, 0x10000, v16
	v_cmp_eq_u32_sdwa vcc_lo, v16, v21 src0_sel:WORD_0 src1_sel:DWORD
	v_cndmask_b32_e32 v21, v22, v16, vcc_lo
; %bb.121:
	s_or_b32 exec_lo, exec_lo, s2
	v_and_b32_e32 v16, 0xffff0000, v21
	v_fmac_f32_e32 v16, s4, v15
	v_and_b32_e32 v15, 0x7f800000, v16
	v_cmp_ne_u32_e32 vcc_lo, 0x7f800000, v15
                                        ; implicit-def: $vgpr15
	s_and_saveexec_b32 s2, vcc_lo
	s_xor_b32 s2, exec_lo, s2
; %bb.122:
	v_bfe_u32 v15, v16, 16, 1
	v_add3_u32 v15, v16, v15, 0x7fff
                                        ; implicit-def: $vgpr16
; %bb.123:
	s_andn2_saveexec_b32 s2, s2
; %bb.124:
	v_mov_b32_e32 v15, 0
	v_or_b32_e32 v21, 0x10000, v16
	v_cmp_eq_u32_sdwa vcc_lo, v16, v15 src0_sel:WORD_0 src1_sel:DWORD
	v_cndmask_b32_e32 v15, v21, v16, vcc_lo
; %bb.125:
	s_or_b32 exec_lo, exec_lo, s2
	flat_store_short_d16_hi v[4:5], v15 offset:64
	flat_load_ushort v2, v[2:3] offset:96
	s_waitcnt vmcnt(0) lgkmcnt(0)
	v_lshlrev_b32_e32 v2, 16, v2
	v_mul_f32_e32 v2, s8, v2
	v_and_b32_e32 v3, 0x7f800000, v2
	v_cmp_ne_u32_e32 vcc_lo, 0x7f800000, v3
                                        ; implicit-def: $vgpr3
	s_and_saveexec_b32 s2, vcc_lo
	s_xor_b32 s2, exec_lo, s2
; %bb.126:
	v_bfe_u32 v3, v2, 16, 1
	v_add3_u32 v3, v2, v3, 0x7fff
                                        ; implicit-def: $vgpr2
; %bb.127:
	s_andn2_saveexec_b32 s2, s2
; %bb.128:
	v_mov_b32_e32 v3, 0
	v_or_b32_e32 v15, 0x10000, v2
	v_cmp_eq_u32_sdwa vcc_lo, v2, v3 src0_sel:WORD_0 src1_sel:DWORD
	v_cndmask_b32_e32 v3, v15, v2, vcc_lo
; %bb.129:
	s_or_b32 exec_lo, exec_lo, s2
	v_and_b32_e32 v2, 0xffff0000, v3
	s_mov_b32 s2, exec_lo
                                        ; implicit-def: $vgpr16
	v_fmac_f32_e32 v2, s4, v14
	v_and_b32_e32 v3, 0x7f800000, v2
	v_cmpx_ne_u32_e32 0x7f800000, v3
	s_xor_b32 s2, exec_lo, s2
; %bb.130:
	v_bfe_u32 v3, v2, 16, 1
	v_add3_u32 v16, v2, v3, 0x7fff
                                        ; implicit-def: $vgpr2
; %bb.131:
	s_or_saveexec_b32 s5, s2
	s_lshl_b64 s[2:3], s[14:15], 4
	s_xor_b32 exec_lo, exec_lo, s5
; %bb.132:
	v_mov_b32_e32 v3, 0
	v_or_b32_e32 v14, 0x10000, v2
	v_cmp_eq_u32_sdwa vcc_lo, v2, v3 src0_sel:WORD_0 src1_sel:DWORD
	v_cndmask_b32_e32 v16, v14, v2, vcc_lo
; %bb.133:
	s_or_b32 exec_lo, exec_lo, s5
	s_lshl_b64 s[2:3], s[2:3], 1
	flat_store_short_d16_hi v[4:5], v16 offset:96
	v_add_co_u32 v14, vcc_lo, v19, s2
	v_add_co_ci_u32_e64 v15, null, s3, v20, vcc_lo
	v_add_co_u32 v2, vcc_lo, v14, v0
	v_add_co_ci_u32_e64 v3, null, v15, v1, vcc_lo
	flat_load_ushort v4, v[2:3]
	s_waitcnt vmcnt(0) lgkmcnt(0)
	v_lshlrev_b32_e32 v4, 16, v4
	v_mul_f32_e32 v4, s8, v4
	v_and_b32_e32 v5, 0x7f800000, v4
	v_cmp_ne_u32_e32 vcc_lo, 0x7f800000, v5
                                        ; implicit-def: $vgpr5
	s_and_saveexec_b32 s5, vcc_lo
	s_xor_b32 s5, exec_lo, s5
; %bb.134:
	v_bfe_u32 v5, v4, 16, 1
	v_add3_u32 v5, v4, v5, 0x7fff
                                        ; implicit-def: $vgpr4
; %bb.135:
	s_andn2_saveexec_b32 s5, s5
; %bb.136:
	v_mov_b32_e32 v5, 0
	v_or_b32_e32 v16, 0x10000, v4
	v_cmp_eq_u32_sdwa vcc_lo, v4, v5 src0_sel:WORD_0 src1_sel:DWORD
	v_cndmask_b32_e32 v5, v16, v4, vcc_lo
; %bb.137:
	s_or_b32 exec_lo, exec_lo, s5
	v_and_b32_e32 v4, 0xffff0000, v5
	s_mov_b32 s5, exec_lo
                                        ; implicit-def: $vgpr19
	v_fmac_f32_e32 v4, s4, v13
	v_and_b32_e32 v5, 0x7f800000, v4
	v_cmpx_ne_u32_e32 0x7f800000, v5
	s_xor_b32 s5, exec_lo, s5
; %bb.138:
	v_bfe_u32 v5, v4, 16, 1
	v_add3_u32 v19, v4, v5, 0x7fff
                                        ; implicit-def: $vgpr4
; %bb.139:
	s_or_saveexec_b32 s5, s5
	s_lshl_b64 s[0:1], s[0:1], 4
	s_xor_b32 exec_lo, exec_lo, s5
; %bb.140:
	v_mov_b32_e32 v5, 0
	v_or_b32_e32 v13, 0x10000, v4
	v_cmp_eq_u32_sdwa vcc_lo, v4, v5 src0_sel:WORD_0 src1_sel:DWORD
	v_cndmask_b32_e32 v19, v13, v4, vcc_lo
; %bb.141:
	s_or_b32 exec_lo, exec_lo, s5
	s_lshl_b64 s[0:1], s[0:1], 1
	v_add_co_u32 v13, vcc_lo, v17, s0
	v_add_co_ci_u32_e64 v16, null, s1, v18, vcc_lo
	v_add_co_u32 v4, vcc_lo, v13, v0
	v_add_co_ci_u32_e64 v5, null, v16, v1, vcc_lo
	flat_store_short_d16_hi v[4:5], v19
	flat_load_ushort v17, v[2:3] offset:32
	s_waitcnt vmcnt(0) lgkmcnt(0)
	v_lshlrev_b32_e32 v17, 16, v17
	v_mul_f32_e32 v17, s8, v17
	v_and_b32_e32 v18, 0x7f800000, v17
	v_cmp_ne_u32_e32 vcc_lo, 0x7f800000, v18
                                        ; implicit-def: $vgpr18
	s_and_saveexec_b32 s5, vcc_lo
	s_xor_b32 s5, exec_lo, s5
; %bb.142:
	v_bfe_u32 v18, v17, 16, 1
	v_add3_u32 v18, v17, v18, 0x7fff
                                        ; implicit-def: $vgpr17
; %bb.143:
	s_andn2_saveexec_b32 s5, s5
; %bb.144:
	v_mov_b32_e32 v18, 0
	v_or_b32_e32 v19, 0x10000, v17
	v_cmp_eq_u32_sdwa vcc_lo, v17, v18 src0_sel:WORD_0 src1_sel:DWORD
	v_cndmask_b32_e32 v18, v19, v17, vcc_lo
; %bb.145:
	s_or_b32 exec_lo, exec_lo, s5
	v_and_b32_e32 v17, 0xffff0000, v18
	v_fmac_f32_e32 v17, s4, v12
	v_and_b32_e32 v12, 0x7f800000, v17
	v_cmp_ne_u32_e32 vcc_lo, 0x7f800000, v12
                                        ; implicit-def: $vgpr12
	s_and_saveexec_b32 s5, vcc_lo
	s_xor_b32 s5, exec_lo, s5
; %bb.146:
	v_bfe_u32 v12, v17, 16, 1
	v_add3_u32 v12, v17, v12, 0x7fff
                                        ; implicit-def: $vgpr17
; %bb.147:
	s_andn2_saveexec_b32 s5, s5
; %bb.148:
	v_mov_b32_e32 v12, 0
	v_or_b32_e32 v18, 0x10000, v17
	v_cmp_eq_u32_sdwa vcc_lo, v17, v12 src0_sel:WORD_0 src1_sel:DWORD
	v_cndmask_b32_e32 v12, v18, v17, vcc_lo
; %bb.149:
	s_or_b32 exec_lo, exec_lo, s5
	flat_store_short_d16_hi v[4:5], v12 offset:32
	flat_load_ushort v12, v[2:3] offset:64
	s_waitcnt vmcnt(0) lgkmcnt(0)
	v_lshlrev_b32_e32 v12, 16, v12
	v_mul_f32_e32 v12, s8, v12
	v_and_b32_e32 v17, 0x7f800000, v12
	v_cmp_ne_u32_e32 vcc_lo, 0x7f800000, v17
                                        ; implicit-def: $vgpr17
	s_and_saveexec_b32 s5, vcc_lo
	s_xor_b32 s5, exec_lo, s5
; %bb.150:
	v_bfe_u32 v17, v12, 16, 1
	v_add3_u32 v17, v12, v17, 0x7fff
                                        ; implicit-def: $vgpr12
; %bb.151:
	s_andn2_saveexec_b32 s5, s5
; %bb.152:
	v_mov_b32_e32 v17, 0
	v_or_b32_e32 v18, 0x10000, v12
	v_cmp_eq_u32_sdwa vcc_lo, v12, v17 src0_sel:WORD_0 src1_sel:DWORD
	v_cndmask_b32_e32 v17, v18, v12, vcc_lo
; %bb.153:
	s_or_b32 exec_lo, exec_lo, s5
	v_and_b32_e32 v12, 0xffff0000, v17
	v_fmac_f32_e32 v12, s4, v11
	v_and_b32_e32 v11, 0x7f800000, v12
	v_cmp_ne_u32_e32 vcc_lo, 0x7f800000, v11
                                        ; implicit-def: $vgpr11
	s_and_saveexec_b32 s5, vcc_lo
	s_xor_b32 s5, exec_lo, s5
; %bb.154:
	v_bfe_u32 v11, v12, 16, 1
	v_add3_u32 v11, v12, v11, 0x7fff
                                        ; implicit-def: $vgpr12
; %bb.155:
	s_andn2_saveexec_b32 s5, s5
; %bb.156:
	v_mov_b32_e32 v11, 0
	v_or_b32_e32 v17, 0x10000, v12
	v_cmp_eq_u32_sdwa vcc_lo, v12, v11 src0_sel:WORD_0 src1_sel:DWORD
	v_cndmask_b32_e32 v11, v17, v12, vcc_lo
; %bb.157:
	s_or_b32 exec_lo, exec_lo, s5
	flat_store_short_d16_hi v[4:5], v11 offset:64
	flat_load_ushort v2, v[2:3] offset:96
	s_waitcnt vmcnt(0) lgkmcnt(0)
	v_lshlrev_b32_e32 v2, 16, v2
	v_mul_f32_e32 v2, s8, v2
	v_and_b32_e32 v3, 0x7f800000, v2
	v_cmp_ne_u32_e32 vcc_lo, 0x7f800000, v3
                                        ; implicit-def: $vgpr3
	s_and_saveexec_b32 s5, vcc_lo
	s_xor_b32 s5, exec_lo, s5
; %bb.158:
	v_bfe_u32 v3, v2, 16, 1
	v_add3_u32 v3, v2, v3, 0x7fff
                                        ; implicit-def: $vgpr2
; %bb.159:
	s_andn2_saveexec_b32 s5, s5
; %bb.160:
	v_mov_b32_e32 v3, 0
	v_or_b32_e32 v11, 0x10000, v2
	v_cmp_eq_u32_sdwa vcc_lo, v2, v3 src0_sel:WORD_0 src1_sel:DWORD
	v_cndmask_b32_e32 v3, v11, v2, vcc_lo
; %bb.161:
	s_or_b32 exec_lo, exec_lo, s5
	v_and_b32_e32 v2, 0xffff0000, v3
	s_mov_b32 s5, exec_lo
	v_fmac_f32_e32 v2, s4, v10
                                        ; implicit-def: $vgpr10
	v_and_b32_e32 v3, 0x7f800000, v2
	v_cmpx_ne_u32_e32 0x7f800000, v3
	s_xor_b32 s5, exec_lo, s5
; %bb.162:
	v_bfe_u32 v3, v2, 16, 1
	v_add3_u32 v10, v2, v3, 0x7fff
                                        ; implicit-def: $vgpr2
; %bb.163:
	s_andn2_saveexec_b32 s5, s5
; %bb.164:
	v_mov_b32_e32 v3, 0
	v_or_b32_e32 v10, 0x10000, v2
	v_cmp_eq_u32_sdwa vcc_lo, v2, v3 src0_sel:WORD_0 src1_sel:DWORD
	v_cndmask_b32_e32 v10, v10, v2, vcc_lo
; %bb.165:
	s_or_b32 exec_lo, exec_lo, s5
	v_add_co_u32 v2, vcc_lo, v14, s2
	v_add_co_ci_u32_e64 v3, null, s3, v15, vcc_lo
	flat_store_short_d16_hi v[4:5], v10 offset:96
	v_add_co_u32 v2, vcc_lo, v2, v0
	v_add_co_ci_u32_e64 v3, null, v3, v1, vcc_lo
	flat_load_ushort v4, v[2:3]
	s_waitcnt vmcnt(0) lgkmcnt(0)
	v_lshlrev_b32_e32 v4, 16, v4
	v_mul_f32_e32 v4, s8, v4
	v_and_b32_e32 v5, 0x7f800000, v4
	v_cmp_ne_u32_e32 vcc_lo, 0x7f800000, v5
                                        ; implicit-def: $vgpr5
	s_and_saveexec_b32 s2, vcc_lo
	s_xor_b32 s2, exec_lo, s2
; %bb.166:
	v_bfe_u32 v5, v4, 16, 1
	v_add3_u32 v5, v4, v5, 0x7fff
                                        ; implicit-def: $vgpr4
; %bb.167:
	s_andn2_saveexec_b32 s2, s2
; %bb.168:
	v_mov_b32_e32 v5, 0
	v_or_b32_e32 v10, 0x10000, v4
	v_cmp_eq_u32_sdwa vcc_lo, v4, v5 src0_sel:WORD_0 src1_sel:DWORD
	v_cndmask_b32_e32 v5, v10, v4, vcc_lo
; %bb.169:
	s_or_b32 exec_lo, exec_lo, s2
	v_and_b32_e32 v5, 0xffff0000, v5
	v_fmac_f32_e32 v5, s4, v9
	v_and_b32_e32 v4, 0x7f800000, v5
	v_cmp_ne_u32_e32 vcc_lo, 0x7f800000, v4
                                        ; implicit-def: $vgpr4
	s_and_saveexec_b32 s2, vcc_lo
	s_xor_b32 s2, exec_lo, s2
; %bb.170:
	v_bfe_u32 v4, v5, 16, 1
	v_add3_u32 v4, v5, v4, 0x7fff
                                        ; implicit-def: $vgpr5
; %bb.171:
	s_andn2_saveexec_b32 s2, s2
; %bb.172:
	v_mov_b32_e32 v4, 0
	v_or_b32_e32 v9, 0x10000, v5
	v_cmp_eq_u32_sdwa vcc_lo, v5, v4 src0_sel:WORD_0 src1_sel:DWORD
	v_cndmask_b32_e32 v4, v9, v5, vcc_lo
; %bb.173:
	s_or_b32 exec_lo, exec_lo, s2
	v_add_co_u32 v5, vcc_lo, v13, s0
	v_add_co_ci_u32_e64 v9, null, s1, v16, vcc_lo
	v_add_co_u32 v0, vcc_lo, v5, v0
	v_add_co_ci_u32_e64 v1, null, v9, v1, vcc_lo
	flat_store_short_d16_hi v[0:1], v4
	flat_load_ushort v4, v[2:3] offset:32
	s_waitcnt vmcnt(0) lgkmcnt(0)
	v_lshlrev_b32_e32 v4, 16, v4
	v_mul_f32_e32 v4, s8, v4
	v_and_b32_e32 v5, 0x7f800000, v4
	v_cmp_ne_u32_e32 vcc_lo, 0x7f800000, v5
                                        ; implicit-def: $vgpr5
	s_and_saveexec_b32 s0, vcc_lo
	s_xor_b32 s0, exec_lo, s0
; %bb.174:
	v_bfe_u32 v5, v4, 16, 1
	v_add3_u32 v5, v4, v5, 0x7fff
                                        ; implicit-def: $vgpr4
; %bb.175:
	s_andn2_saveexec_b32 s0, s0
; %bb.176:
	v_mov_b32_e32 v5, 0
	v_or_b32_e32 v9, 0x10000, v4
	v_cmp_eq_u32_sdwa vcc_lo, v4, v5 src0_sel:WORD_0 src1_sel:DWORD
	v_cndmask_b32_e32 v5, v9, v4, vcc_lo
; %bb.177:
	s_or_b32 exec_lo, exec_lo, s0
	v_and_b32_e32 v4, 0xffff0000, v5
	v_fmac_f32_e32 v4, s4, v8
	v_and_b32_e32 v5, 0x7f800000, v4
	v_cmp_ne_u32_e32 vcc_lo, 0x7f800000, v5
                                        ; implicit-def: $vgpr5
	s_and_saveexec_b32 s0, vcc_lo
	s_xor_b32 s0, exec_lo, s0
; %bb.178:
	v_bfe_u32 v5, v4, 16, 1
	v_add3_u32 v5, v4, v5, 0x7fff
                                        ; implicit-def: $vgpr4
; %bb.179:
	s_andn2_saveexec_b32 s0, s0
; %bb.180:
	v_mov_b32_e32 v5, 0
	v_or_b32_e32 v8, 0x10000, v4
	v_cmp_eq_u32_sdwa vcc_lo, v4, v5 src0_sel:WORD_0 src1_sel:DWORD
	v_cndmask_b32_e32 v5, v8, v4, vcc_lo
; %bb.181:
	s_or_b32 exec_lo, exec_lo, s0
	flat_store_short_d16_hi v[0:1], v5 offset:32
	flat_load_ushort v4, v[2:3] offset:64
	s_waitcnt vmcnt(0) lgkmcnt(0)
	v_lshlrev_b32_e32 v4, 16, v4
	v_mul_f32_e32 v4, s8, v4
	v_and_b32_e32 v5, 0x7f800000, v4
	v_cmp_ne_u32_e32 vcc_lo, 0x7f800000, v5
                                        ; implicit-def: $vgpr5
	s_and_saveexec_b32 s0, vcc_lo
	s_xor_b32 s0, exec_lo, s0
; %bb.182:
	v_bfe_u32 v5, v4, 16, 1
	v_add3_u32 v5, v4, v5, 0x7fff
                                        ; implicit-def: $vgpr4
; %bb.183:
	s_andn2_saveexec_b32 s0, s0
; %bb.184:
	v_mov_b32_e32 v5, 0
	v_or_b32_e32 v8, 0x10000, v4
	v_cmp_eq_u32_sdwa vcc_lo, v4, v5 src0_sel:WORD_0 src1_sel:DWORD
	v_cndmask_b32_e32 v5, v8, v4, vcc_lo
; %bb.185:
	s_or_b32 exec_lo, exec_lo, s0
	v_and_b32_e32 v4, 0xffff0000, v5
	v_fmac_f32_e32 v4, s4, v7
	v_and_b32_e32 v5, 0x7f800000, v4
	v_cmp_ne_u32_e32 vcc_lo, 0x7f800000, v5
                                        ; implicit-def: $vgpr5
	s_and_saveexec_b32 s0, vcc_lo
	s_xor_b32 s0, exec_lo, s0
; %bb.186:
	v_bfe_u32 v5, v4, 16, 1
	v_add3_u32 v5, v4, v5, 0x7fff
                                        ; implicit-def: $vgpr4
; %bb.187:
	s_andn2_saveexec_b32 s0, s0
; %bb.188:
	v_mov_b32_e32 v5, 0
	v_or_b32_e32 v7, 0x10000, v4
	v_cmp_eq_u32_sdwa vcc_lo, v4, v5 src0_sel:WORD_0 src1_sel:DWORD
	v_cndmask_b32_e32 v5, v7, v4, vcc_lo
; %bb.189:
	s_or_b32 exec_lo, exec_lo, s0
	flat_store_short_d16_hi v[0:1], v5 offset:64
	flat_load_ushort v2, v[2:3] offset:96
	s_waitcnt vmcnt(0) lgkmcnt(0)
	v_lshlrev_b32_e32 v2, 16, v2
	v_mul_f32_e32 v2, s8, v2
	v_and_b32_e32 v3, 0x7f800000, v2
	v_cmp_ne_u32_e32 vcc_lo, 0x7f800000, v3
                                        ; implicit-def: $vgpr3
	s_and_saveexec_b32 s0, vcc_lo
	s_xor_b32 s0, exec_lo, s0
; %bb.190:
	v_bfe_u32 v3, v2, 16, 1
	v_add3_u32 v3, v2, v3, 0x7fff
                                        ; implicit-def: $vgpr2
; %bb.191:
	s_andn2_saveexec_b32 s0, s0
; %bb.192:
	v_mov_b32_e32 v3, 0
	v_or_b32_e32 v4, 0x10000, v2
	v_cmp_eq_u32_sdwa vcc_lo, v2, v3 src0_sel:WORD_0 src1_sel:DWORD
	v_cndmask_b32_e32 v3, v4, v2, vcc_lo
; %bb.193:
	s_or_b32 exec_lo, exec_lo, s0
	v_and_b32_e32 v2, 0xffff0000, v3
	v_fmac_f32_e32 v2, s4, v6
	v_and_b32_e32 v3, 0x7f800000, v2
	v_cmp_ne_u32_e32 vcc_lo, 0x7f800000, v3
                                        ; implicit-def: $vgpr3
	s_and_saveexec_b32 s0, vcc_lo
	s_xor_b32 s0, exec_lo, s0
	s_cbranch_execnz .LBB145_198
; %bb.194:
	s_andn2_saveexec_b32 s0, s0
	s_cbranch_execnz .LBB145_199
.LBB145_195:
	s_or_b32 exec_lo, exec_lo, s0
	flat_store_short_d16_hi v[0:1], v3 offset:96
	s_endpgm
.LBB145_196:
	s_cbranch_execnz .LBB145_69
.LBB145_197:
	s_endpgm
.LBB145_198:
	v_bfe_u32 v3, v2, 16, 1
	v_add3_u32 v3, v2, v3, 0x7fff
                                        ; implicit-def: $vgpr2
	s_andn2_saveexec_b32 s0, s0
	s_cbranch_execz .LBB145_195
.LBB145_199:
	v_mov_b32_e32 v3, 0
	v_or_b32_e32 v4, 0x10000, v2
	v_cmp_eq_u32_sdwa vcc_lo, v2, v3 src0_sel:WORD_0 src1_sel:DWORD
	v_cndmask_b32_e32 v3, v4, v2, vcc_lo
	s_or_b32 exec_lo, exec_lo, s0
	flat_store_short_d16_hi v[0:1], v3 offset:96
	s_endpgm
	.section	.rodata,"a",@progbits
	.p2align	6, 0x0
	.amdhsa_kernel _ZN12_GLOBAL__N_127rocblas_gemm_batched_kernelIfLi16ELi16ELi64ELi64ELi4ELi64ELi4ELi4ELi64ELc67ELc78EKPK16rocblas_bfloat16S4_KPS1_EEvlllT_PT11_llS9_llS7_PT12_llPT13_lli
		.amdhsa_group_segment_fixed_size 2048
		.amdhsa_private_segment_fixed_size 0
		.amdhsa_kernarg_size 140
		.amdhsa_user_sgpr_count 6
		.amdhsa_user_sgpr_private_segment_buffer 1
		.amdhsa_user_sgpr_dispatch_ptr 0
		.amdhsa_user_sgpr_queue_ptr 0
		.amdhsa_user_sgpr_kernarg_segment_ptr 1
		.amdhsa_user_sgpr_dispatch_id 0
		.amdhsa_user_sgpr_flat_scratch_init 0
		.amdhsa_user_sgpr_private_segment_size 0
		.amdhsa_wavefront_size32 1
		.amdhsa_uses_dynamic_stack 0
		.amdhsa_system_sgpr_private_segment_wavefront_offset 0
		.amdhsa_system_sgpr_workgroup_id_x 1
		.amdhsa_system_sgpr_workgroup_id_y 1
		.amdhsa_system_sgpr_workgroup_id_z 1
		.amdhsa_system_sgpr_workgroup_info 0
		.amdhsa_system_vgpr_workitem_id 1
		.amdhsa_next_free_vgpr 58
		.amdhsa_next_free_sgpr 36
		.amdhsa_reserve_vcc 1
		.amdhsa_reserve_flat_scratch 0
		.amdhsa_float_round_mode_32 0
		.amdhsa_float_round_mode_16_64 0
		.amdhsa_float_denorm_mode_32 3
		.amdhsa_float_denorm_mode_16_64 3
		.amdhsa_dx10_clamp 1
		.amdhsa_ieee_mode 1
		.amdhsa_fp16_overflow 0
		.amdhsa_workgroup_processor_mode 1
		.amdhsa_memory_ordered 1
		.amdhsa_forward_progress 1
		.amdhsa_shared_vgpr_count 0
		.amdhsa_exception_fp_ieee_invalid_op 0
		.amdhsa_exception_fp_denorm_src 0
		.amdhsa_exception_fp_ieee_div_zero 0
		.amdhsa_exception_fp_ieee_overflow 0
		.amdhsa_exception_fp_ieee_underflow 0
		.amdhsa_exception_fp_ieee_inexact 0
		.amdhsa_exception_int_div_zero 0
	.end_amdhsa_kernel
	.section	.text._ZN12_GLOBAL__N_127rocblas_gemm_batched_kernelIfLi16ELi16ELi64ELi64ELi4ELi64ELi4ELi4ELi64ELc67ELc78EKPK16rocblas_bfloat16S4_KPS1_EEvlllT_PT11_llS9_llS7_PT12_llPT13_lli,"axG",@progbits,_ZN12_GLOBAL__N_127rocblas_gemm_batched_kernelIfLi16ELi16ELi64ELi64ELi4ELi64ELi4ELi4ELi64ELc67ELc78EKPK16rocblas_bfloat16S4_KPS1_EEvlllT_PT11_llS9_llS7_PT12_llPT13_lli,comdat
.Lfunc_end145:
	.size	_ZN12_GLOBAL__N_127rocblas_gemm_batched_kernelIfLi16ELi16ELi64ELi64ELi4ELi64ELi4ELi4ELi64ELc67ELc78EKPK16rocblas_bfloat16S4_KPS1_EEvlllT_PT11_llS9_llS7_PT12_llPT13_lli, .Lfunc_end145-_ZN12_GLOBAL__N_127rocblas_gemm_batched_kernelIfLi16ELi16ELi64ELi64ELi4ELi64ELi4ELi4ELi64ELc67ELc78EKPK16rocblas_bfloat16S4_KPS1_EEvlllT_PT11_llS9_llS7_PT12_llPT13_lli
                                        ; -- End function
	.set _ZN12_GLOBAL__N_127rocblas_gemm_batched_kernelIfLi16ELi16ELi64ELi64ELi4ELi64ELi4ELi4ELi64ELc67ELc78EKPK16rocblas_bfloat16S4_KPS1_EEvlllT_PT11_llS9_llS7_PT12_llPT13_lli.num_vgpr, 58
	.set _ZN12_GLOBAL__N_127rocblas_gemm_batched_kernelIfLi16ELi16ELi64ELi64ELi4ELi64ELi4ELi4ELi64ELc67ELc78EKPK16rocblas_bfloat16S4_KPS1_EEvlllT_PT11_llS9_llS7_PT12_llPT13_lli.num_agpr, 0
	.set _ZN12_GLOBAL__N_127rocblas_gemm_batched_kernelIfLi16ELi16ELi64ELi64ELi4ELi64ELi4ELi4ELi64ELc67ELc78EKPK16rocblas_bfloat16S4_KPS1_EEvlllT_PT11_llS9_llS7_PT12_llPT13_lli.numbered_sgpr, 36
	.set _ZN12_GLOBAL__N_127rocblas_gemm_batched_kernelIfLi16ELi16ELi64ELi64ELi4ELi64ELi4ELi4ELi64ELc67ELc78EKPK16rocblas_bfloat16S4_KPS1_EEvlllT_PT11_llS9_llS7_PT12_llPT13_lli.num_named_barrier, 0
	.set _ZN12_GLOBAL__N_127rocblas_gemm_batched_kernelIfLi16ELi16ELi64ELi64ELi4ELi64ELi4ELi4ELi64ELc67ELc78EKPK16rocblas_bfloat16S4_KPS1_EEvlllT_PT11_llS9_llS7_PT12_llPT13_lli.private_seg_size, 0
	.set _ZN12_GLOBAL__N_127rocblas_gemm_batched_kernelIfLi16ELi16ELi64ELi64ELi4ELi64ELi4ELi4ELi64ELc67ELc78EKPK16rocblas_bfloat16S4_KPS1_EEvlllT_PT11_llS9_llS7_PT12_llPT13_lli.uses_vcc, 1
	.set _ZN12_GLOBAL__N_127rocblas_gemm_batched_kernelIfLi16ELi16ELi64ELi64ELi4ELi64ELi4ELi4ELi64ELc67ELc78EKPK16rocblas_bfloat16S4_KPS1_EEvlllT_PT11_llS9_llS7_PT12_llPT13_lli.uses_flat_scratch, 0
	.set _ZN12_GLOBAL__N_127rocblas_gemm_batched_kernelIfLi16ELi16ELi64ELi64ELi4ELi64ELi4ELi4ELi64ELc67ELc78EKPK16rocblas_bfloat16S4_KPS1_EEvlllT_PT11_llS9_llS7_PT12_llPT13_lli.has_dyn_sized_stack, 0
	.set _ZN12_GLOBAL__N_127rocblas_gemm_batched_kernelIfLi16ELi16ELi64ELi64ELi4ELi64ELi4ELi4ELi64ELc67ELc78EKPK16rocblas_bfloat16S4_KPS1_EEvlllT_PT11_llS9_llS7_PT12_llPT13_lli.has_recursion, 0
	.set _ZN12_GLOBAL__N_127rocblas_gemm_batched_kernelIfLi16ELi16ELi64ELi64ELi4ELi64ELi4ELi4ELi64ELc67ELc78EKPK16rocblas_bfloat16S4_KPS1_EEvlllT_PT11_llS9_llS7_PT12_llPT13_lli.has_indirect_call, 0
	.section	.AMDGPU.csdata,"",@progbits
; Kernel info:
; codeLenInByte = 6272
; TotalNumSgprs: 38
; NumVgprs: 58
; ScratchSize: 0
; MemoryBound: 0
; FloatMode: 240
; IeeeMode: 1
; LDSByteSize: 2048 bytes/workgroup (compile time only)
; SGPRBlocks: 0
; VGPRBlocks: 7
; NumSGPRsForWavesPerEU: 38
; NumVGPRsForWavesPerEU: 58
; Occupancy: 16
; WaveLimiterHint : 1
; COMPUTE_PGM_RSRC2:SCRATCH_EN: 0
; COMPUTE_PGM_RSRC2:USER_SGPR: 6
; COMPUTE_PGM_RSRC2:TRAP_HANDLER: 0
; COMPUTE_PGM_RSRC2:TGID_X_EN: 1
; COMPUTE_PGM_RSRC2:TGID_Y_EN: 1
; COMPUTE_PGM_RSRC2:TGID_Z_EN: 1
; COMPUTE_PGM_RSRC2:TIDIG_COMP_CNT: 1
	.section	.text._ZN12_GLOBAL__N_127rocblas_gemm_batched_kernelIfLi16ELi16ELi64ELi64ELi4ELi64ELi4ELi4ELi64ELc67ELc84EKPK16rocblas_bfloat16S4_KPS1_EEvlllT_PT11_llS9_llS7_PT12_llPT13_lli,"axG",@progbits,_ZN12_GLOBAL__N_127rocblas_gemm_batched_kernelIfLi16ELi16ELi64ELi64ELi4ELi64ELi4ELi4ELi64ELc67ELc84EKPK16rocblas_bfloat16S4_KPS1_EEvlllT_PT11_llS9_llS7_PT12_llPT13_lli,comdat
	.globl	_ZN12_GLOBAL__N_127rocblas_gemm_batched_kernelIfLi16ELi16ELi64ELi64ELi4ELi64ELi4ELi4ELi64ELc67ELc84EKPK16rocblas_bfloat16S4_KPS1_EEvlllT_PT11_llS9_llS7_PT12_llPT13_lli ; -- Begin function _ZN12_GLOBAL__N_127rocblas_gemm_batched_kernelIfLi16ELi16ELi64ELi64ELi4ELi64ELi4ELi4ELi64ELc67ELc84EKPK16rocblas_bfloat16S4_KPS1_EEvlllT_PT11_llS9_llS7_PT12_llPT13_lli
	.p2align	8
	.type	_ZN12_GLOBAL__N_127rocblas_gemm_batched_kernelIfLi16ELi16ELi64ELi64ELi4ELi64ELi4ELi4ELi64ELc67ELc84EKPK16rocblas_bfloat16S4_KPS1_EEvlllT_PT11_llS9_llS7_PT12_llPT13_lli,@function
_ZN12_GLOBAL__N_127rocblas_gemm_batched_kernelIfLi16ELi16ELi64ELi64ELi4ELi64ELi4ELi4ELi64ELc67ELc84EKPK16rocblas_bfloat16S4_KPS1_EEvlllT_PT11_llS9_llS7_PT12_llPT13_lli: ; @_ZN12_GLOBAL__N_127rocblas_gemm_batched_kernelIfLi16ELi16ELi64ELi64ELi4ELi64ELi4ELi4ELi64ELc67ELc84EKPK16rocblas_bfloat16S4_KPS1_EEvlllT_PT11_llS9_llS7_PT12_llPT13_lli
; %bb.0:
	s_clause 0x1
	s_load_dwordx8 s[12:19], s[4:5], 0x58
	s_load_dwordx2 s[28:29], s[4:5], 0x10
	s_mov_b32 s9, 0
	s_load_dwordx4 s[0:3], s[4:5], 0x78
	s_lshl_b64 s[34:35], s[8:9], 3
	s_mov_b32 s10, s7
	v_mov_b32_e32 v21, 0
	v_mov_b32_e32 v20, 0
	;; [unrolled: 1-line block ×14, first 2 shown]
	s_waitcnt lgkmcnt(0)
	s_add_u32 s8, s12, s34
	s_addc_u32 s9, s13, s35
	s_add_u32 s18, s18, s34
	s_addc_u32 s19, s19, s35
	s_load_dwordx2 s[12:13], s[8:9], 0x0
	s_load_dwordx2 s[18:19], s[18:19], 0x0
	v_cmp_lt_i64_e64 s20, s[28:29], 1
	v_mov_b32_e32 v7, 0
	v_mov_b32_e32 v6, 0
	s_ashr_i32 s7, s6, 31
	s_ashr_i32 s11, s10, 31
	s_lshl_b64 s[6:7], s[6:7], 6
	s_and_b32 vcc_lo, exec_lo, s20
	s_lshl_b64 s[30:31], s[10:11], 6
	s_cbranch_vccnz .LBB146_3
; %bb.1:
	v_lshlrev_b32_e32 v9, 4, v1
	s_clause 0x1
	s_load_dwordx8 s[20:27], s[4:5], 0x20
	s_load_dwordx4 s[8:11], s[4:5], 0x40
	v_and_b32_e32 v10, 3, v0
	v_mov_b32_e32 v6, 0
	v_lshlrev_b32_e32 v22, 2, v0
	v_add_nc_u32_e32 v7, v9, v0
	v_add_nc_u32_e32 v25, 0x400, v9
	v_lshlrev_b32_e32 v12, 2, v10
	v_mov_b32_e32 v9, 0
	v_mov_b32_e32 v16, 0
	v_lshrrev_b32_e32 v8, 2, v7
	v_and_b32_e32 v11, 63, v7
	v_lshrrev_b32_e32 v15, 6, v7
	v_mov_b32_e32 v17, 0
	v_mov_b32_e32 v18, 0
	v_add_co_u32 v2, s33, v8, s30
	v_add_co_ci_u32_e64 v3, null, 0, s31, s33
	v_add_co_u32 v4, s33, s6, v11
	v_add_co_ci_u32_e64 v5, null, s7, 0, s33
	s_waitcnt lgkmcnt(0)
	v_mad_u64_u32 v[2:3], null, s8, v10, v[2:3]
	v_mul_lo_u32 v13, s23, v4
	v_mul_lo_u32 v14, s22, v5
	v_mad_u64_u32 v[4:5], null, s22, v4, 0
	s_add_u32 s20, s20, s34
	s_addc_u32 s21, s21, s35
	s_add_u32 s22, s26, s34
	s_addc_u32 s23, s27, s35
	s_load_dwordx2 s[20:21], s[20:21], 0x0
	s_load_dwordx2 s[22:23], s[22:23], 0x0
	v_add3_u32 v5, v5, v14, v13
	v_lshl_or_b32 v12, v8, 4, v12
	v_mad_u64_u32 v[7:8], null, s9, v10, v[3:4]
	s_lshl_b64 s[24:25], s[24:25], 1
	v_lshlrev_b64 v[4:5], 1, v[4:5]
	s_lshl_b64 s[10:11], s[10:11], 1
	v_lshlrev_b32_e32 v11, 2, v11
	v_add_nc_u32_e32 v24, 0x400, v12
	v_mov_b32_e32 v10, 0
	v_mov_b32_e32 v3, v7
	v_lshlrev_b32_e32 v7, 1, v15
	v_add_co_u32 v4, vcc_lo, v4, s24
	v_add_co_ci_u32_e64 v5, null, s25, v5, vcc_lo
	v_lshl_or_b32 v23, v15, 8, v11
	v_add_co_u32 v7, vcc_lo, v4, v7
	v_add_co_ci_u32_e64 v8, null, 0, v5, vcc_lo
	v_lshlrev_b64 v[4:5], 1, v[2:3]
	s_waitcnt lgkmcnt(0)
	v_add_co_u32 v2, vcc_lo, s20, v7
	s_add_u32 s10, s22, s10
	v_add_co_ci_u32_e64 v3, null, s21, v8, vcc_lo
	s_addc_u32 s11, s23, s11
	v_add_co_u32 v4, vcc_lo, s10, v4
	v_add_co_ci_u32_e64 v5, null, s11, v5, vcc_lo
	v_mov_b32_e32 v7, 0
	v_mov_b32_e32 v8, 0
	;; [unrolled: 1-line block ×10, first 2 shown]
	s_lshl_b64 s[8:9], s[8:9], 3
	s_mov_b64 s[10:11], 0
.LBB146_2:                              ; =>This Inner Loop Header: Depth=1
	flat_load_ushort v26, v[2:3]
	flat_load_ushort v27, v[4:5]
	s_add_u32 s10, s10, 4
	s_addc_u32 s11, s11, 0
	v_add_co_u32 v2, vcc_lo, v2, 8
	v_cmp_lt_i64_e64 s20, s[10:11], s[28:29]
	v_add_co_ci_u32_e64 v3, null, 0, v3, vcc_lo
	v_add_co_u32 v4, vcc_lo, v4, s8
	v_add_co_ci_u32_e64 v5, null, s9, v5, vcc_lo
	s_and_b32 vcc_lo, exec_lo, s20
	s_waitcnt vmcnt(1) lgkmcnt(1)
	v_lshlrev_b32_e32 v26, 16, v26
	s_waitcnt vmcnt(0) lgkmcnt(0)
	v_lshlrev_b32_e32 v27, 16, v27
	ds_write_b32 v23, v26
	ds_write_b32 v24, v27
	s_waitcnt lgkmcnt(0)
	s_barrier
	buffer_gl0_inv
	ds_read_b128 v[26:29], v25
	ds_read2_b32 v[42:43], v22 offset1:16
	ds_read2_b32 v[44:45], v22 offset0:32 offset1:48
	ds_read_b128 v[30:33], v25 offset:256
	ds_read_b128 v[34:37], v25 offset:512
	ds_read_b128 v[38:41], v25 offset:768
	ds_read2_b32 v[46:47], v22 offset0:64 offset1:80
	ds_read2_b32 v[48:49], v22 offset0:96 offset1:112
	;; [unrolled: 1-line block ×6, first 2 shown]
	s_waitcnt lgkmcnt(0)
	s_barrier
	buffer_gl0_inv
	v_fmac_f32_e32 v21, v42, v26
	v_fmac_f32_e32 v20, v43, v26
	;; [unrolled: 1-line block ×64, first 2 shown]
	s_cbranch_vccnz .LBB146_2
.LBB146_3:
	s_clause 0x1
	s_load_dword s8, s[4:5], 0x50
	s_load_dword s4, s[4:5], 0x18
	s_lshl_b64 s[2:3], s[2:3], 1
	s_waitcnt lgkmcnt(0)
	s_add_u32 s5, s18, s2
	v_add_co_u32 v22, s2, s30, v1
	s_addc_u32 s9, s19, s3
	v_add_co_ci_u32_e64 v23, null, s31, 0, s2
	v_add_co_u32 v0, s3, s6, v0
	v_add_co_ci_u32_e64 v1, null, s7, 0, s3
	v_cmp_neq_f32_e64 s2, s8, 0
	s_and_b32 vcc_lo, exec_lo, s2
	s_cbranch_vccnz .LBB146_196
; %bb.4:
	v_mul_f32_e32 v2, s4, v21
	s_mov_b32 s2, exec_lo
                                        ; implicit-def: $vgpr26
	v_and_b32_e32 v3, 0x7f800000, v2
	v_cmpx_ne_u32_e32 0x7f800000, v3
	s_xor_b32 s2, exec_lo, s2
; %bb.5:
	v_bfe_u32 v3, v2, 16, 1
	v_add3_u32 v26, v2, v3, 0x7fff
                                        ; implicit-def: $vgpr2
; %bb.6:
	s_andn2_saveexec_b32 s2, s2
; %bb.7:
	v_mov_b32_e32 v3, 0
	v_or_b32_e32 v4, 0x10000, v2
	v_cmp_eq_u32_sdwa vcc_lo, v2, v3 src0_sel:WORD_0 src1_sel:DWORD
	v_cndmask_b32_e32 v26, v4, v2, vcc_lo
; %bb.8:
	s_or_b32 exec_lo, exec_lo, s2
	v_mul_lo_u32 v4, v23, s0
	v_mul_lo_u32 v5, v22, s1
	v_mad_u64_u32 v[2:3], null, v22, s0, 0
	v_mul_f32_e32 v27, s4, v20
	v_and_b32_e32 v28, 0x7f800000, v27
	v_add3_u32 v3, v3, v5, v4
	v_lshlrev_b64 v[4:5], 1, v[2:3]
	v_lshlrev_b64 v[2:3], 1, v[0:1]
	v_add_co_u32 v24, vcc_lo, s5, v4
	v_add_co_ci_u32_e64 v25, null, s9, v5, vcc_lo
	v_add_co_u32 v4, vcc_lo, v24, v2
	v_add_co_ci_u32_e64 v5, null, v25, v3, vcc_lo
	v_cmp_ne_u32_e32 vcc_lo, 0x7f800000, v28
                                        ; implicit-def: $vgpr28
	flat_store_short_d16_hi v[4:5], v26
	s_and_saveexec_b32 s2, vcc_lo
	s_xor_b32 s2, exec_lo, s2
; %bb.9:
	v_bfe_u32 v26, v27, 16, 1
	v_add3_u32 v28, v27, v26, 0x7fff
                                        ; implicit-def: $vgpr27
; %bb.10:
	s_andn2_saveexec_b32 s2, s2
; %bb.11:
	v_mov_b32_e32 v26, 0
	v_or_b32_e32 v28, 0x10000, v27
	v_cmp_eq_u32_sdwa vcc_lo, v27, v26 src0_sel:WORD_0 src1_sel:DWORD
	v_cndmask_b32_e32 v28, v28, v27, vcc_lo
; %bb.12:
	s_or_b32 exec_lo, exec_lo, s2
	v_mul_f32_e32 v26, s4, v19
	flat_store_short_d16_hi v[4:5], v28 offset:32
	v_and_b32_e32 v27, 0x7f800000, v26
	v_cmp_ne_u32_e32 vcc_lo, 0x7f800000, v27
                                        ; implicit-def: $vgpr27
	s_and_saveexec_b32 s2, vcc_lo
	s_xor_b32 s2, exec_lo, s2
; %bb.13:
	v_bfe_u32 v27, v26, 16, 1
	v_add3_u32 v27, v26, v27, 0x7fff
                                        ; implicit-def: $vgpr26
; %bb.14:
	s_andn2_saveexec_b32 s2, s2
; %bb.15:
	v_mov_b32_e32 v27, 0
	v_or_b32_e32 v28, 0x10000, v26
	v_cmp_eq_u32_sdwa vcc_lo, v26, v27 src0_sel:WORD_0 src1_sel:DWORD
	v_cndmask_b32_e32 v27, v28, v26, vcc_lo
; %bb.16:
	s_or_b32 exec_lo, exec_lo, s2
	v_mul_f32_e32 v26, s4, v18
	flat_store_short_d16_hi v[4:5], v27 offset:64
	v_and_b32_e32 v28, 0x7f800000, v26
	v_cmp_ne_u32_e32 vcc_lo, 0x7f800000, v28
                                        ; implicit-def: $vgpr28
	s_and_saveexec_b32 s2, vcc_lo
	s_xor_b32 s2, exec_lo, s2
; %bb.17:
	v_bfe_u32 v27, v26, 16, 1
	v_add3_u32 v28, v26, v27, 0x7fff
                                        ; implicit-def: $vgpr26
; %bb.18:
	s_andn2_saveexec_b32 s2, s2
; %bb.19:
	v_mov_b32_e32 v27, 0
	v_or_b32_e32 v28, 0x10000, v26
	v_cmp_eq_u32_sdwa vcc_lo, v26, v27 src0_sel:WORD_0 src1_sel:DWORD
	v_cndmask_b32_e32 v28, v28, v26, vcc_lo
; %bb.20:
	s_or_b32 exec_lo, exec_lo, s2
	v_mul_f32_e32 v27, s4, v17
	flat_store_short_d16_hi v[4:5], v28 offset:96
	v_and_b32_e32 v26, 0x7f800000, v27
	v_cmp_ne_u32_e32 vcc_lo, 0x7f800000, v26
                                        ; implicit-def: $vgpr26
	s_and_saveexec_b32 s2, vcc_lo
	s_xor_b32 s2, exec_lo, s2
; %bb.21:
	v_bfe_u32 v4, v27, 16, 1
	v_add3_u32 v26, v27, v4, 0x7fff
                                        ; implicit-def: $vgpr27
; %bb.22:
	s_andn2_saveexec_b32 s2, s2
; %bb.23:
	v_mov_b32_e32 v4, 0
	v_or_b32_e32 v5, 0x10000, v27
	v_cmp_eq_u32_sdwa vcc_lo, v27, v4 src0_sel:WORD_0 src1_sel:DWORD
	v_cndmask_b32_e32 v26, v5, v27, vcc_lo
; %bb.24:
	s_or_b32 exec_lo, exec_lo, s2
	v_mul_f32_e32 v27, s4, v16
	s_lshl_b64 s[2:3], s[0:1], 5
	v_add_co_u32 v24, vcc_lo, v24, s2
	v_add_co_ci_u32_e64 v25, null, s3, v25, vcc_lo
	v_and_b32_e32 v28, 0x7f800000, v27
	v_add_co_u32 v4, vcc_lo, v24, v2
	v_add_co_ci_u32_e64 v5, null, v25, v3, vcc_lo
	v_cmp_ne_u32_e32 vcc_lo, 0x7f800000, v28
                                        ; implicit-def: $vgpr28
	flat_store_short_d16_hi v[4:5], v26
	s_and_saveexec_b32 s2, vcc_lo
	s_xor_b32 s2, exec_lo, s2
; %bb.25:
	v_bfe_u32 v26, v27, 16, 1
	v_add3_u32 v28, v27, v26, 0x7fff
                                        ; implicit-def: $vgpr27
; %bb.26:
	s_andn2_saveexec_b32 s2, s2
; %bb.27:
	v_mov_b32_e32 v26, 0
	v_or_b32_e32 v28, 0x10000, v27
	v_cmp_eq_u32_sdwa vcc_lo, v27, v26 src0_sel:WORD_0 src1_sel:DWORD
	v_cndmask_b32_e32 v28, v28, v27, vcc_lo
; %bb.28:
	s_or_b32 exec_lo, exec_lo, s2
	v_mul_f32_e32 v26, s4, v15
	flat_store_short_d16_hi v[4:5], v28 offset:32
	v_and_b32_e32 v27, 0x7f800000, v26
	v_cmp_ne_u32_e32 vcc_lo, 0x7f800000, v27
                                        ; implicit-def: $vgpr27
	s_and_saveexec_b32 s2, vcc_lo
	s_xor_b32 s2, exec_lo, s2
; %bb.29:
	v_bfe_u32 v27, v26, 16, 1
	v_add3_u32 v27, v26, v27, 0x7fff
                                        ; implicit-def: $vgpr26
; %bb.30:
	s_andn2_saveexec_b32 s2, s2
; %bb.31:
	v_mov_b32_e32 v27, 0
	v_or_b32_e32 v28, 0x10000, v26
	v_cmp_eq_u32_sdwa vcc_lo, v26, v27 src0_sel:WORD_0 src1_sel:DWORD
	v_cndmask_b32_e32 v27, v28, v26, vcc_lo
; %bb.32:
	s_or_b32 exec_lo, exec_lo, s2
	v_mul_f32_e32 v26, s4, v14
	flat_store_short_d16_hi v[4:5], v27 offset:64
	v_and_b32_e32 v28, 0x7f800000, v26
	v_cmp_ne_u32_e32 vcc_lo, 0x7f800000, v28
                                        ; implicit-def: $vgpr28
	s_and_saveexec_b32 s2, vcc_lo
	s_xor_b32 s2, exec_lo, s2
; %bb.33:
	v_bfe_u32 v27, v26, 16, 1
	v_add3_u32 v28, v26, v27, 0x7fff
                                        ; implicit-def: $vgpr26
; %bb.34:
	s_andn2_saveexec_b32 s2, s2
; %bb.35:
	v_mov_b32_e32 v27, 0
	v_or_b32_e32 v28, 0x10000, v26
	v_cmp_eq_u32_sdwa vcc_lo, v26, v27 src0_sel:WORD_0 src1_sel:DWORD
	v_cndmask_b32_e32 v28, v28, v26, vcc_lo
; %bb.36:
	s_or_b32 exec_lo, exec_lo, s2
	v_mul_f32_e32 v27, s4, v13
	flat_store_short_d16_hi v[4:5], v28 offset:96
	v_and_b32_e32 v26, 0x7f800000, v27
	v_cmp_ne_u32_e32 vcc_lo, 0x7f800000, v26
                                        ; implicit-def: $vgpr26
	s_and_saveexec_b32 s2, vcc_lo
	s_xor_b32 s2, exec_lo, s2
; %bb.37:
	v_bfe_u32 v4, v27, 16, 1
	v_add3_u32 v26, v27, v4, 0x7fff
                                        ; implicit-def: $vgpr27
; %bb.38:
	s_or_saveexec_b32 s6, s2
	s_lshl_b64 s[2:3], s[0:1], 4
	s_xor_b32 exec_lo, exec_lo, s6
; %bb.39:
	v_mov_b32_e32 v4, 0
	v_or_b32_e32 v5, 0x10000, v27
	v_cmp_eq_u32_sdwa vcc_lo, v27, v4 src0_sel:WORD_0 src1_sel:DWORD
	v_cndmask_b32_e32 v26, v5, v27, vcc_lo
; %bb.40:
	s_or_b32 exec_lo, exec_lo, s6
	v_mul_f32_e32 v27, s4, v12
	s_lshl_b64 s[2:3], s[2:3], 1
	v_add_co_u32 v24, vcc_lo, v24, s2
	v_add_co_ci_u32_e64 v25, null, s3, v25, vcc_lo
	v_and_b32_e32 v28, 0x7f800000, v27
	v_add_co_u32 v4, vcc_lo, v24, v2
	v_add_co_ci_u32_e64 v5, null, v25, v3, vcc_lo
	v_cmp_ne_u32_e32 vcc_lo, 0x7f800000, v28
                                        ; implicit-def: $vgpr28
	flat_store_short_d16_hi v[4:5], v26
	s_and_saveexec_b32 s6, vcc_lo
	s_xor_b32 s6, exec_lo, s6
; %bb.41:
	v_bfe_u32 v26, v27, 16, 1
	v_add3_u32 v28, v27, v26, 0x7fff
                                        ; implicit-def: $vgpr27
; %bb.42:
	s_andn2_saveexec_b32 s6, s6
; %bb.43:
	v_mov_b32_e32 v26, 0
	v_or_b32_e32 v28, 0x10000, v27
	v_cmp_eq_u32_sdwa vcc_lo, v27, v26 src0_sel:WORD_0 src1_sel:DWORD
	v_cndmask_b32_e32 v28, v28, v27, vcc_lo
; %bb.44:
	s_or_b32 exec_lo, exec_lo, s6
	v_mul_f32_e32 v26, s4, v11
	flat_store_short_d16_hi v[4:5], v28 offset:32
	v_and_b32_e32 v27, 0x7f800000, v26
	v_cmp_ne_u32_e32 vcc_lo, 0x7f800000, v27
                                        ; implicit-def: $vgpr27
	s_and_saveexec_b32 s6, vcc_lo
	s_xor_b32 s6, exec_lo, s6
; %bb.45:
	v_bfe_u32 v27, v26, 16, 1
	v_add3_u32 v27, v26, v27, 0x7fff
                                        ; implicit-def: $vgpr26
; %bb.46:
	s_andn2_saveexec_b32 s6, s6
; %bb.47:
	v_mov_b32_e32 v27, 0
	v_or_b32_e32 v28, 0x10000, v26
	v_cmp_eq_u32_sdwa vcc_lo, v26, v27 src0_sel:WORD_0 src1_sel:DWORD
	v_cndmask_b32_e32 v27, v28, v26, vcc_lo
; %bb.48:
	s_or_b32 exec_lo, exec_lo, s6
	v_mul_f32_e32 v26, s4, v10
	s_mov_b32 s6, exec_lo
	flat_store_short_d16_hi v[4:5], v27 offset:64
                                        ; implicit-def: $vgpr27
	v_and_b32_e32 v28, 0x7f800000, v26
	v_cmpx_ne_u32_e32 0x7f800000, v28
	s_xor_b32 s6, exec_lo, s6
; %bb.49:
	v_bfe_u32 v27, v26, 16, 1
	v_add3_u32 v27, v26, v27, 0x7fff
                                        ; implicit-def: $vgpr26
; %bb.50:
	s_andn2_saveexec_b32 s6, s6
; %bb.51:
	v_mov_b32_e32 v27, 0
	v_or_b32_e32 v28, 0x10000, v26
	v_cmp_eq_u32_sdwa vcc_lo, v26, v27 src0_sel:WORD_0 src1_sel:DWORD
	v_cndmask_b32_e32 v27, v28, v26, vcc_lo
; %bb.52:
	s_or_b32 exec_lo, exec_lo, s6
	v_mul_f32_e32 v26, s4, v9
	s_mov_b32 s6, exec_lo
	flat_store_short_d16_hi v[4:5], v27 offset:96
                                        ; implicit-def: $vgpr4
	v_and_b32_e32 v28, 0x7f800000, v26
	v_cmpx_ne_u32_e32 0x7f800000, v28
	s_xor_b32 s6, exec_lo, s6
; %bb.53:
	v_bfe_u32 v4, v26, 16, 1
	v_add3_u32 v4, v26, v4, 0x7fff
                                        ; implicit-def: $vgpr26
; %bb.54:
	s_andn2_saveexec_b32 s6, s6
; %bb.55:
	v_mov_b32_e32 v4, 0
	v_or_b32_e32 v5, 0x10000, v26
	v_cmp_eq_u32_sdwa vcc_lo, v26, v4 src0_sel:WORD_0 src1_sel:DWORD
	v_cndmask_b32_e32 v4, v5, v26, vcc_lo
; %bb.56:
	s_or_b32 exec_lo, exec_lo, s6
	v_add_co_u32 v24, vcc_lo, v24, s2
	v_mul_f32_e32 v5, s4, v8
	v_add_co_ci_u32_e64 v25, null, s3, v25, vcc_lo
	v_add_co_u32 v2, vcc_lo, v24, v2
	v_and_b32_e32 v26, 0x7f800000, v5
	v_add_co_ci_u32_e64 v3, null, v25, v3, vcc_lo
	s_mov_b32 s2, exec_lo
                                        ; implicit-def: $vgpr24
	flat_store_short_d16_hi v[2:3], v4
	v_cmpx_ne_u32_e32 0x7f800000, v26
	s_xor_b32 s2, exec_lo, s2
; %bb.57:
	v_bfe_u32 v4, v5, 16, 1
	v_add3_u32 v24, v5, v4, 0x7fff
                                        ; implicit-def: $vgpr5
; %bb.58:
	s_andn2_saveexec_b32 s2, s2
; %bb.59:
	v_mov_b32_e32 v4, 0
	v_or_b32_e32 v24, 0x10000, v5
	v_cmp_eq_u32_sdwa vcc_lo, v5, v4 src0_sel:WORD_0 src1_sel:DWORD
	v_cndmask_b32_e32 v24, v24, v5, vcc_lo
; %bb.60:
	s_or_b32 exec_lo, exec_lo, s2
	v_mul_f32_e32 v4, s4, v7
	flat_store_short_d16_hi v[2:3], v24 offset:32
	v_and_b32_e32 v5, 0x7f800000, v4
	v_cmp_ne_u32_e32 vcc_lo, 0x7f800000, v5
                                        ; implicit-def: $vgpr5
	s_and_saveexec_b32 s2, vcc_lo
	s_xor_b32 s2, exec_lo, s2
; %bb.61:
	v_bfe_u32 v5, v4, 16, 1
	v_add3_u32 v5, v4, v5, 0x7fff
                                        ; implicit-def: $vgpr4
; %bb.62:
	s_andn2_saveexec_b32 s2, s2
; %bb.63:
	v_mov_b32_e32 v5, 0
	v_or_b32_e32 v24, 0x10000, v4
	v_cmp_eq_u32_sdwa vcc_lo, v4, v5 src0_sel:WORD_0 src1_sel:DWORD
	v_cndmask_b32_e32 v5, v24, v4, vcc_lo
; %bb.64:
	s_or_b32 exec_lo, exec_lo, s2
	v_mul_f32_e32 v4, s4, v6
	s_mov_b32 s2, exec_lo
	flat_store_short_d16_hi v[2:3], v5 offset:64
                                        ; implicit-def: $vgpr5
	v_and_b32_e32 v24, 0x7f800000, v4
	v_cmpx_ne_u32_e32 0x7f800000, v24
	s_xor_b32 s2, exec_lo, s2
; %bb.65:
	v_bfe_u32 v5, v4, 16, 1
	v_add3_u32 v5, v4, v5, 0x7fff
                                        ; implicit-def: $vgpr4
; %bb.66:
	s_andn2_saveexec_b32 s2, s2
; %bb.67:
	v_mov_b32_e32 v5, 0
	v_or_b32_e32 v24, 0x10000, v4
	v_cmp_eq_u32_sdwa vcc_lo, v4, v5 src0_sel:WORD_0 src1_sel:DWORD
	v_cndmask_b32_e32 v5, v24, v4, vcc_lo
; %bb.68:
	s_or_b32 exec_lo, exec_lo, s2
	flat_store_short_d16_hi v[2:3], v5 offset:96
	s_branch .LBB146_197
.LBB146_69:
	v_mul_lo_u32 v4, v23, s14
	v_mul_lo_u32 v5, v22, s15
	v_mad_u64_u32 v[2:3], null, v22, s14, 0
	s_lshl_b64 s[2:3], s[16:17], 1
	v_lshlrev_b64 v[0:1], 1, v[0:1]
	s_add_u32 s2, s12, s2
	s_addc_u32 s3, s13, s3
	v_add3_u32 v3, v3, v5, v4
	v_lshlrev_b64 v[2:3], 1, v[2:3]
	v_add_co_u32 v24, vcc_lo, s2, v2
	v_add_co_ci_u32_e64 v25, null, s3, v3, vcc_lo
	v_add_co_u32 v2, vcc_lo, v24, v0
	v_add_co_ci_u32_e64 v3, null, v25, v1, vcc_lo
	flat_load_ushort v4, v[2:3]
	s_waitcnt vmcnt(0) lgkmcnt(0)
	v_lshlrev_b32_e32 v4, 16, v4
	v_mul_f32_e32 v4, s8, v4
	v_and_b32_e32 v5, 0x7f800000, v4
	v_cmp_ne_u32_e32 vcc_lo, 0x7f800000, v5
                                        ; implicit-def: $vgpr5
	s_and_saveexec_b32 s2, vcc_lo
	s_xor_b32 s2, exec_lo, s2
; %bb.70:
	v_bfe_u32 v5, v4, 16, 1
	v_add3_u32 v5, v4, v5, 0x7fff
                                        ; implicit-def: $vgpr4
; %bb.71:
	s_andn2_saveexec_b32 s2, s2
; %bb.72:
	v_mov_b32_e32 v5, 0
	v_or_b32_e32 v26, 0x10000, v4
	v_cmp_eq_u32_sdwa vcc_lo, v4, v5 src0_sel:WORD_0 src1_sel:DWORD
	v_cndmask_b32_e32 v5, v26, v4, vcc_lo
; %bb.73:
	s_or_b32 exec_lo, exec_lo, s2
	v_and_b32_e32 v4, 0xffff0000, v5
	s_mov_b32 s2, exec_lo
                                        ; implicit-def: $vgpr26
	v_fmac_f32_e32 v4, s4, v21
	v_and_b32_e32 v5, 0x7f800000, v4
	v_cmpx_ne_u32_e32 0x7f800000, v5
	s_xor_b32 s2, exec_lo, s2
; %bb.74:
	v_bfe_u32 v5, v4, 16, 1
	v_add3_u32 v26, v4, v5, 0x7fff
                                        ; implicit-def: $vgpr4
; %bb.75:
	s_andn2_saveexec_b32 s2, s2
; %bb.76:
	v_mov_b32_e32 v5, 0
	v_or_b32_e32 v21, 0x10000, v4
	v_cmp_eq_u32_sdwa vcc_lo, v4, v5 src0_sel:WORD_0 src1_sel:DWORD
	v_cndmask_b32_e32 v26, v21, v4, vcc_lo
; %bb.77:
	s_or_b32 exec_lo, exec_lo, s2
	v_mul_lo_u32 v21, v23, s0
	v_mul_lo_u32 v23, v22, s1
	v_mad_u64_u32 v[4:5], null, v22, s0, 0
	v_add3_u32 v5, v5, v23, v21
	v_lshlrev_b64 v[4:5], 1, v[4:5]
	v_add_co_u32 v21, vcc_lo, s5, v4
	v_add_co_ci_u32_e64 v22, null, s9, v5, vcc_lo
	v_add_co_u32 v4, vcc_lo, v21, v0
	v_add_co_ci_u32_e64 v5, null, v22, v1, vcc_lo
	flat_store_short_d16_hi v[4:5], v26
	flat_load_ushort v23, v[2:3] offset:32
	s_waitcnt vmcnt(0) lgkmcnt(0)
	v_lshlrev_b32_e32 v23, 16, v23
	v_mul_f32_e32 v23, s8, v23
	v_and_b32_e32 v26, 0x7f800000, v23
	v_cmp_ne_u32_e32 vcc_lo, 0x7f800000, v26
                                        ; implicit-def: $vgpr26
	s_and_saveexec_b32 s2, vcc_lo
	s_xor_b32 s2, exec_lo, s2
; %bb.78:
	v_bfe_u32 v26, v23, 16, 1
	v_add3_u32 v26, v23, v26, 0x7fff
                                        ; implicit-def: $vgpr23
; %bb.79:
	s_andn2_saveexec_b32 s2, s2
; %bb.80:
	v_mov_b32_e32 v26, 0
	v_or_b32_e32 v27, 0x10000, v23
	v_cmp_eq_u32_sdwa vcc_lo, v23, v26 src0_sel:WORD_0 src1_sel:DWORD
	v_cndmask_b32_e32 v26, v27, v23, vcc_lo
; %bb.81:
	s_or_b32 exec_lo, exec_lo, s2
	v_and_b32_e32 v23, 0xffff0000, v26
	v_fmac_f32_e32 v23, s4, v20
	v_and_b32_e32 v20, 0x7f800000, v23
	v_cmp_ne_u32_e32 vcc_lo, 0x7f800000, v20
                                        ; implicit-def: $vgpr20
	s_and_saveexec_b32 s2, vcc_lo
	s_xor_b32 s2, exec_lo, s2
; %bb.82:
	v_bfe_u32 v20, v23, 16, 1
	v_add3_u32 v20, v23, v20, 0x7fff
                                        ; implicit-def: $vgpr23
; %bb.83:
	s_andn2_saveexec_b32 s2, s2
; %bb.84:
	v_mov_b32_e32 v20, 0
	v_or_b32_e32 v26, 0x10000, v23
	v_cmp_eq_u32_sdwa vcc_lo, v23, v20 src0_sel:WORD_0 src1_sel:DWORD
	v_cndmask_b32_e32 v20, v26, v23, vcc_lo
; %bb.85:
	s_or_b32 exec_lo, exec_lo, s2
	flat_store_short_d16_hi v[4:5], v20 offset:32
	flat_load_ushort v20, v[2:3] offset:64
	s_waitcnt vmcnt(0) lgkmcnt(0)
	v_lshlrev_b32_e32 v20, 16, v20
	v_mul_f32_e32 v20, s8, v20
	v_and_b32_e32 v23, 0x7f800000, v20
	v_cmp_ne_u32_e32 vcc_lo, 0x7f800000, v23
                                        ; implicit-def: $vgpr23
	s_and_saveexec_b32 s2, vcc_lo
	s_xor_b32 s2, exec_lo, s2
; %bb.86:
	v_bfe_u32 v23, v20, 16, 1
	v_add3_u32 v23, v20, v23, 0x7fff
                                        ; implicit-def: $vgpr20
; %bb.87:
	s_andn2_saveexec_b32 s2, s2
; %bb.88:
	v_mov_b32_e32 v23, 0
	v_or_b32_e32 v26, 0x10000, v20
	v_cmp_eq_u32_sdwa vcc_lo, v20, v23 src0_sel:WORD_0 src1_sel:DWORD
	v_cndmask_b32_e32 v23, v26, v20, vcc_lo
; %bb.89:
	s_or_b32 exec_lo, exec_lo, s2
	v_and_b32_e32 v20, 0xffff0000, v23
	v_fmac_f32_e32 v20, s4, v19
	v_and_b32_e32 v19, 0x7f800000, v20
	v_cmp_ne_u32_e32 vcc_lo, 0x7f800000, v19
                                        ; implicit-def: $vgpr19
	s_and_saveexec_b32 s2, vcc_lo
	s_xor_b32 s2, exec_lo, s2
; %bb.90:
	v_bfe_u32 v19, v20, 16, 1
	v_add3_u32 v19, v20, v19, 0x7fff
                                        ; implicit-def: $vgpr20
; %bb.91:
	s_andn2_saveexec_b32 s2, s2
; %bb.92:
	v_mov_b32_e32 v19, 0
	v_or_b32_e32 v23, 0x10000, v20
	v_cmp_eq_u32_sdwa vcc_lo, v20, v19 src0_sel:WORD_0 src1_sel:DWORD
	v_cndmask_b32_e32 v19, v23, v20, vcc_lo
; %bb.93:
	s_or_b32 exec_lo, exec_lo, s2
	flat_store_short_d16_hi v[4:5], v19 offset:64
	flat_load_ushort v2, v[2:3] offset:96
	s_waitcnt vmcnt(0) lgkmcnt(0)
	v_lshlrev_b32_e32 v2, 16, v2
	v_mul_f32_e32 v2, s8, v2
	v_and_b32_e32 v3, 0x7f800000, v2
	v_cmp_ne_u32_e32 vcc_lo, 0x7f800000, v3
                                        ; implicit-def: $vgpr3
	s_and_saveexec_b32 s2, vcc_lo
	s_xor_b32 s2, exec_lo, s2
; %bb.94:
	v_bfe_u32 v3, v2, 16, 1
	v_add3_u32 v3, v2, v3, 0x7fff
                                        ; implicit-def: $vgpr2
; %bb.95:
	s_andn2_saveexec_b32 s2, s2
; %bb.96:
	v_mov_b32_e32 v3, 0
	v_or_b32_e32 v19, 0x10000, v2
	v_cmp_eq_u32_sdwa vcc_lo, v2, v3 src0_sel:WORD_0 src1_sel:DWORD
	v_cndmask_b32_e32 v3, v19, v2, vcc_lo
; %bb.97:
	s_or_b32 exec_lo, exec_lo, s2
	v_and_b32_e32 v2, 0xffff0000, v3
	s_mov_b32 s2, exec_lo
	v_fmac_f32_e32 v2, s4, v18
                                        ; implicit-def: $vgpr18
	v_and_b32_e32 v3, 0x7f800000, v2
	v_cmpx_ne_u32_e32 0x7f800000, v3
	s_xor_b32 s2, exec_lo, s2
; %bb.98:
	v_bfe_u32 v3, v2, 16, 1
	v_add3_u32 v18, v2, v3, 0x7fff
                                        ; implicit-def: $vgpr2
; %bb.99:
	s_andn2_saveexec_b32 s2, s2
; %bb.100:
	v_mov_b32_e32 v3, 0
	v_or_b32_e32 v18, 0x10000, v2
	v_cmp_eq_u32_sdwa vcc_lo, v2, v3 src0_sel:WORD_0 src1_sel:DWORD
	v_cndmask_b32_e32 v18, v18, v2, vcc_lo
; %bb.101:
	s_or_b32 exec_lo, exec_lo, s2
	s_lshl_b64 s[2:3], s[14:15], 5
	flat_store_short_d16_hi v[4:5], v18 offset:96
	v_add_co_u32 v19, vcc_lo, v24, s2
	v_add_co_ci_u32_e64 v20, null, s3, v25, vcc_lo
	v_add_co_u32 v2, vcc_lo, v19, v0
	v_add_co_ci_u32_e64 v3, null, v20, v1, vcc_lo
	flat_load_ushort v4, v[2:3]
	s_waitcnt vmcnt(0) lgkmcnt(0)
	v_lshlrev_b32_e32 v4, 16, v4
	v_mul_f32_e32 v4, s8, v4
	v_and_b32_e32 v5, 0x7f800000, v4
	v_cmp_ne_u32_e32 vcc_lo, 0x7f800000, v5
                                        ; implicit-def: $vgpr5
	s_and_saveexec_b32 s2, vcc_lo
	s_xor_b32 s2, exec_lo, s2
; %bb.102:
	v_bfe_u32 v5, v4, 16, 1
	v_add3_u32 v5, v4, v5, 0x7fff
                                        ; implicit-def: $vgpr4
; %bb.103:
	s_andn2_saveexec_b32 s2, s2
; %bb.104:
	v_mov_b32_e32 v5, 0
	v_or_b32_e32 v18, 0x10000, v4
	v_cmp_eq_u32_sdwa vcc_lo, v4, v5 src0_sel:WORD_0 src1_sel:DWORD
	v_cndmask_b32_e32 v5, v18, v4, vcc_lo
; %bb.105:
	s_or_b32 exec_lo, exec_lo, s2
	v_and_b32_e32 v4, 0xffff0000, v5
	s_mov_b32 s2, exec_lo
                                        ; implicit-def: $vgpr23
	v_fmac_f32_e32 v4, s4, v17
	v_and_b32_e32 v5, 0x7f800000, v4
	v_cmpx_ne_u32_e32 0x7f800000, v5
	s_xor_b32 s2, exec_lo, s2
; %bb.106:
	v_bfe_u32 v5, v4, 16, 1
	v_add3_u32 v23, v4, v5, 0x7fff
                                        ; implicit-def: $vgpr4
; %bb.107:
	s_andn2_saveexec_b32 s2, s2
; %bb.108:
	v_mov_b32_e32 v5, 0
	v_or_b32_e32 v17, 0x10000, v4
	v_cmp_eq_u32_sdwa vcc_lo, v4, v5 src0_sel:WORD_0 src1_sel:DWORD
	v_cndmask_b32_e32 v23, v17, v4, vcc_lo
; %bb.109:
	s_or_b32 exec_lo, exec_lo, s2
	s_lshl_b64 s[2:3], s[0:1], 5
	v_add_co_u32 v17, vcc_lo, v21, s2
	v_add_co_ci_u32_e64 v18, null, s3, v22, vcc_lo
	v_add_co_u32 v4, vcc_lo, v17, v0
	v_add_co_ci_u32_e64 v5, null, v18, v1, vcc_lo
	flat_store_short_d16_hi v[4:5], v23
	flat_load_ushort v21, v[2:3] offset:32
	s_waitcnt vmcnt(0) lgkmcnt(0)
	v_lshlrev_b32_e32 v21, 16, v21
	v_mul_f32_e32 v21, s8, v21
	v_and_b32_e32 v22, 0x7f800000, v21
	v_cmp_ne_u32_e32 vcc_lo, 0x7f800000, v22
                                        ; implicit-def: $vgpr22
	s_and_saveexec_b32 s2, vcc_lo
	s_xor_b32 s2, exec_lo, s2
; %bb.110:
	v_bfe_u32 v22, v21, 16, 1
	v_add3_u32 v22, v21, v22, 0x7fff
                                        ; implicit-def: $vgpr21
; %bb.111:
	s_andn2_saveexec_b32 s2, s2
; %bb.112:
	v_mov_b32_e32 v22, 0
	v_or_b32_e32 v23, 0x10000, v21
	v_cmp_eq_u32_sdwa vcc_lo, v21, v22 src0_sel:WORD_0 src1_sel:DWORD
	v_cndmask_b32_e32 v22, v23, v21, vcc_lo
; %bb.113:
	s_or_b32 exec_lo, exec_lo, s2
	v_and_b32_e32 v21, 0xffff0000, v22
	v_fmac_f32_e32 v21, s4, v16
	v_and_b32_e32 v16, 0x7f800000, v21
	v_cmp_ne_u32_e32 vcc_lo, 0x7f800000, v16
                                        ; implicit-def: $vgpr16
	s_and_saveexec_b32 s2, vcc_lo
	s_xor_b32 s2, exec_lo, s2
; %bb.114:
	v_bfe_u32 v16, v21, 16, 1
	v_add3_u32 v16, v21, v16, 0x7fff
                                        ; implicit-def: $vgpr21
; %bb.115:
	s_andn2_saveexec_b32 s2, s2
; %bb.116:
	v_mov_b32_e32 v16, 0
	v_or_b32_e32 v22, 0x10000, v21
	v_cmp_eq_u32_sdwa vcc_lo, v21, v16 src0_sel:WORD_0 src1_sel:DWORD
	v_cndmask_b32_e32 v16, v22, v21, vcc_lo
; %bb.117:
	s_or_b32 exec_lo, exec_lo, s2
	flat_store_short_d16_hi v[4:5], v16 offset:32
	flat_load_ushort v16, v[2:3] offset:64
	s_waitcnt vmcnt(0) lgkmcnt(0)
	v_lshlrev_b32_e32 v16, 16, v16
	v_mul_f32_e32 v16, s8, v16
	v_and_b32_e32 v21, 0x7f800000, v16
	v_cmp_ne_u32_e32 vcc_lo, 0x7f800000, v21
                                        ; implicit-def: $vgpr21
	s_and_saveexec_b32 s2, vcc_lo
	s_xor_b32 s2, exec_lo, s2
; %bb.118:
	v_bfe_u32 v21, v16, 16, 1
	v_add3_u32 v21, v16, v21, 0x7fff
                                        ; implicit-def: $vgpr16
; %bb.119:
	s_andn2_saveexec_b32 s2, s2
; %bb.120:
	v_mov_b32_e32 v21, 0
	v_or_b32_e32 v22, 0x10000, v16
	v_cmp_eq_u32_sdwa vcc_lo, v16, v21 src0_sel:WORD_0 src1_sel:DWORD
	v_cndmask_b32_e32 v21, v22, v16, vcc_lo
; %bb.121:
	s_or_b32 exec_lo, exec_lo, s2
	v_and_b32_e32 v16, 0xffff0000, v21
	v_fmac_f32_e32 v16, s4, v15
	v_and_b32_e32 v15, 0x7f800000, v16
	v_cmp_ne_u32_e32 vcc_lo, 0x7f800000, v15
                                        ; implicit-def: $vgpr15
	s_and_saveexec_b32 s2, vcc_lo
	s_xor_b32 s2, exec_lo, s2
; %bb.122:
	v_bfe_u32 v15, v16, 16, 1
	v_add3_u32 v15, v16, v15, 0x7fff
                                        ; implicit-def: $vgpr16
; %bb.123:
	s_andn2_saveexec_b32 s2, s2
; %bb.124:
	v_mov_b32_e32 v15, 0
	v_or_b32_e32 v21, 0x10000, v16
	v_cmp_eq_u32_sdwa vcc_lo, v16, v15 src0_sel:WORD_0 src1_sel:DWORD
	v_cndmask_b32_e32 v15, v21, v16, vcc_lo
; %bb.125:
	s_or_b32 exec_lo, exec_lo, s2
	flat_store_short_d16_hi v[4:5], v15 offset:64
	flat_load_ushort v2, v[2:3] offset:96
	s_waitcnt vmcnt(0) lgkmcnt(0)
	v_lshlrev_b32_e32 v2, 16, v2
	v_mul_f32_e32 v2, s8, v2
	v_and_b32_e32 v3, 0x7f800000, v2
	v_cmp_ne_u32_e32 vcc_lo, 0x7f800000, v3
                                        ; implicit-def: $vgpr3
	s_and_saveexec_b32 s2, vcc_lo
	s_xor_b32 s2, exec_lo, s2
; %bb.126:
	v_bfe_u32 v3, v2, 16, 1
	v_add3_u32 v3, v2, v3, 0x7fff
                                        ; implicit-def: $vgpr2
; %bb.127:
	s_andn2_saveexec_b32 s2, s2
; %bb.128:
	v_mov_b32_e32 v3, 0
	v_or_b32_e32 v15, 0x10000, v2
	v_cmp_eq_u32_sdwa vcc_lo, v2, v3 src0_sel:WORD_0 src1_sel:DWORD
	v_cndmask_b32_e32 v3, v15, v2, vcc_lo
; %bb.129:
	s_or_b32 exec_lo, exec_lo, s2
	v_and_b32_e32 v2, 0xffff0000, v3
	s_mov_b32 s2, exec_lo
                                        ; implicit-def: $vgpr16
	v_fmac_f32_e32 v2, s4, v14
	v_and_b32_e32 v3, 0x7f800000, v2
	v_cmpx_ne_u32_e32 0x7f800000, v3
	s_xor_b32 s2, exec_lo, s2
; %bb.130:
	v_bfe_u32 v3, v2, 16, 1
	v_add3_u32 v16, v2, v3, 0x7fff
                                        ; implicit-def: $vgpr2
; %bb.131:
	s_or_saveexec_b32 s5, s2
	s_lshl_b64 s[2:3], s[14:15], 4
	s_xor_b32 exec_lo, exec_lo, s5
; %bb.132:
	v_mov_b32_e32 v3, 0
	v_or_b32_e32 v14, 0x10000, v2
	v_cmp_eq_u32_sdwa vcc_lo, v2, v3 src0_sel:WORD_0 src1_sel:DWORD
	v_cndmask_b32_e32 v16, v14, v2, vcc_lo
; %bb.133:
	s_or_b32 exec_lo, exec_lo, s5
	s_lshl_b64 s[2:3], s[2:3], 1
	flat_store_short_d16_hi v[4:5], v16 offset:96
	v_add_co_u32 v14, vcc_lo, v19, s2
	v_add_co_ci_u32_e64 v15, null, s3, v20, vcc_lo
	v_add_co_u32 v2, vcc_lo, v14, v0
	v_add_co_ci_u32_e64 v3, null, v15, v1, vcc_lo
	flat_load_ushort v4, v[2:3]
	s_waitcnt vmcnt(0) lgkmcnt(0)
	v_lshlrev_b32_e32 v4, 16, v4
	v_mul_f32_e32 v4, s8, v4
	v_and_b32_e32 v5, 0x7f800000, v4
	v_cmp_ne_u32_e32 vcc_lo, 0x7f800000, v5
                                        ; implicit-def: $vgpr5
	s_and_saveexec_b32 s5, vcc_lo
	s_xor_b32 s5, exec_lo, s5
; %bb.134:
	v_bfe_u32 v5, v4, 16, 1
	v_add3_u32 v5, v4, v5, 0x7fff
                                        ; implicit-def: $vgpr4
; %bb.135:
	s_andn2_saveexec_b32 s5, s5
; %bb.136:
	v_mov_b32_e32 v5, 0
	v_or_b32_e32 v16, 0x10000, v4
	v_cmp_eq_u32_sdwa vcc_lo, v4, v5 src0_sel:WORD_0 src1_sel:DWORD
	v_cndmask_b32_e32 v5, v16, v4, vcc_lo
; %bb.137:
	s_or_b32 exec_lo, exec_lo, s5
	v_and_b32_e32 v4, 0xffff0000, v5
	s_mov_b32 s5, exec_lo
                                        ; implicit-def: $vgpr19
	v_fmac_f32_e32 v4, s4, v13
	v_and_b32_e32 v5, 0x7f800000, v4
	v_cmpx_ne_u32_e32 0x7f800000, v5
	s_xor_b32 s5, exec_lo, s5
; %bb.138:
	v_bfe_u32 v5, v4, 16, 1
	v_add3_u32 v19, v4, v5, 0x7fff
                                        ; implicit-def: $vgpr4
; %bb.139:
	s_or_saveexec_b32 s5, s5
	s_lshl_b64 s[0:1], s[0:1], 4
	s_xor_b32 exec_lo, exec_lo, s5
; %bb.140:
	v_mov_b32_e32 v5, 0
	v_or_b32_e32 v13, 0x10000, v4
	v_cmp_eq_u32_sdwa vcc_lo, v4, v5 src0_sel:WORD_0 src1_sel:DWORD
	v_cndmask_b32_e32 v19, v13, v4, vcc_lo
; %bb.141:
	s_or_b32 exec_lo, exec_lo, s5
	s_lshl_b64 s[0:1], s[0:1], 1
	v_add_co_u32 v13, vcc_lo, v17, s0
	v_add_co_ci_u32_e64 v16, null, s1, v18, vcc_lo
	v_add_co_u32 v4, vcc_lo, v13, v0
	v_add_co_ci_u32_e64 v5, null, v16, v1, vcc_lo
	flat_store_short_d16_hi v[4:5], v19
	flat_load_ushort v17, v[2:3] offset:32
	s_waitcnt vmcnt(0) lgkmcnt(0)
	v_lshlrev_b32_e32 v17, 16, v17
	v_mul_f32_e32 v17, s8, v17
	v_and_b32_e32 v18, 0x7f800000, v17
	v_cmp_ne_u32_e32 vcc_lo, 0x7f800000, v18
                                        ; implicit-def: $vgpr18
	s_and_saveexec_b32 s5, vcc_lo
	s_xor_b32 s5, exec_lo, s5
; %bb.142:
	v_bfe_u32 v18, v17, 16, 1
	v_add3_u32 v18, v17, v18, 0x7fff
                                        ; implicit-def: $vgpr17
; %bb.143:
	s_andn2_saveexec_b32 s5, s5
; %bb.144:
	v_mov_b32_e32 v18, 0
	v_or_b32_e32 v19, 0x10000, v17
	v_cmp_eq_u32_sdwa vcc_lo, v17, v18 src0_sel:WORD_0 src1_sel:DWORD
	v_cndmask_b32_e32 v18, v19, v17, vcc_lo
; %bb.145:
	s_or_b32 exec_lo, exec_lo, s5
	v_and_b32_e32 v17, 0xffff0000, v18
	v_fmac_f32_e32 v17, s4, v12
	v_and_b32_e32 v12, 0x7f800000, v17
	v_cmp_ne_u32_e32 vcc_lo, 0x7f800000, v12
                                        ; implicit-def: $vgpr12
	s_and_saveexec_b32 s5, vcc_lo
	s_xor_b32 s5, exec_lo, s5
; %bb.146:
	v_bfe_u32 v12, v17, 16, 1
	v_add3_u32 v12, v17, v12, 0x7fff
                                        ; implicit-def: $vgpr17
; %bb.147:
	s_andn2_saveexec_b32 s5, s5
; %bb.148:
	v_mov_b32_e32 v12, 0
	v_or_b32_e32 v18, 0x10000, v17
	v_cmp_eq_u32_sdwa vcc_lo, v17, v12 src0_sel:WORD_0 src1_sel:DWORD
	v_cndmask_b32_e32 v12, v18, v17, vcc_lo
; %bb.149:
	s_or_b32 exec_lo, exec_lo, s5
	flat_store_short_d16_hi v[4:5], v12 offset:32
	flat_load_ushort v12, v[2:3] offset:64
	s_waitcnt vmcnt(0) lgkmcnt(0)
	v_lshlrev_b32_e32 v12, 16, v12
	v_mul_f32_e32 v12, s8, v12
	v_and_b32_e32 v17, 0x7f800000, v12
	v_cmp_ne_u32_e32 vcc_lo, 0x7f800000, v17
                                        ; implicit-def: $vgpr17
	s_and_saveexec_b32 s5, vcc_lo
	s_xor_b32 s5, exec_lo, s5
; %bb.150:
	v_bfe_u32 v17, v12, 16, 1
	v_add3_u32 v17, v12, v17, 0x7fff
                                        ; implicit-def: $vgpr12
; %bb.151:
	s_andn2_saveexec_b32 s5, s5
; %bb.152:
	v_mov_b32_e32 v17, 0
	v_or_b32_e32 v18, 0x10000, v12
	v_cmp_eq_u32_sdwa vcc_lo, v12, v17 src0_sel:WORD_0 src1_sel:DWORD
	v_cndmask_b32_e32 v17, v18, v12, vcc_lo
; %bb.153:
	s_or_b32 exec_lo, exec_lo, s5
	v_and_b32_e32 v12, 0xffff0000, v17
	v_fmac_f32_e32 v12, s4, v11
	v_and_b32_e32 v11, 0x7f800000, v12
	v_cmp_ne_u32_e32 vcc_lo, 0x7f800000, v11
                                        ; implicit-def: $vgpr11
	s_and_saveexec_b32 s5, vcc_lo
	s_xor_b32 s5, exec_lo, s5
; %bb.154:
	v_bfe_u32 v11, v12, 16, 1
	v_add3_u32 v11, v12, v11, 0x7fff
                                        ; implicit-def: $vgpr12
; %bb.155:
	s_andn2_saveexec_b32 s5, s5
; %bb.156:
	v_mov_b32_e32 v11, 0
	v_or_b32_e32 v17, 0x10000, v12
	v_cmp_eq_u32_sdwa vcc_lo, v12, v11 src0_sel:WORD_0 src1_sel:DWORD
	v_cndmask_b32_e32 v11, v17, v12, vcc_lo
; %bb.157:
	s_or_b32 exec_lo, exec_lo, s5
	flat_store_short_d16_hi v[4:5], v11 offset:64
	flat_load_ushort v2, v[2:3] offset:96
	s_waitcnt vmcnt(0) lgkmcnt(0)
	v_lshlrev_b32_e32 v2, 16, v2
	v_mul_f32_e32 v2, s8, v2
	v_and_b32_e32 v3, 0x7f800000, v2
	v_cmp_ne_u32_e32 vcc_lo, 0x7f800000, v3
                                        ; implicit-def: $vgpr3
	s_and_saveexec_b32 s5, vcc_lo
	s_xor_b32 s5, exec_lo, s5
; %bb.158:
	v_bfe_u32 v3, v2, 16, 1
	v_add3_u32 v3, v2, v3, 0x7fff
                                        ; implicit-def: $vgpr2
; %bb.159:
	s_andn2_saveexec_b32 s5, s5
; %bb.160:
	v_mov_b32_e32 v3, 0
	v_or_b32_e32 v11, 0x10000, v2
	v_cmp_eq_u32_sdwa vcc_lo, v2, v3 src0_sel:WORD_0 src1_sel:DWORD
	v_cndmask_b32_e32 v3, v11, v2, vcc_lo
; %bb.161:
	s_or_b32 exec_lo, exec_lo, s5
	v_and_b32_e32 v2, 0xffff0000, v3
	s_mov_b32 s5, exec_lo
	v_fmac_f32_e32 v2, s4, v10
                                        ; implicit-def: $vgpr10
	v_and_b32_e32 v3, 0x7f800000, v2
	v_cmpx_ne_u32_e32 0x7f800000, v3
	s_xor_b32 s5, exec_lo, s5
; %bb.162:
	v_bfe_u32 v3, v2, 16, 1
	v_add3_u32 v10, v2, v3, 0x7fff
                                        ; implicit-def: $vgpr2
; %bb.163:
	s_andn2_saveexec_b32 s5, s5
; %bb.164:
	v_mov_b32_e32 v3, 0
	v_or_b32_e32 v10, 0x10000, v2
	v_cmp_eq_u32_sdwa vcc_lo, v2, v3 src0_sel:WORD_0 src1_sel:DWORD
	v_cndmask_b32_e32 v10, v10, v2, vcc_lo
; %bb.165:
	s_or_b32 exec_lo, exec_lo, s5
	v_add_co_u32 v2, vcc_lo, v14, s2
	v_add_co_ci_u32_e64 v3, null, s3, v15, vcc_lo
	flat_store_short_d16_hi v[4:5], v10 offset:96
	v_add_co_u32 v2, vcc_lo, v2, v0
	v_add_co_ci_u32_e64 v3, null, v3, v1, vcc_lo
	flat_load_ushort v4, v[2:3]
	s_waitcnt vmcnt(0) lgkmcnt(0)
	v_lshlrev_b32_e32 v4, 16, v4
	v_mul_f32_e32 v4, s8, v4
	v_and_b32_e32 v5, 0x7f800000, v4
	v_cmp_ne_u32_e32 vcc_lo, 0x7f800000, v5
                                        ; implicit-def: $vgpr5
	s_and_saveexec_b32 s2, vcc_lo
	s_xor_b32 s2, exec_lo, s2
; %bb.166:
	v_bfe_u32 v5, v4, 16, 1
	v_add3_u32 v5, v4, v5, 0x7fff
                                        ; implicit-def: $vgpr4
; %bb.167:
	s_andn2_saveexec_b32 s2, s2
; %bb.168:
	v_mov_b32_e32 v5, 0
	v_or_b32_e32 v10, 0x10000, v4
	v_cmp_eq_u32_sdwa vcc_lo, v4, v5 src0_sel:WORD_0 src1_sel:DWORD
	v_cndmask_b32_e32 v5, v10, v4, vcc_lo
; %bb.169:
	s_or_b32 exec_lo, exec_lo, s2
	v_and_b32_e32 v5, 0xffff0000, v5
	v_fmac_f32_e32 v5, s4, v9
	v_and_b32_e32 v4, 0x7f800000, v5
	v_cmp_ne_u32_e32 vcc_lo, 0x7f800000, v4
                                        ; implicit-def: $vgpr4
	s_and_saveexec_b32 s2, vcc_lo
	s_xor_b32 s2, exec_lo, s2
; %bb.170:
	v_bfe_u32 v4, v5, 16, 1
	v_add3_u32 v4, v5, v4, 0x7fff
                                        ; implicit-def: $vgpr5
; %bb.171:
	s_andn2_saveexec_b32 s2, s2
; %bb.172:
	v_mov_b32_e32 v4, 0
	v_or_b32_e32 v9, 0x10000, v5
	v_cmp_eq_u32_sdwa vcc_lo, v5, v4 src0_sel:WORD_0 src1_sel:DWORD
	v_cndmask_b32_e32 v4, v9, v5, vcc_lo
; %bb.173:
	s_or_b32 exec_lo, exec_lo, s2
	v_add_co_u32 v5, vcc_lo, v13, s0
	v_add_co_ci_u32_e64 v9, null, s1, v16, vcc_lo
	v_add_co_u32 v0, vcc_lo, v5, v0
	v_add_co_ci_u32_e64 v1, null, v9, v1, vcc_lo
	flat_store_short_d16_hi v[0:1], v4
	flat_load_ushort v4, v[2:3] offset:32
	s_waitcnt vmcnt(0) lgkmcnt(0)
	v_lshlrev_b32_e32 v4, 16, v4
	v_mul_f32_e32 v4, s8, v4
	v_and_b32_e32 v5, 0x7f800000, v4
	v_cmp_ne_u32_e32 vcc_lo, 0x7f800000, v5
                                        ; implicit-def: $vgpr5
	s_and_saveexec_b32 s0, vcc_lo
	s_xor_b32 s0, exec_lo, s0
; %bb.174:
	v_bfe_u32 v5, v4, 16, 1
	v_add3_u32 v5, v4, v5, 0x7fff
                                        ; implicit-def: $vgpr4
; %bb.175:
	s_andn2_saveexec_b32 s0, s0
; %bb.176:
	v_mov_b32_e32 v5, 0
	v_or_b32_e32 v9, 0x10000, v4
	v_cmp_eq_u32_sdwa vcc_lo, v4, v5 src0_sel:WORD_0 src1_sel:DWORD
	v_cndmask_b32_e32 v5, v9, v4, vcc_lo
; %bb.177:
	s_or_b32 exec_lo, exec_lo, s0
	v_and_b32_e32 v4, 0xffff0000, v5
	v_fmac_f32_e32 v4, s4, v8
	v_and_b32_e32 v5, 0x7f800000, v4
	v_cmp_ne_u32_e32 vcc_lo, 0x7f800000, v5
                                        ; implicit-def: $vgpr5
	s_and_saveexec_b32 s0, vcc_lo
	s_xor_b32 s0, exec_lo, s0
; %bb.178:
	v_bfe_u32 v5, v4, 16, 1
	v_add3_u32 v5, v4, v5, 0x7fff
                                        ; implicit-def: $vgpr4
; %bb.179:
	s_andn2_saveexec_b32 s0, s0
; %bb.180:
	v_mov_b32_e32 v5, 0
	v_or_b32_e32 v8, 0x10000, v4
	v_cmp_eq_u32_sdwa vcc_lo, v4, v5 src0_sel:WORD_0 src1_sel:DWORD
	v_cndmask_b32_e32 v5, v8, v4, vcc_lo
; %bb.181:
	s_or_b32 exec_lo, exec_lo, s0
	flat_store_short_d16_hi v[0:1], v5 offset:32
	flat_load_ushort v4, v[2:3] offset:64
	s_waitcnt vmcnt(0) lgkmcnt(0)
	v_lshlrev_b32_e32 v4, 16, v4
	v_mul_f32_e32 v4, s8, v4
	v_and_b32_e32 v5, 0x7f800000, v4
	v_cmp_ne_u32_e32 vcc_lo, 0x7f800000, v5
                                        ; implicit-def: $vgpr5
	s_and_saveexec_b32 s0, vcc_lo
	s_xor_b32 s0, exec_lo, s0
; %bb.182:
	v_bfe_u32 v5, v4, 16, 1
	v_add3_u32 v5, v4, v5, 0x7fff
                                        ; implicit-def: $vgpr4
; %bb.183:
	s_andn2_saveexec_b32 s0, s0
; %bb.184:
	v_mov_b32_e32 v5, 0
	v_or_b32_e32 v8, 0x10000, v4
	v_cmp_eq_u32_sdwa vcc_lo, v4, v5 src0_sel:WORD_0 src1_sel:DWORD
	v_cndmask_b32_e32 v5, v8, v4, vcc_lo
; %bb.185:
	s_or_b32 exec_lo, exec_lo, s0
	v_and_b32_e32 v4, 0xffff0000, v5
	v_fmac_f32_e32 v4, s4, v7
	v_and_b32_e32 v5, 0x7f800000, v4
	v_cmp_ne_u32_e32 vcc_lo, 0x7f800000, v5
                                        ; implicit-def: $vgpr5
	s_and_saveexec_b32 s0, vcc_lo
	s_xor_b32 s0, exec_lo, s0
; %bb.186:
	v_bfe_u32 v5, v4, 16, 1
	v_add3_u32 v5, v4, v5, 0x7fff
                                        ; implicit-def: $vgpr4
; %bb.187:
	s_andn2_saveexec_b32 s0, s0
; %bb.188:
	v_mov_b32_e32 v5, 0
	v_or_b32_e32 v7, 0x10000, v4
	v_cmp_eq_u32_sdwa vcc_lo, v4, v5 src0_sel:WORD_0 src1_sel:DWORD
	v_cndmask_b32_e32 v5, v7, v4, vcc_lo
; %bb.189:
	s_or_b32 exec_lo, exec_lo, s0
	flat_store_short_d16_hi v[0:1], v5 offset:64
	flat_load_ushort v2, v[2:3] offset:96
	s_waitcnt vmcnt(0) lgkmcnt(0)
	v_lshlrev_b32_e32 v2, 16, v2
	v_mul_f32_e32 v2, s8, v2
	v_and_b32_e32 v3, 0x7f800000, v2
	v_cmp_ne_u32_e32 vcc_lo, 0x7f800000, v3
                                        ; implicit-def: $vgpr3
	s_and_saveexec_b32 s0, vcc_lo
	s_xor_b32 s0, exec_lo, s0
; %bb.190:
	v_bfe_u32 v3, v2, 16, 1
	v_add3_u32 v3, v2, v3, 0x7fff
                                        ; implicit-def: $vgpr2
; %bb.191:
	s_andn2_saveexec_b32 s0, s0
; %bb.192:
	v_mov_b32_e32 v3, 0
	v_or_b32_e32 v4, 0x10000, v2
	v_cmp_eq_u32_sdwa vcc_lo, v2, v3 src0_sel:WORD_0 src1_sel:DWORD
	v_cndmask_b32_e32 v3, v4, v2, vcc_lo
; %bb.193:
	s_or_b32 exec_lo, exec_lo, s0
	v_and_b32_e32 v2, 0xffff0000, v3
	v_fmac_f32_e32 v2, s4, v6
	v_and_b32_e32 v3, 0x7f800000, v2
	v_cmp_ne_u32_e32 vcc_lo, 0x7f800000, v3
                                        ; implicit-def: $vgpr3
	s_and_saveexec_b32 s0, vcc_lo
	s_xor_b32 s0, exec_lo, s0
	s_cbranch_execnz .LBB146_198
; %bb.194:
	s_andn2_saveexec_b32 s0, s0
	s_cbranch_execnz .LBB146_199
.LBB146_195:
	s_or_b32 exec_lo, exec_lo, s0
	flat_store_short_d16_hi v[0:1], v3 offset:96
	s_endpgm
.LBB146_196:
	s_cbranch_execnz .LBB146_69
.LBB146_197:
	s_endpgm
.LBB146_198:
	v_bfe_u32 v3, v2, 16, 1
	v_add3_u32 v3, v2, v3, 0x7fff
                                        ; implicit-def: $vgpr2
	s_andn2_saveexec_b32 s0, s0
	s_cbranch_execz .LBB146_195
.LBB146_199:
	v_mov_b32_e32 v3, 0
	v_or_b32_e32 v4, 0x10000, v2
	v_cmp_eq_u32_sdwa vcc_lo, v2, v3 src0_sel:WORD_0 src1_sel:DWORD
	v_cndmask_b32_e32 v3, v4, v2, vcc_lo
	s_or_b32 exec_lo, exec_lo, s0
	flat_store_short_d16_hi v[0:1], v3 offset:96
	s_endpgm
	.section	.rodata,"a",@progbits
	.p2align	6, 0x0
	.amdhsa_kernel _ZN12_GLOBAL__N_127rocblas_gemm_batched_kernelIfLi16ELi16ELi64ELi64ELi4ELi64ELi4ELi4ELi64ELc67ELc84EKPK16rocblas_bfloat16S4_KPS1_EEvlllT_PT11_llS9_llS7_PT12_llPT13_lli
		.amdhsa_group_segment_fixed_size 2048
		.amdhsa_private_segment_fixed_size 0
		.amdhsa_kernarg_size 140
		.amdhsa_user_sgpr_count 6
		.amdhsa_user_sgpr_private_segment_buffer 1
		.amdhsa_user_sgpr_dispatch_ptr 0
		.amdhsa_user_sgpr_queue_ptr 0
		.amdhsa_user_sgpr_kernarg_segment_ptr 1
		.amdhsa_user_sgpr_dispatch_id 0
		.amdhsa_user_sgpr_flat_scratch_init 0
		.amdhsa_user_sgpr_private_segment_size 0
		.amdhsa_wavefront_size32 1
		.amdhsa_uses_dynamic_stack 0
		.amdhsa_system_sgpr_private_segment_wavefront_offset 0
		.amdhsa_system_sgpr_workgroup_id_x 1
		.amdhsa_system_sgpr_workgroup_id_y 1
		.amdhsa_system_sgpr_workgroup_id_z 1
		.amdhsa_system_sgpr_workgroup_info 0
		.amdhsa_system_vgpr_workitem_id 1
		.amdhsa_next_free_vgpr 58
		.amdhsa_next_free_sgpr 36
		.amdhsa_reserve_vcc 1
		.amdhsa_reserve_flat_scratch 0
		.amdhsa_float_round_mode_32 0
		.amdhsa_float_round_mode_16_64 0
		.amdhsa_float_denorm_mode_32 3
		.amdhsa_float_denorm_mode_16_64 3
		.amdhsa_dx10_clamp 1
		.amdhsa_ieee_mode 1
		.amdhsa_fp16_overflow 0
		.amdhsa_workgroup_processor_mode 1
		.amdhsa_memory_ordered 1
		.amdhsa_forward_progress 1
		.amdhsa_shared_vgpr_count 0
		.amdhsa_exception_fp_ieee_invalid_op 0
		.amdhsa_exception_fp_denorm_src 0
		.amdhsa_exception_fp_ieee_div_zero 0
		.amdhsa_exception_fp_ieee_overflow 0
		.amdhsa_exception_fp_ieee_underflow 0
		.amdhsa_exception_fp_ieee_inexact 0
		.amdhsa_exception_int_div_zero 0
	.end_amdhsa_kernel
	.section	.text._ZN12_GLOBAL__N_127rocblas_gemm_batched_kernelIfLi16ELi16ELi64ELi64ELi4ELi64ELi4ELi4ELi64ELc67ELc84EKPK16rocblas_bfloat16S4_KPS1_EEvlllT_PT11_llS9_llS7_PT12_llPT13_lli,"axG",@progbits,_ZN12_GLOBAL__N_127rocblas_gemm_batched_kernelIfLi16ELi16ELi64ELi64ELi4ELi64ELi4ELi4ELi64ELc67ELc84EKPK16rocblas_bfloat16S4_KPS1_EEvlllT_PT11_llS9_llS7_PT12_llPT13_lli,comdat
.Lfunc_end146:
	.size	_ZN12_GLOBAL__N_127rocblas_gemm_batched_kernelIfLi16ELi16ELi64ELi64ELi4ELi64ELi4ELi4ELi64ELc67ELc84EKPK16rocblas_bfloat16S4_KPS1_EEvlllT_PT11_llS9_llS7_PT12_llPT13_lli, .Lfunc_end146-_ZN12_GLOBAL__N_127rocblas_gemm_batched_kernelIfLi16ELi16ELi64ELi64ELi4ELi64ELi4ELi4ELi64ELc67ELc84EKPK16rocblas_bfloat16S4_KPS1_EEvlllT_PT11_llS9_llS7_PT12_llPT13_lli
                                        ; -- End function
	.set _ZN12_GLOBAL__N_127rocblas_gemm_batched_kernelIfLi16ELi16ELi64ELi64ELi4ELi64ELi4ELi4ELi64ELc67ELc84EKPK16rocblas_bfloat16S4_KPS1_EEvlllT_PT11_llS9_llS7_PT12_llPT13_lli.num_vgpr, 58
	.set _ZN12_GLOBAL__N_127rocblas_gemm_batched_kernelIfLi16ELi16ELi64ELi64ELi4ELi64ELi4ELi4ELi64ELc67ELc84EKPK16rocblas_bfloat16S4_KPS1_EEvlllT_PT11_llS9_llS7_PT12_llPT13_lli.num_agpr, 0
	.set _ZN12_GLOBAL__N_127rocblas_gemm_batched_kernelIfLi16ELi16ELi64ELi64ELi4ELi64ELi4ELi4ELi64ELc67ELc84EKPK16rocblas_bfloat16S4_KPS1_EEvlllT_PT11_llS9_llS7_PT12_llPT13_lli.numbered_sgpr, 36
	.set _ZN12_GLOBAL__N_127rocblas_gemm_batched_kernelIfLi16ELi16ELi64ELi64ELi4ELi64ELi4ELi4ELi64ELc67ELc84EKPK16rocblas_bfloat16S4_KPS1_EEvlllT_PT11_llS9_llS7_PT12_llPT13_lli.num_named_barrier, 0
	.set _ZN12_GLOBAL__N_127rocblas_gemm_batched_kernelIfLi16ELi16ELi64ELi64ELi4ELi64ELi4ELi4ELi64ELc67ELc84EKPK16rocblas_bfloat16S4_KPS1_EEvlllT_PT11_llS9_llS7_PT12_llPT13_lli.private_seg_size, 0
	.set _ZN12_GLOBAL__N_127rocblas_gemm_batched_kernelIfLi16ELi16ELi64ELi64ELi4ELi64ELi4ELi4ELi64ELc67ELc84EKPK16rocblas_bfloat16S4_KPS1_EEvlllT_PT11_llS9_llS7_PT12_llPT13_lli.uses_vcc, 1
	.set _ZN12_GLOBAL__N_127rocblas_gemm_batched_kernelIfLi16ELi16ELi64ELi64ELi4ELi64ELi4ELi4ELi64ELc67ELc84EKPK16rocblas_bfloat16S4_KPS1_EEvlllT_PT11_llS9_llS7_PT12_llPT13_lli.uses_flat_scratch, 0
	.set _ZN12_GLOBAL__N_127rocblas_gemm_batched_kernelIfLi16ELi16ELi64ELi64ELi4ELi64ELi4ELi4ELi64ELc67ELc84EKPK16rocblas_bfloat16S4_KPS1_EEvlllT_PT11_llS9_llS7_PT12_llPT13_lli.has_dyn_sized_stack, 0
	.set _ZN12_GLOBAL__N_127rocblas_gemm_batched_kernelIfLi16ELi16ELi64ELi64ELi4ELi64ELi4ELi4ELi64ELc67ELc84EKPK16rocblas_bfloat16S4_KPS1_EEvlllT_PT11_llS9_llS7_PT12_llPT13_lli.has_recursion, 0
	.set _ZN12_GLOBAL__N_127rocblas_gemm_batched_kernelIfLi16ELi16ELi64ELi64ELi4ELi64ELi4ELi4ELi64ELc67ELc84EKPK16rocblas_bfloat16S4_KPS1_EEvlllT_PT11_llS9_llS7_PT12_llPT13_lli.has_indirect_call, 0
	.section	.AMDGPU.csdata,"",@progbits
; Kernel info:
; codeLenInByte = 6236
; TotalNumSgprs: 38
; NumVgprs: 58
; ScratchSize: 0
; MemoryBound: 0
; FloatMode: 240
; IeeeMode: 1
; LDSByteSize: 2048 bytes/workgroup (compile time only)
; SGPRBlocks: 0
; VGPRBlocks: 7
; NumSGPRsForWavesPerEU: 38
; NumVGPRsForWavesPerEU: 58
; Occupancy: 16
; WaveLimiterHint : 1
; COMPUTE_PGM_RSRC2:SCRATCH_EN: 0
; COMPUTE_PGM_RSRC2:USER_SGPR: 6
; COMPUTE_PGM_RSRC2:TRAP_HANDLER: 0
; COMPUTE_PGM_RSRC2:TGID_X_EN: 1
; COMPUTE_PGM_RSRC2:TGID_Y_EN: 1
; COMPUTE_PGM_RSRC2:TGID_Z_EN: 1
; COMPUTE_PGM_RSRC2:TIDIG_COMP_CNT: 1
	.section	.text._ZN12_GLOBAL__N_127rocblas_gemm_batched_kernelIfLi16ELi16ELi64ELi64ELi4ELi64ELi4ELi4ELi64ELc78ELc67EKPK16rocblas_bfloat16S4_KPS1_EEvlllT_PT11_llS9_llS7_PT12_llPT13_lli,"axG",@progbits,_ZN12_GLOBAL__N_127rocblas_gemm_batched_kernelIfLi16ELi16ELi64ELi64ELi4ELi64ELi4ELi4ELi64ELc78ELc67EKPK16rocblas_bfloat16S4_KPS1_EEvlllT_PT11_llS9_llS7_PT12_llPT13_lli,comdat
	.globl	_ZN12_GLOBAL__N_127rocblas_gemm_batched_kernelIfLi16ELi16ELi64ELi64ELi4ELi64ELi4ELi4ELi64ELc78ELc67EKPK16rocblas_bfloat16S4_KPS1_EEvlllT_PT11_llS9_llS7_PT12_llPT13_lli ; -- Begin function _ZN12_GLOBAL__N_127rocblas_gemm_batched_kernelIfLi16ELi16ELi64ELi64ELi4ELi64ELi4ELi4ELi64ELc78ELc67EKPK16rocblas_bfloat16S4_KPS1_EEvlllT_PT11_llS9_llS7_PT12_llPT13_lli
	.p2align	8
	.type	_ZN12_GLOBAL__N_127rocblas_gemm_batched_kernelIfLi16ELi16ELi64ELi64ELi4ELi64ELi4ELi4ELi64ELc78ELc67EKPK16rocblas_bfloat16S4_KPS1_EEvlllT_PT11_llS9_llS7_PT12_llPT13_lli,@function
_ZN12_GLOBAL__N_127rocblas_gemm_batched_kernelIfLi16ELi16ELi64ELi64ELi4ELi64ELi4ELi4ELi64ELc78ELc67EKPK16rocblas_bfloat16S4_KPS1_EEvlllT_PT11_llS9_llS7_PT12_llPT13_lli: ; @_ZN12_GLOBAL__N_127rocblas_gemm_batched_kernelIfLi16ELi16ELi64ELi64ELi4ELi64ELi4ELi4ELi64ELc78ELc67EKPK16rocblas_bfloat16S4_KPS1_EEvlllT_PT11_llS9_llS7_PT12_llPT13_lli
; %bb.0:
	s_clause 0x1
	s_load_dwordx8 s[12:19], s[4:5], 0x58
	s_load_dwordx2 s[28:29], s[4:5], 0x10
	s_mov_b32 s9, 0
	s_load_dwordx4 s[0:3], s[4:5], 0x78
	s_lshl_b64 s[34:35], s[8:9], 3
	s_mov_b32 s10, s7
	v_mov_b32_e32 v21, 0
	v_mov_b32_e32 v20, 0
	;; [unrolled: 1-line block ×14, first 2 shown]
	s_waitcnt lgkmcnt(0)
	s_add_u32 s8, s12, s34
	s_addc_u32 s9, s13, s35
	s_add_u32 s18, s18, s34
	s_addc_u32 s19, s19, s35
	s_load_dwordx2 s[12:13], s[8:9], 0x0
	s_load_dwordx2 s[18:19], s[18:19], 0x0
	v_cmp_lt_i64_e64 s20, s[28:29], 1
	v_mov_b32_e32 v7, 0
	v_mov_b32_e32 v6, 0
	s_ashr_i32 s7, s6, 31
	s_ashr_i32 s11, s10, 31
	s_lshl_b64 s[6:7], s[6:7], 6
	s_and_b32 vcc_lo, exec_lo, s20
	s_lshl_b64 s[30:31], s[10:11], 6
	s_cbranch_vccnz .LBB147_3
; %bb.1:
	s_load_dwordx8 s[20:27], s[4:5], 0x20
	v_lshlrev_b32_e32 v7, 4, v1
	s_load_dwordx4 s[8:11], s[4:5], 0x40
	v_and_b32_e32 v9, 3, v0
	v_mov_b32_e32 v6, 0
	v_lshlrev_b32_e32 v22, 2, v0
	v_add_nc_u32_e32 v2, v7, v0
	v_add_nc_u32_e32 v23, 0x400, v7
	v_lshlrev_b32_e32 v10, 2, v9
	v_mov_b32_e32 v14, 0
	v_mov_b32_e32 v15, 0
	v_lshrrev_b32_e32 v8, 2, v2
	v_and_b32_e32 v11, 63, v2
	v_lshrrev_b32_e32 v12, 6, v2
	v_mov_b32_e32 v16, 0
	v_mov_b32_e32 v17, 0
	v_add_co_u32 v2, s33, v8, s30
	v_add_co_ci_u32_e64 v3, null, 0, s31, s33
	s_waitcnt lgkmcnt(0)
	v_mad_u64_u32 v[4:5], null, s22, v12, s[6:7]
	s_add_u32 s20, s20, s34
	v_mad_u64_u32 v[2:3], null, s8, v9, v[2:3]
	s_addc_u32 s21, s21, s35
	s_add_u32 s26, s26, s34
	s_load_dwordx2 s[20:21], s[20:21], 0x0
	s_addc_u32 s27, s27, s35
	v_lshl_or_b32 v10, v8, 4, v10
	s_load_dwordx2 s[26:27], s[26:27], 0x0
	v_mad_u64_u32 v[7:8], null, s23, v12, v[5:6]
	v_mad_u64_u32 v[8:9], null, s9, v9, v[3:4]
	v_add_co_u32 v4, vcc_lo, v4, v11
	s_lshl_b64 s[24:25], s[24:25], 1
	v_lshlrev_b32_e32 v13, 2, v11
	v_add_co_ci_u32_e64 v5, null, 0, v7, vcc_lo
	v_mov_b32_e32 v3, v8
	v_add_nc_u32_e32 v25, 0x400, v10
	v_lshl_or_b32 v24, v12, 8, v13
	v_lshlrev_b64 v[4:5], 1, v[4:5]
	v_mov_b32_e32 v9, 0
	v_lshlrev_b64 v[7:8], 1, v[2:3]
	s_waitcnt lgkmcnt(0)
	s_add_u32 s24, s20, s24
	s_addc_u32 s25, s21, s25
	s_lshl_b64 s[10:11], s[10:11], 1
	s_lshl_b64 s[20:21], s[22:23], 3
	s_add_u32 s10, s26, s10
	v_add_co_u32 v2, vcc_lo, s24, v4
	v_add_co_ci_u32_e64 v3, null, s25, v5, vcc_lo
	s_addc_u32 s11, s27, s11
	v_add_co_u32 v4, vcc_lo, s10, v7
	v_add_co_ci_u32_e64 v5, null, s11, v8, vcc_lo
	v_mov_b32_e32 v7, 0
	v_mov_b32_e32 v8, 0
	;; [unrolled: 1-line block ×10, first 2 shown]
	s_lshl_b64 s[8:9], s[8:9], 3
	s_mov_b64 s[10:11], 0
.LBB147_2:                              ; =>This Inner Loop Header: Depth=1
	flat_load_ushort v26, v[2:3]
	flat_load_ushort v27, v[4:5]
	s_add_u32 s10, s10, 4
	s_addc_u32 s11, s11, 0
	v_add_co_u32 v2, vcc_lo, v2, s20
	v_cmp_lt_i64_e64 s22, s[10:11], s[28:29]
	v_add_co_ci_u32_e64 v3, null, s21, v3, vcc_lo
	v_add_co_u32 v4, vcc_lo, v4, s8
	v_add_co_ci_u32_e64 v5, null, s9, v5, vcc_lo
	s_and_b32 vcc_lo, exec_lo, s22
	s_waitcnt vmcnt(1) lgkmcnt(1)
	v_lshlrev_b32_e32 v26, 16, v26
	s_waitcnt vmcnt(0) lgkmcnt(0)
	v_lshlrev_b32_e32 v27, 16, v27
	ds_write_b32 v24, v26
	ds_write_b32 v25, v27
	s_waitcnt lgkmcnt(0)
	s_barrier
	buffer_gl0_inv
	ds_read_b128 v[26:29], v23
	ds_read2_b32 v[42:43], v22 offset1:16
	ds_read2_b32 v[44:45], v22 offset0:32 offset1:48
	ds_read_b128 v[30:33], v23 offset:256
	ds_read_b128 v[34:37], v23 offset:512
	;; [unrolled: 1-line block ×3, first 2 shown]
	ds_read2_b32 v[46:47], v22 offset0:64 offset1:80
	ds_read2_b32 v[48:49], v22 offset0:96 offset1:112
	;; [unrolled: 1-line block ×6, first 2 shown]
	s_waitcnt lgkmcnt(0)
	s_barrier
	buffer_gl0_inv
	v_fmac_f32_e32 v21, v42, v26
	v_fmac_f32_e32 v20, v43, v26
	;; [unrolled: 1-line block ×64, first 2 shown]
	s_cbranch_vccnz .LBB147_2
.LBB147_3:
	s_clause 0x1
	s_load_dword s8, s[4:5], 0x50
	s_load_dword s4, s[4:5], 0x18
	s_lshl_b64 s[2:3], s[2:3], 1
	s_waitcnt lgkmcnt(0)
	s_add_u32 s5, s18, s2
	v_add_co_u32 v22, s2, s30, v1
	s_addc_u32 s9, s19, s3
	v_add_co_ci_u32_e64 v23, null, s31, 0, s2
	v_add_co_u32 v0, s3, s6, v0
	v_add_co_ci_u32_e64 v1, null, s7, 0, s3
	v_cmp_neq_f32_e64 s2, s8, 0
	s_and_b32 vcc_lo, exec_lo, s2
	s_cbranch_vccnz .LBB147_196
; %bb.4:
	v_mul_f32_e32 v2, s4, v21
	s_mov_b32 s2, exec_lo
                                        ; implicit-def: $vgpr26
	v_and_b32_e32 v3, 0x7f800000, v2
	v_cmpx_ne_u32_e32 0x7f800000, v3
	s_xor_b32 s2, exec_lo, s2
; %bb.5:
	v_bfe_u32 v3, v2, 16, 1
	v_add3_u32 v26, v2, v3, 0x7fff
                                        ; implicit-def: $vgpr2
; %bb.6:
	s_andn2_saveexec_b32 s2, s2
; %bb.7:
	v_mov_b32_e32 v3, 0
	v_or_b32_e32 v4, 0x10000, v2
	v_cmp_eq_u32_sdwa vcc_lo, v2, v3 src0_sel:WORD_0 src1_sel:DWORD
	v_cndmask_b32_e32 v26, v4, v2, vcc_lo
; %bb.8:
	s_or_b32 exec_lo, exec_lo, s2
	v_mul_lo_u32 v4, v23, s0
	v_mul_lo_u32 v5, v22, s1
	v_mad_u64_u32 v[2:3], null, v22, s0, 0
	v_mul_f32_e32 v27, s4, v20
	v_and_b32_e32 v28, 0x7f800000, v27
	v_add3_u32 v3, v3, v5, v4
	v_lshlrev_b64 v[4:5], 1, v[2:3]
	v_lshlrev_b64 v[2:3], 1, v[0:1]
	v_add_co_u32 v24, vcc_lo, s5, v4
	v_add_co_ci_u32_e64 v25, null, s9, v5, vcc_lo
	v_add_co_u32 v4, vcc_lo, v24, v2
	v_add_co_ci_u32_e64 v5, null, v25, v3, vcc_lo
	v_cmp_ne_u32_e32 vcc_lo, 0x7f800000, v28
                                        ; implicit-def: $vgpr28
	flat_store_short_d16_hi v[4:5], v26
	s_and_saveexec_b32 s2, vcc_lo
	s_xor_b32 s2, exec_lo, s2
; %bb.9:
	v_bfe_u32 v26, v27, 16, 1
	v_add3_u32 v28, v27, v26, 0x7fff
                                        ; implicit-def: $vgpr27
; %bb.10:
	s_andn2_saveexec_b32 s2, s2
; %bb.11:
	v_mov_b32_e32 v26, 0
	v_or_b32_e32 v28, 0x10000, v27
	v_cmp_eq_u32_sdwa vcc_lo, v27, v26 src0_sel:WORD_0 src1_sel:DWORD
	v_cndmask_b32_e32 v28, v28, v27, vcc_lo
; %bb.12:
	s_or_b32 exec_lo, exec_lo, s2
	v_mul_f32_e32 v26, s4, v19
	flat_store_short_d16_hi v[4:5], v28 offset:32
	v_and_b32_e32 v27, 0x7f800000, v26
	v_cmp_ne_u32_e32 vcc_lo, 0x7f800000, v27
                                        ; implicit-def: $vgpr27
	s_and_saveexec_b32 s2, vcc_lo
	s_xor_b32 s2, exec_lo, s2
; %bb.13:
	v_bfe_u32 v27, v26, 16, 1
	v_add3_u32 v27, v26, v27, 0x7fff
                                        ; implicit-def: $vgpr26
; %bb.14:
	s_andn2_saveexec_b32 s2, s2
; %bb.15:
	v_mov_b32_e32 v27, 0
	v_or_b32_e32 v28, 0x10000, v26
	v_cmp_eq_u32_sdwa vcc_lo, v26, v27 src0_sel:WORD_0 src1_sel:DWORD
	v_cndmask_b32_e32 v27, v28, v26, vcc_lo
; %bb.16:
	s_or_b32 exec_lo, exec_lo, s2
	v_mul_f32_e32 v26, s4, v18
	flat_store_short_d16_hi v[4:5], v27 offset:64
	v_and_b32_e32 v28, 0x7f800000, v26
	v_cmp_ne_u32_e32 vcc_lo, 0x7f800000, v28
                                        ; implicit-def: $vgpr28
	s_and_saveexec_b32 s2, vcc_lo
	s_xor_b32 s2, exec_lo, s2
; %bb.17:
	v_bfe_u32 v27, v26, 16, 1
	v_add3_u32 v28, v26, v27, 0x7fff
                                        ; implicit-def: $vgpr26
; %bb.18:
	s_andn2_saveexec_b32 s2, s2
; %bb.19:
	v_mov_b32_e32 v27, 0
	v_or_b32_e32 v28, 0x10000, v26
	v_cmp_eq_u32_sdwa vcc_lo, v26, v27 src0_sel:WORD_0 src1_sel:DWORD
	v_cndmask_b32_e32 v28, v28, v26, vcc_lo
; %bb.20:
	s_or_b32 exec_lo, exec_lo, s2
	v_mul_f32_e32 v27, s4, v17
	flat_store_short_d16_hi v[4:5], v28 offset:96
	v_and_b32_e32 v26, 0x7f800000, v27
	v_cmp_ne_u32_e32 vcc_lo, 0x7f800000, v26
                                        ; implicit-def: $vgpr26
	s_and_saveexec_b32 s2, vcc_lo
	s_xor_b32 s2, exec_lo, s2
; %bb.21:
	v_bfe_u32 v4, v27, 16, 1
	v_add3_u32 v26, v27, v4, 0x7fff
                                        ; implicit-def: $vgpr27
; %bb.22:
	s_andn2_saveexec_b32 s2, s2
; %bb.23:
	v_mov_b32_e32 v4, 0
	v_or_b32_e32 v5, 0x10000, v27
	v_cmp_eq_u32_sdwa vcc_lo, v27, v4 src0_sel:WORD_0 src1_sel:DWORD
	v_cndmask_b32_e32 v26, v5, v27, vcc_lo
; %bb.24:
	s_or_b32 exec_lo, exec_lo, s2
	v_mul_f32_e32 v27, s4, v16
	s_lshl_b64 s[2:3], s[0:1], 5
	v_add_co_u32 v24, vcc_lo, v24, s2
	v_add_co_ci_u32_e64 v25, null, s3, v25, vcc_lo
	v_and_b32_e32 v28, 0x7f800000, v27
	v_add_co_u32 v4, vcc_lo, v24, v2
	v_add_co_ci_u32_e64 v5, null, v25, v3, vcc_lo
	v_cmp_ne_u32_e32 vcc_lo, 0x7f800000, v28
                                        ; implicit-def: $vgpr28
	flat_store_short_d16_hi v[4:5], v26
	s_and_saveexec_b32 s2, vcc_lo
	s_xor_b32 s2, exec_lo, s2
; %bb.25:
	v_bfe_u32 v26, v27, 16, 1
	v_add3_u32 v28, v27, v26, 0x7fff
                                        ; implicit-def: $vgpr27
; %bb.26:
	s_andn2_saveexec_b32 s2, s2
; %bb.27:
	v_mov_b32_e32 v26, 0
	v_or_b32_e32 v28, 0x10000, v27
	v_cmp_eq_u32_sdwa vcc_lo, v27, v26 src0_sel:WORD_0 src1_sel:DWORD
	v_cndmask_b32_e32 v28, v28, v27, vcc_lo
; %bb.28:
	s_or_b32 exec_lo, exec_lo, s2
	v_mul_f32_e32 v26, s4, v15
	flat_store_short_d16_hi v[4:5], v28 offset:32
	v_and_b32_e32 v27, 0x7f800000, v26
	v_cmp_ne_u32_e32 vcc_lo, 0x7f800000, v27
                                        ; implicit-def: $vgpr27
	s_and_saveexec_b32 s2, vcc_lo
	s_xor_b32 s2, exec_lo, s2
; %bb.29:
	v_bfe_u32 v27, v26, 16, 1
	v_add3_u32 v27, v26, v27, 0x7fff
                                        ; implicit-def: $vgpr26
; %bb.30:
	s_andn2_saveexec_b32 s2, s2
; %bb.31:
	v_mov_b32_e32 v27, 0
	v_or_b32_e32 v28, 0x10000, v26
	v_cmp_eq_u32_sdwa vcc_lo, v26, v27 src0_sel:WORD_0 src1_sel:DWORD
	v_cndmask_b32_e32 v27, v28, v26, vcc_lo
; %bb.32:
	s_or_b32 exec_lo, exec_lo, s2
	v_mul_f32_e32 v26, s4, v14
	flat_store_short_d16_hi v[4:5], v27 offset:64
	v_and_b32_e32 v28, 0x7f800000, v26
	v_cmp_ne_u32_e32 vcc_lo, 0x7f800000, v28
                                        ; implicit-def: $vgpr28
	s_and_saveexec_b32 s2, vcc_lo
	s_xor_b32 s2, exec_lo, s2
; %bb.33:
	v_bfe_u32 v27, v26, 16, 1
	v_add3_u32 v28, v26, v27, 0x7fff
                                        ; implicit-def: $vgpr26
; %bb.34:
	s_andn2_saveexec_b32 s2, s2
; %bb.35:
	v_mov_b32_e32 v27, 0
	v_or_b32_e32 v28, 0x10000, v26
	v_cmp_eq_u32_sdwa vcc_lo, v26, v27 src0_sel:WORD_0 src1_sel:DWORD
	v_cndmask_b32_e32 v28, v28, v26, vcc_lo
; %bb.36:
	s_or_b32 exec_lo, exec_lo, s2
	v_mul_f32_e32 v27, s4, v13
	flat_store_short_d16_hi v[4:5], v28 offset:96
	v_and_b32_e32 v26, 0x7f800000, v27
	v_cmp_ne_u32_e32 vcc_lo, 0x7f800000, v26
                                        ; implicit-def: $vgpr26
	s_and_saveexec_b32 s2, vcc_lo
	s_xor_b32 s2, exec_lo, s2
; %bb.37:
	v_bfe_u32 v4, v27, 16, 1
	v_add3_u32 v26, v27, v4, 0x7fff
                                        ; implicit-def: $vgpr27
; %bb.38:
	s_or_saveexec_b32 s6, s2
	s_lshl_b64 s[2:3], s[0:1], 4
	s_xor_b32 exec_lo, exec_lo, s6
; %bb.39:
	v_mov_b32_e32 v4, 0
	v_or_b32_e32 v5, 0x10000, v27
	v_cmp_eq_u32_sdwa vcc_lo, v27, v4 src0_sel:WORD_0 src1_sel:DWORD
	v_cndmask_b32_e32 v26, v5, v27, vcc_lo
; %bb.40:
	s_or_b32 exec_lo, exec_lo, s6
	v_mul_f32_e32 v27, s4, v12
	s_lshl_b64 s[2:3], s[2:3], 1
	v_add_co_u32 v24, vcc_lo, v24, s2
	v_add_co_ci_u32_e64 v25, null, s3, v25, vcc_lo
	v_and_b32_e32 v28, 0x7f800000, v27
	v_add_co_u32 v4, vcc_lo, v24, v2
	v_add_co_ci_u32_e64 v5, null, v25, v3, vcc_lo
	v_cmp_ne_u32_e32 vcc_lo, 0x7f800000, v28
                                        ; implicit-def: $vgpr28
	flat_store_short_d16_hi v[4:5], v26
	s_and_saveexec_b32 s6, vcc_lo
	s_xor_b32 s6, exec_lo, s6
; %bb.41:
	v_bfe_u32 v26, v27, 16, 1
	v_add3_u32 v28, v27, v26, 0x7fff
                                        ; implicit-def: $vgpr27
; %bb.42:
	s_andn2_saveexec_b32 s6, s6
; %bb.43:
	v_mov_b32_e32 v26, 0
	v_or_b32_e32 v28, 0x10000, v27
	v_cmp_eq_u32_sdwa vcc_lo, v27, v26 src0_sel:WORD_0 src1_sel:DWORD
	v_cndmask_b32_e32 v28, v28, v27, vcc_lo
; %bb.44:
	s_or_b32 exec_lo, exec_lo, s6
	v_mul_f32_e32 v26, s4, v11
	flat_store_short_d16_hi v[4:5], v28 offset:32
	v_and_b32_e32 v27, 0x7f800000, v26
	v_cmp_ne_u32_e32 vcc_lo, 0x7f800000, v27
                                        ; implicit-def: $vgpr27
	s_and_saveexec_b32 s6, vcc_lo
	s_xor_b32 s6, exec_lo, s6
; %bb.45:
	v_bfe_u32 v27, v26, 16, 1
	v_add3_u32 v27, v26, v27, 0x7fff
                                        ; implicit-def: $vgpr26
; %bb.46:
	s_andn2_saveexec_b32 s6, s6
; %bb.47:
	v_mov_b32_e32 v27, 0
	v_or_b32_e32 v28, 0x10000, v26
	v_cmp_eq_u32_sdwa vcc_lo, v26, v27 src0_sel:WORD_0 src1_sel:DWORD
	v_cndmask_b32_e32 v27, v28, v26, vcc_lo
; %bb.48:
	s_or_b32 exec_lo, exec_lo, s6
	v_mul_f32_e32 v26, s4, v10
	s_mov_b32 s6, exec_lo
	flat_store_short_d16_hi v[4:5], v27 offset:64
                                        ; implicit-def: $vgpr27
	v_and_b32_e32 v28, 0x7f800000, v26
	v_cmpx_ne_u32_e32 0x7f800000, v28
	s_xor_b32 s6, exec_lo, s6
; %bb.49:
	v_bfe_u32 v27, v26, 16, 1
	v_add3_u32 v27, v26, v27, 0x7fff
                                        ; implicit-def: $vgpr26
; %bb.50:
	s_andn2_saveexec_b32 s6, s6
; %bb.51:
	v_mov_b32_e32 v27, 0
	v_or_b32_e32 v28, 0x10000, v26
	v_cmp_eq_u32_sdwa vcc_lo, v26, v27 src0_sel:WORD_0 src1_sel:DWORD
	v_cndmask_b32_e32 v27, v28, v26, vcc_lo
; %bb.52:
	s_or_b32 exec_lo, exec_lo, s6
	v_mul_f32_e32 v26, s4, v9
	s_mov_b32 s6, exec_lo
	flat_store_short_d16_hi v[4:5], v27 offset:96
                                        ; implicit-def: $vgpr4
	v_and_b32_e32 v28, 0x7f800000, v26
	v_cmpx_ne_u32_e32 0x7f800000, v28
	s_xor_b32 s6, exec_lo, s6
; %bb.53:
	v_bfe_u32 v4, v26, 16, 1
	v_add3_u32 v4, v26, v4, 0x7fff
                                        ; implicit-def: $vgpr26
; %bb.54:
	s_andn2_saveexec_b32 s6, s6
; %bb.55:
	v_mov_b32_e32 v4, 0
	v_or_b32_e32 v5, 0x10000, v26
	v_cmp_eq_u32_sdwa vcc_lo, v26, v4 src0_sel:WORD_0 src1_sel:DWORD
	v_cndmask_b32_e32 v4, v5, v26, vcc_lo
; %bb.56:
	s_or_b32 exec_lo, exec_lo, s6
	v_add_co_u32 v24, vcc_lo, v24, s2
	v_mul_f32_e32 v5, s4, v8
	v_add_co_ci_u32_e64 v25, null, s3, v25, vcc_lo
	v_add_co_u32 v2, vcc_lo, v24, v2
	v_and_b32_e32 v26, 0x7f800000, v5
	v_add_co_ci_u32_e64 v3, null, v25, v3, vcc_lo
	s_mov_b32 s2, exec_lo
                                        ; implicit-def: $vgpr24
	flat_store_short_d16_hi v[2:3], v4
	v_cmpx_ne_u32_e32 0x7f800000, v26
	s_xor_b32 s2, exec_lo, s2
; %bb.57:
	v_bfe_u32 v4, v5, 16, 1
	v_add3_u32 v24, v5, v4, 0x7fff
                                        ; implicit-def: $vgpr5
; %bb.58:
	s_andn2_saveexec_b32 s2, s2
; %bb.59:
	v_mov_b32_e32 v4, 0
	v_or_b32_e32 v24, 0x10000, v5
	v_cmp_eq_u32_sdwa vcc_lo, v5, v4 src0_sel:WORD_0 src1_sel:DWORD
	v_cndmask_b32_e32 v24, v24, v5, vcc_lo
; %bb.60:
	s_or_b32 exec_lo, exec_lo, s2
	v_mul_f32_e32 v4, s4, v7
	flat_store_short_d16_hi v[2:3], v24 offset:32
	v_and_b32_e32 v5, 0x7f800000, v4
	v_cmp_ne_u32_e32 vcc_lo, 0x7f800000, v5
                                        ; implicit-def: $vgpr5
	s_and_saveexec_b32 s2, vcc_lo
	s_xor_b32 s2, exec_lo, s2
; %bb.61:
	v_bfe_u32 v5, v4, 16, 1
	v_add3_u32 v5, v4, v5, 0x7fff
                                        ; implicit-def: $vgpr4
; %bb.62:
	s_andn2_saveexec_b32 s2, s2
; %bb.63:
	v_mov_b32_e32 v5, 0
	v_or_b32_e32 v24, 0x10000, v4
	v_cmp_eq_u32_sdwa vcc_lo, v4, v5 src0_sel:WORD_0 src1_sel:DWORD
	v_cndmask_b32_e32 v5, v24, v4, vcc_lo
; %bb.64:
	s_or_b32 exec_lo, exec_lo, s2
	v_mul_f32_e32 v4, s4, v6
	s_mov_b32 s2, exec_lo
	flat_store_short_d16_hi v[2:3], v5 offset:64
                                        ; implicit-def: $vgpr5
	v_and_b32_e32 v24, 0x7f800000, v4
	v_cmpx_ne_u32_e32 0x7f800000, v24
	s_xor_b32 s2, exec_lo, s2
; %bb.65:
	v_bfe_u32 v5, v4, 16, 1
	v_add3_u32 v5, v4, v5, 0x7fff
                                        ; implicit-def: $vgpr4
; %bb.66:
	s_andn2_saveexec_b32 s2, s2
; %bb.67:
	v_mov_b32_e32 v5, 0
	v_or_b32_e32 v24, 0x10000, v4
	v_cmp_eq_u32_sdwa vcc_lo, v4, v5 src0_sel:WORD_0 src1_sel:DWORD
	v_cndmask_b32_e32 v5, v24, v4, vcc_lo
; %bb.68:
	s_or_b32 exec_lo, exec_lo, s2
	flat_store_short_d16_hi v[2:3], v5 offset:96
	s_branch .LBB147_197
.LBB147_69:
	v_mul_lo_u32 v4, v23, s14
	v_mul_lo_u32 v5, v22, s15
	v_mad_u64_u32 v[2:3], null, v22, s14, 0
	s_lshl_b64 s[2:3], s[16:17], 1
	v_lshlrev_b64 v[0:1], 1, v[0:1]
	s_add_u32 s2, s12, s2
	s_addc_u32 s3, s13, s3
	v_add3_u32 v3, v3, v5, v4
	v_lshlrev_b64 v[2:3], 1, v[2:3]
	v_add_co_u32 v24, vcc_lo, s2, v2
	v_add_co_ci_u32_e64 v25, null, s3, v3, vcc_lo
	v_add_co_u32 v2, vcc_lo, v24, v0
	v_add_co_ci_u32_e64 v3, null, v25, v1, vcc_lo
	flat_load_ushort v4, v[2:3]
	s_waitcnt vmcnt(0) lgkmcnt(0)
	v_lshlrev_b32_e32 v4, 16, v4
	v_mul_f32_e32 v4, s8, v4
	v_and_b32_e32 v5, 0x7f800000, v4
	v_cmp_ne_u32_e32 vcc_lo, 0x7f800000, v5
                                        ; implicit-def: $vgpr5
	s_and_saveexec_b32 s2, vcc_lo
	s_xor_b32 s2, exec_lo, s2
; %bb.70:
	v_bfe_u32 v5, v4, 16, 1
	v_add3_u32 v5, v4, v5, 0x7fff
                                        ; implicit-def: $vgpr4
; %bb.71:
	s_andn2_saveexec_b32 s2, s2
; %bb.72:
	v_mov_b32_e32 v5, 0
	v_or_b32_e32 v26, 0x10000, v4
	v_cmp_eq_u32_sdwa vcc_lo, v4, v5 src0_sel:WORD_0 src1_sel:DWORD
	v_cndmask_b32_e32 v5, v26, v4, vcc_lo
; %bb.73:
	s_or_b32 exec_lo, exec_lo, s2
	v_and_b32_e32 v4, 0xffff0000, v5
	s_mov_b32 s2, exec_lo
                                        ; implicit-def: $vgpr26
	v_fmac_f32_e32 v4, s4, v21
	v_and_b32_e32 v5, 0x7f800000, v4
	v_cmpx_ne_u32_e32 0x7f800000, v5
	s_xor_b32 s2, exec_lo, s2
; %bb.74:
	v_bfe_u32 v5, v4, 16, 1
	v_add3_u32 v26, v4, v5, 0x7fff
                                        ; implicit-def: $vgpr4
; %bb.75:
	s_andn2_saveexec_b32 s2, s2
; %bb.76:
	v_mov_b32_e32 v5, 0
	v_or_b32_e32 v21, 0x10000, v4
	v_cmp_eq_u32_sdwa vcc_lo, v4, v5 src0_sel:WORD_0 src1_sel:DWORD
	v_cndmask_b32_e32 v26, v21, v4, vcc_lo
; %bb.77:
	s_or_b32 exec_lo, exec_lo, s2
	v_mul_lo_u32 v21, v23, s0
	v_mul_lo_u32 v23, v22, s1
	v_mad_u64_u32 v[4:5], null, v22, s0, 0
	v_add3_u32 v5, v5, v23, v21
	v_lshlrev_b64 v[4:5], 1, v[4:5]
	v_add_co_u32 v21, vcc_lo, s5, v4
	v_add_co_ci_u32_e64 v22, null, s9, v5, vcc_lo
	v_add_co_u32 v4, vcc_lo, v21, v0
	v_add_co_ci_u32_e64 v5, null, v22, v1, vcc_lo
	flat_store_short_d16_hi v[4:5], v26
	flat_load_ushort v23, v[2:3] offset:32
	s_waitcnt vmcnt(0) lgkmcnt(0)
	v_lshlrev_b32_e32 v23, 16, v23
	v_mul_f32_e32 v23, s8, v23
	v_and_b32_e32 v26, 0x7f800000, v23
	v_cmp_ne_u32_e32 vcc_lo, 0x7f800000, v26
                                        ; implicit-def: $vgpr26
	s_and_saveexec_b32 s2, vcc_lo
	s_xor_b32 s2, exec_lo, s2
; %bb.78:
	v_bfe_u32 v26, v23, 16, 1
	v_add3_u32 v26, v23, v26, 0x7fff
                                        ; implicit-def: $vgpr23
; %bb.79:
	s_andn2_saveexec_b32 s2, s2
; %bb.80:
	v_mov_b32_e32 v26, 0
	v_or_b32_e32 v27, 0x10000, v23
	v_cmp_eq_u32_sdwa vcc_lo, v23, v26 src0_sel:WORD_0 src1_sel:DWORD
	v_cndmask_b32_e32 v26, v27, v23, vcc_lo
; %bb.81:
	s_or_b32 exec_lo, exec_lo, s2
	v_and_b32_e32 v23, 0xffff0000, v26
	v_fmac_f32_e32 v23, s4, v20
	v_and_b32_e32 v20, 0x7f800000, v23
	v_cmp_ne_u32_e32 vcc_lo, 0x7f800000, v20
                                        ; implicit-def: $vgpr20
	s_and_saveexec_b32 s2, vcc_lo
	s_xor_b32 s2, exec_lo, s2
; %bb.82:
	v_bfe_u32 v20, v23, 16, 1
	v_add3_u32 v20, v23, v20, 0x7fff
                                        ; implicit-def: $vgpr23
; %bb.83:
	s_andn2_saveexec_b32 s2, s2
; %bb.84:
	v_mov_b32_e32 v20, 0
	v_or_b32_e32 v26, 0x10000, v23
	v_cmp_eq_u32_sdwa vcc_lo, v23, v20 src0_sel:WORD_0 src1_sel:DWORD
	v_cndmask_b32_e32 v20, v26, v23, vcc_lo
; %bb.85:
	s_or_b32 exec_lo, exec_lo, s2
	flat_store_short_d16_hi v[4:5], v20 offset:32
	flat_load_ushort v20, v[2:3] offset:64
	s_waitcnt vmcnt(0) lgkmcnt(0)
	v_lshlrev_b32_e32 v20, 16, v20
	v_mul_f32_e32 v20, s8, v20
	v_and_b32_e32 v23, 0x7f800000, v20
	v_cmp_ne_u32_e32 vcc_lo, 0x7f800000, v23
                                        ; implicit-def: $vgpr23
	s_and_saveexec_b32 s2, vcc_lo
	s_xor_b32 s2, exec_lo, s2
; %bb.86:
	v_bfe_u32 v23, v20, 16, 1
	v_add3_u32 v23, v20, v23, 0x7fff
                                        ; implicit-def: $vgpr20
; %bb.87:
	s_andn2_saveexec_b32 s2, s2
; %bb.88:
	v_mov_b32_e32 v23, 0
	v_or_b32_e32 v26, 0x10000, v20
	v_cmp_eq_u32_sdwa vcc_lo, v20, v23 src0_sel:WORD_0 src1_sel:DWORD
	v_cndmask_b32_e32 v23, v26, v20, vcc_lo
; %bb.89:
	s_or_b32 exec_lo, exec_lo, s2
	v_and_b32_e32 v20, 0xffff0000, v23
	v_fmac_f32_e32 v20, s4, v19
	v_and_b32_e32 v19, 0x7f800000, v20
	v_cmp_ne_u32_e32 vcc_lo, 0x7f800000, v19
                                        ; implicit-def: $vgpr19
	s_and_saveexec_b32 s2, vcc_lo
	s_xor_b32 s2, exec_lo, s2
; %bb.90:
	v_bfe_u32 v19, v20, 16, 1
	v_add3_u32 v19, v20, v19, 0x7fff
                                        ; implicit-def: $vgpr20
; %bb.91:
	s_andn2_saveexec_b32 s2, s2
; %bb.92:
	v_mov_b32_e32 v19, 0
	v_or_b32_e32 v23, 0x10000, v20
	v_cmp_eq_u32_sdwa vcc_lo, v20, v19 src0_sel:WORD_0 src1_sel:DWORD
	v_cndmask_b32_e32 v19, v23, v20, vcc_lo
; %bb.93:
	s_or_b32 exec_lo, exec_lo, s2
	flat_store_short_d16_hi v[4:5], v19 offset:64
	flat_load_ushort v2, v[2:3] offset:96
	s_waitcnt vmcnt(0) lgkmcnt(0)
	v_lshlrev_b32_e32 v2, 16, v2
	v_mul_f32_e32 v2, s8, v2
	v_and_b32_e32 v3, 0x7f800000, v2
	v_cmp_ne_u32_e32 vcc_lo, 0x7f800000, v3
                                        ; implicit-def: $vgpr3
	s_and_saveexec_b32 s2, vcc_lo
	s_xor_b32 s2, exec_lo, s2
; %bb.94:
	v_bfe_u32 v3, v2, 16, 1
	v_add3_u32 v3, v2, v3, 0x7fff
                                        ; implicit-def: $vgpr2
; %bb.95:
	s_andn2_saveexec_b32 s2, s2
; %bb.96:
	v_mov_b32_e32 v3, 0
	v_or_b32_e32 v19, 0x10000, v2
	v_cmp_eq_u32_sdwa vcc_lo, v2, v3 src0_sel:WORD_0 src1_sel:DWORD
	v_cndmask_b32_e32 v3, v19, v2, vcc_lo
; %bb.97:
	s_or_b32 exec_lo, exec_lo, s2
	v_and_b32_e32 v2, 0xffff0000, v3
	s_mov_b32 s2, exec_lo
	v_fmac_f32_e32 v2, s4, v18
                                        ; implicit-def: $vgpr18
	v_and_b32_e32 v3, 0x7f800000, v2
	v_cmpx_ne_u32_e32 0x7f800000, v3
	s_xor_b32 s2, exec_lo, s2
; %bb.98:
	v_bfe_u32 v3, v2, 16, 1
	v_add3_u32 v18, v2, v3, 0x7fff
                                        ; implicit-def: $vgpr2
; %bb.99:
	s_andn2_saveexec_b32 s2, s2
; %bb.100:
	v_mov_b32_e32 v3, 0
	v_or_b32_e32 v18, 0x10000, v2
	v_cmp_eq_u32_sdwa vcc_lo, v2, v3 src0_sel:WORD_0 src1_sel:DWORD
	v_cndmask_b32_e32 v18, v18, v2, vcc_lo
; %bb.101:
	s_or_b32 exec_lo, exec_lo, s2
	s_lshl_b64 s[2:3], s[14:15], 5
	flat_store_short_d16_hi v[4:5], v18 offset:96
	v_add_co_u32 v19, vcc_lo, v24, s2
	v_add_co_ci_u32_e64 v20, null, s3, v25, vcc_lo
	v_add_co_u32 v2, vcc_lo, v19, v0
	v_add_co_ci_u32_e64 v3, null, v20, v1, vcc_lo
	flat_load_ushort v4, v[2:3]
	s_waitcnt vmcnt(0) lgkmcnt(0)
	v_lshlrev_b32_e32 v4, 16, v4
	v_mul_f32_e32 v4, s8, v4
	v_and_b32_e32 v5, 0x7f800000, v4
	v_cmp_ne_u32_e32 vcc_lo, 0x7f800000, v5
                                        ; implicit-def: $vgpr5
	s_and_saveexec_b32 s2, vcc_lo
	s_xor_b32 s2, exec_lo, s2
; %bb.102:
	v_bfe_u32 v5, v4, 16, 1
	v_add3_u32 v5, v4, v5, 0x7fff
                                        ; implicit-def: $vgpr4
; %bb.103:
	s_andn2_saveexec_b32 s2, s2
; %bb.104:
	v_mov_b32_e32 v5, 0
	v_or_b32_e32 v18, 0x10000, v4
	v_cmp_eq_u32_sdwa vcc_lo, v4, v5 src0_sel:WORD_0 src1_sel:DWORD
	v_cndmask_b32_e32 v5, v18, v4, vcc_lo
; %bb.105:
	s_or_b32 exec_lo, exec_lo, s2
	v_and_b32_e32 v4, 0xffff0000, v5
	s_mov_b32 s2, exec_lo
                                        ; implicit-def: $vgpr23
	v_fmac_f32_e32 v4, s4, v17
	v_and_b32_e32 v5, 0x7f800000, v4
	v_cmpx_ne_u32_e32 0x7f800000, v5
	s_xor_b32 s2, exec_lo, s2
; %bb.106:
	v_bfe_u32 v5, v4, 16, 1
	v_add3_u32 v23, v4, v5, 0x7fff
                                        ; implicit-def: $vgpr4
; %bb.107:
	s_andn2_saveexec_b32 s2, s2
; %bb.108:
	v_mov_b32_e32 v5, 0
	v_or_b32_e32 v17, 0x10000, v4
	v_cmp_eq_u32_sdwa vcc_lo, v4, v5 src0_sel:WORD_0 src1_sel:DWORD
	v_cndmask_b32_e32 v23, v17, v4, vcc_lo
; %bb.109:
	s_or_b32 exec_lo, exec_lo, s2
	s_lshl_b64 s[2:3], s[0:1], 5
	v_add_co_u32 v17, vcc_lo, v21, s2
	v_add_co_ci_u32_e64 v18, null, s3, v22, vcc_lo
	v_add_co_u32 v4, vcc_lo, v17, v0
	v_add_co_ci_u32_e64 v5, null, v18, v1, vcc_lo
	flat_store_short_d16_hi v[4:5], v23
	flat_load_ushort v21, v[2:3] offset:32
	s_waitcnt vmcnt(0) lgkmcnt(0)
	v_lshlrev_b32_e32 v21, 16, v21
	v_mul_f32_e32 v21, s8, v21
	v_and_b32_e32 v22, 0x7f800000, v21
	v_cmp_ne_u32_e32 vcc_lo, 0x7f800000, v22
                                        ; implicit-def: $vgpr22
	s_and_saveexec_b32 s2, vcc_lo
	s_xor_b32 s2, exec_lo, s2
; %bb.110:
	v_bfe_u32 v22, v21, 16, 1
	v_add3_u32 v22, v21, v22, 0x7fff
                                        ; implicit-def: $vgpr21
; %bb.111:
	s_andn2_saveexec_b32 s2, s2
; %bb.112:
	v_mov_b32_e32 v22, 0
	v_or_b32_e32 v23, 0x10000, v21
	v_cmp_eq_u32_sdwa vcc_lo, v21, v22 src0_sel:WORD_0 src1_sel:DWORD
	v_cndmask_b32_e32 v22, v23, v21, vcc_lo
; %bb.113:
	s_or_b32 exec_lo, exec_lo, s2
	v_and_b32_e32 v21, 0xffff0000, v22
	v_fmac_f32_e32 v21, s4, v16
	v_and_b32_e32 v16, 0x7f800000, v21
	v_cmp_ne_u32_e32 vcc_lo, 0x7f800000, v16
                                        ; implicit-def: $vgpr16
	s_and_saveexec_b32 s2, vcc_lo
	s_xor_b32 s2, exec_lo, s2
; %bb.114:
	v_bfe_u32 v16, v21, 16, 1
	v_add3_u32 v16, v21, v16, 0x7fff
                                        ; implicit-def: $vgpr21
; %bb.115:
	s_andn2_saveexec_b32 s2, s2
; %bb.116:
	v_mov_b32_e32 v16, 0
	v_or_b32_e32 v22, 0x10000, v21
	v_cmp_eq_u32_sdwa vcc_lo, v21, v16 src0_sel:WORD_0 src1_sel:DWORD
	v_cndmask_b32_e32 v16, v22, v21, vcc_lo
; %bb.117:
	s_or_b32 exec_lo, exec_lo, s2
	flat_store_short_d16_hi v[4:5], v16 offset:32
	flat_load_ushort v16, v[2:3] offset:64
	s_waitcnt vmcnt(0) lgkmcnt(0)
	v_lshlrev_b32_e32 v16, 16, v16
	v_mul_f32_e32 v16, s8, v16
	v_and_b32_e32 v21, 0x7f800000, v16
	v_cmp_ne_u32_e32 vcc_lo, 0x7f800000, v21
                                        ; implicit-def: $vgpr21
	s_and_saveexec_b32 s2, vcc_lo
	s_xor_b32 s2, exec_lo, s2
; %bb.118:
	v_bfe_u32 v21, v16, 16, 1
	v_add3_u32 v21, v16, v21, 0x7fff
                                        ; implicit-def: $vgpr16
; %bb.119:
	s_andn2_saveexec_b32 s2, s2
; %bb.120:
	v_mov_b32_e32 v21, 0
	v_or_b32_e32 v22, 0x10000, v16
	v_cmp_eq_u32_sdwa vcc_lo, v16, v21 src0_sel:WORD_0 src1_sel:DWORD
	v_cndmask_b32_e32 v21, v22, v16, vcc_lo
; %bb.121:
	s_or_b32 exec_lo, exec_lo, s2
	v_and_b32_e32 v16, 0xffff0000, v21
	v_fmac_f32_e32 v16, s4, v15
	v_and_b32_e32 v15, 0x7f800000, v16
	v_cmp_ne_u32_e32 vcc_lo, 0x7f800000, v15
                                        ; implicit-def: $vgpr15
	s_and_saveexec_b32 s2, vcc_lo
	s_xor_b32 s2, exec_lo, s2
; %bb.122:
	v_bfe_u32 v15, v16, 16, 1
	v_add3_u32 v15, v16, v15, 0x7fff
                                        ; implicit-def: $vgpr16
; %bb.123:
	s_andn2_saveexec_b32 s2, s2
; %bb.124:
	v_mov_b32_e32 v15, 0
	v_or_b32_e32 v21, 0x10000, v16
	v_cmp_eq_u32_sdwa vcc_lo, v16, v15 src0_sel:WORD_0 src1_sel:DWORD
	v_cndmask_b32_e32 v15, v21, v16, vcc_lo
; %bb.125:
	s_or_b32 exec_lo, exec_lo, s2
	flat_store_short_d16_hi v[4:5], v15 offset:64
	flat_load_ushort v2, v[2:3] offset:96
	s_waitcnt vmcnt(0) lgkmcnt(0)
	v_lshlrev_b32_e32 v2, 16, v2
	v_mul_f32_e32 v2, s8, v2
	v_and_b32_e32 v3, 0x7f800000, v2
	v_cmp_ne_u32_e32 vcc_lo, 0x7f800000, v3
                                        ; implicit-def: $vgpr3
	s_and_saveexec_b32 s2, vcc_lo
	s_xor_b32 s2, exec_lo, s2
; %bb.126:
	v_bfe_u32 v3, v2, 16, 1
	v_add3_u32 v3, v2, v3, 0x7fff
                                        ; implicit-def: $vgpr2
; %bb.127:
	s_andn2_saveexec_b32 s2, s2
; %bb.128:
	v_mov_b32_e32 v3, 0
	v_or_b32_e32 v15, 0x10000, v2
	v_cmp_eq_u32_sdwa vcc_lo, v2, v3 src0_sel:WORD_0 src1_sel:DWORD
	v_cndmask_b32_e32 v3, v15, v2, vcc_lo
; %bb.129:
	s_or_b32 exec_lo, exec_lo, s2
	v_and_b32_e32 v2, 0xffff0000, v3
	s_mov_b32 s2, exec_lo
                                        ; implicit-def: $vgpr16
	v_fmac_f32_e32 v2, s4, v14
	v_and_b32_e32 v3, 0x7f800000, v2
	v_cmpx_ne_u32_e32 0x7f800000, v3
	s_xor_b32 s2, exec_lo, s2
; %bb.130:
	v_bfe_u32 v3, v2, 16, 1
	v_add3_u32 v16, v2, v3, 0x7fff
                                        ; implicit-def: $vgpr2
; %bb.131:
	s_or_saveexec_b32 s5, s2
	s_lshl_b64 s[2:3], s[14:15], 4
	s_xor_b32 exec_lo, exec_lo, s5
; %bb.132:
	v_mov_b32_e32 v3, 0
	v_or_b32_e32 v14, 0x10000, v2
	v_cmp_eq_u32_sdwa vcc_lo, v2, v3 src0_sel:WORD_0 src1_sel:DWORD
	v_cndmask_b32_e32 v16, v14, v2, vcc_lo
; %bb.133:
	s_or_b32 exec_lo, exec_lo, s5
	s_lshl_b64 s[2:3], s[2:3], 1
	flat_store_short_d16_hi v[4:5], v16 offset:96
	v_add_co_u32 v14, vcc_lo, v19, s2
	v_add_co_ci_u32_e64 v15, null, s3, v20, vcc_lo
	v_add_co_u32 v2, vcc_lo, v14, v0
	v_add_co_ci_u32_e64 v3, null, v15, v1, vcc_lo
	flat_load_ushort v4, v[2:3]
	s_waitcnt vmcnt(0) lgkmcnt(0)
	v_lshlrev_b32_e32 v4, 16, v4
	v_mul_f32_e32 v4, s8, v4
	v_and_b32_e32 v5, 0x7f800000, v4
	v_cmp_ne_u32_e32 vcc_lo, 0x7f800000, v5
                                        ; implicit-def: $vgpr5
	s_and_saveexec_b32 s5, vcc_lo
	s_xor_b32 s5, exec_lo, s5
; %bb.134:
	v_bfe_u32 v5, v4, 16, 1
	v_add3_u32 v5, v4, v5, 0x7fff
                                        ; implicit-def: $vgpr4
; %bb.135:
	s_andn2_saveexec_b32 s5, s5
; %bb.136:
	v_mov_b32_e32 v5, 0
	v_or_b32_e32 v16, 0x10000, v4
	v_cmp_eq_u32_sdwa vcc_lo, v4, v5 src0_sel:WORD_0 src1_sel:DWORD
	v_cndmask_b32_e32 v5, v16, v4, vcc_lo
; %bb.137:
	s_or_b32 exec_lo, exec_lo, s5
	v_and_b32_e32 v4, 0xffff0000, v5
	s_mov_b32 s5, exec_lo
                                        ; implicit-def: $vgpr19
	v_fmac_f32_e32 v4, s4, v13
	v_and_b32_e32 v5, 0x7f800000, v4
	v_cmpx_ne_u32_e32 0x7f800000, v5
	s_xor_b32 s5, exec_lo, s5
; %bb.138:
	v_bfe_u32 v5, v4, 16, 1
	v_add3_u32 v19, v4, v5, 0x7fff
                                        ; implicit-def: $vgpr4
; %bb.139:
	s_or_saveexec_b32 s5, s5
	s_lshl_b64 s[0:1], s[0:1], 4
	s_xor_b32 exec_lo, exec_lo, s5
; %bb.140:
	v_mov_b32_e32 v5, 0
	v_or_b32_e32 v13, 0x10000, v4
	v_cmp_eq_u32_sdwa vcc_lo, v4, v5 src0_sel:WORD_0 src1_sel:DWORD
	v_cndmask_b32_e32 v19, v13, v4, vcc_lo
; %bb.141:
	s_or_b32 exec_lo, exec_lo, s5
	s_lshl_b64 s[0:1], s[0:1], 1
	v_add_co_u32 v13, vcc_lo, v17, s0
	v_add_co_ci_u32_e64 v16, null, s1, v18, vcc_lo
	v_add_co_u32 v4, vcc_lo, v13, v0
	v_add_co_ci_u32_e64 v5, null, v16, v1, vcc_lo
	flat_store_short_d16_hi v[4:5], v19
	flat_load_ushort v17, v[2:3] offset:32
	s_waitcnt vmcnt(0) lgkmcnt(0)
	v_lshlrev_b32_e32 v17, 16, v17
	v_mul_f32_e32 v17, s8, v17
	v_and_b32_e32 v18, 0x7f800000, v17
	v_cmp_ne_u32_e32 vcc_lo, 0x7f800000, v18
                                        ; implicit-def: $vgpr18
	s_and_saveexec_b32 s5, vcc_lo
	s_xor_b32 s5, exec_lo, s5
; %bb.142:
	v_bfe_u32 v18, v17, 16, 1
	v_add3_u32 v18, v17, v18, 0x7fff
                                        ; implicit-def: $vgpr17
; %bb.143:
	s_andn2_saveexec_b32 s5, s5
; %bb.144:
	v_mov_b32_e32 v18, 0
	v_or_b32_e32 v19, 0x10000, v17
	v_cmp_eq_u32_sdwa vcc_lo, v17, v18 src0_sel:WORD_0 src1_sel:DWORD
	v_cndmask_b32_e32 v18, v19, v17, vcc_lo
; %bb.145:
	s_or_b32 exec_lo, exec_lo, s5
	v_and_b32_e32 v17, 0xffff0000, v18
	v_fmac_f32_e32 v17, s4, v12
	v_and_b32_e32 v12, 0x7f800000, v17
	v_cmp_ne_u32_e32 vcc_lo, 0x7f800000, v12
                                        ; implicit-def: $vgpr12
	s_and_saveexec_b32 s5, vcc_lo
	s_xor_b32 s5, exec_lo, s5
; %bb.146:
	v_bfe_u32 v12, v17, 16, 1
	v_add3_u32 v12, v17, v12, 0x7fff
                                        ; implicit-def: $vgpr17
; %bb.147:
	s_andn2_saveexec_b32 s5, s5
; %bb.148:
	v_mov_b32_e32 v12, 0
	v_or_b32_e32 v18, 0x10000, v17
	v_cmp_eq_u32_sdwa vcc_lo, v17, v12 src0_sel:WORD_0 src1_sel:DWORD
	v_cndmask_b32_e32 v12, v18, v17, vcc_lo
; %bb.149:
	s_or_b32 exec_lo, exec_lo, s5
	flat_store_short_d16_hi v[4:5], v12 offset:32
	flat_load_ushort v12, v[2:3] offset:64
	s_waitcnt vmcnt(0) lgkmcnt(0)
	v_lshlrev_b32_e32 v12, 16, v12
	v_mul_f32_e32 v12, s8, v12
	v_and_b32_e32 v17, 0x7f800000, v12
	v_cmp_ne_u32_e32 vcc_lo, 0x7f800000, v17
                                        ; implicit-def: $vgpr17
	s_and_saveexec_b32 s5, vcc_lo
	s_xor_b32 s5, exec_lo, s5
; %bb.150:
	v_bfe_u32 v17, v12, 16, 1
	v_add3_u32 v17, v12, v17, 0x7fff
                                        ; implicit-def: $vgpr12
; %bb.151:
	s_andn2_saveexec_b32 s5, s5
; %bb.152:
	v_mov_b32_e32 v17, 0
	v_or_b32_e32 v18, 0x10000, v12
	v_cmp_eq_u32_sdwa vcc_lo, v12, v17 src0_sel:WORD_0 src1_sel:DWORD
	v_cndmask_b32_e32 v17, v18, v12, vcc_lo
; %bb.153:
	s_or_b32 exec_lo, exec_lo, s5
	v_and_b32_e32 v12, 0xffff0000, v17
	v_fmac_f32_e32 v12, s4, v11
	v_and_b32_e32 v11, 0x7f800000, v12
	v_cmp_ne_u32_e32 vcc_lo, 0x7f800000, v11
                                        ; implicit-def: $vgpr11
	s_and_saveexec_b32 s5, vcc_lo
	s_xor_b32 s5, exec_lo, s5
; %bb.154:
	v_bfe_u32 v11, v12, 16, 1
	v_add3_u32 v11, v12, v11, 0x7fff
                                        ; implicit-def: $vgpr12
; %bb.155:
	s_andn2_saveexec_b32 s5, s5
; %bb.156:
	v_mov_b32_e32 v11, 0
	v_or_b32_e32 v17, 0x10000, v12
	v_cmp_eq_u32_sdwa vcc_lo, v12, v11 src0_sel:WORD_0 src1_sel:DWORD
	v_cndmask_b32_e32 v11, v17, v12, vcc_lo
; %bb.157:
	s_or_b32 exec_lo, exec_lo, s5
	flat_store_short_d16_hi v[4:5], v11 offset:64
	flat_load_ushort v2, v[2:3] offset:96
	s_waitcnt vmcnt(0) lgkmcnt(0)
	v_lshlrev_b32_e32 v2, 16, v2
	v_mul_f32_e32 v2, s8, v2
	v_and_b32_e32 v3, 0x7f800000, v2
	v_cmp_ne_u32_e32 vcc_lo, 0x7f800000, v3
                                        ; implicit-def: $vgpr3
	s_and_saveexec_b32 s5, vcc_lo
	s_xor_b32 s5, exec_lo, s5
; %bb.158:
	v_bfe_u32 v3, v2, 16, 1
	v_add3_u32 v3, v2, v3, 0x7fff
                                        ; implicit-def: $vgpr2
; %bb.159:
	s_andn2_saveexec_b32 s5, s5
; %bb.160:
	v_mov_b32_e32 v3, 0
	v_or_b32_e32 v11, 0x10000, v2
	v_cmp_eq_u32_sdwa vcc_lo, v2, v3 src0_sel:WORD_0 src1_sel:DWORD
	v_cndmask_b32_e32 v3, v11, v2, vcc_lo
; %bb.161:
	s_or_b32 exec_lo, exec_lo, s5
	v_and_b32_e32 v2, 0xffff0000, v3
	s_mov_b32 s5, exec_lo
	v_fmac_f32_e32 v2, s4, v10
                                        ; implicit-def: $vgpr10
	v_and_b32_e32 v3, 0x7f800000, v2
	v_cmpx_ne_u32_e32 0x7f800000, v3
	s_xor_b32 s5, exec_lo, s5
; %bb.162:
	v_bfe_u32 v3, v2, 16, 1
	v_add3_u32 v10, v2, v3, 0x7fff
                                        ; implicit-def: $vgpr2
; %bb.163:
	s_andn2_saveexec_b32 s5, s5
; %bb.164:
	v_mov_b32_e32 v3, 0
	v_or_b32_e32 v10, 0x10000, v2
	v_cmp_eq_u32_sdwa vcc_lo, v2, v3 src0_sel:WORD_0 src1_sel:DWORD
	v_cndmask_b32_e32 v10, v10, v2, vcc_lo
; %bb.165:
	s_or_b32 exec_lo, exec_lo, s5
	v_add_co_u32 v2, vcc_lo, v14, s2
	v_add_co_ci_u32_e64 v3, null, s3, v15, vcc_lo
	flat_store_short_d16_hi v[4:5], v10 offset:96
	v_add_co_u32 v2, vcc_lo, v2, v0
	v_add_co_ci_u32_e64 v3, null, v3, v1, vcc_lo
	flat_load_ushort v4, v[2:3]
	s_waitcnt vmcnt(0) lgkmcnt(0)
	v_lshlrev_b32_e32 v4, 16, v4
	v_mul_f32_e32 v4, s8, v4
	v_and_b32_e32 v5, 0x7f800000, v4
	v_cmp_ne_u32_e32 vcc_lo, 0x7f800000, v5
                                        ; implicit-def: $vgpr5
	s_and_saveexec_b32 s2, vcc_lo
	s_xor_b32 s2, exec_lo, s2
; %bb.166:
	v_bfe_u32 v5, v4, 16, 1
	v_add3_u32 v5, v4, v5, 0x7fff
                                        ; implicit-def: $vgpr4
; %bb.167:
	s_andn2_saveexec_b32 s2, s2
; %bb.168:
	v_mov_b32_e32 v5, 0
	v_or_b32_e32 v10, 0x10000, v4
	v_cmp_eq_u32_sdwa vcc_lo, v4, v5 src0_sel:WORD_0 src1_sel:DWORD
	v_cndmask_b32_e32 v5, v10, v4, vcc_lo
; %bb.169:
	s_or_b32 exec_lo, exec_lo, s2
	v_and_b32_e32 v5, 0xffff0000, v5
	v_fmac_f32_e32 v5, s4, v9
	v_and_b32_e32 v4, 0x7f800000, v5
	v_cmp_ne_u32_e32 vcc_lo, 0x7f800000, v4
                                        ; implicit-def: $vgpr4
	s_and_saveexec_b32 s2, vcc_lo
	s_xor_b32 s2, exec_lo, s2
; %bb.170:
	v_bfe_u32 v4, v5, 16, 1
	v_add3_u32 v4, v5, v4, 0x7fff
                                        ; implicit-def: $vgpr5
; %bb.171:
	s_andn2_saveexec_b32 s2, s2
; %bb.172:
	v_mov_b32_e32 v4, 0
	v_or_b32_e32 v9, 0x10000, v5
	v_cmp_eq_u32_sdwa vcc_lo, v5, v4 src0_sel:WORD_0 src1_sel:DWORD
	v_cndmask_b32_e32 v4, v9, v5, vcc_lo
; %bb.173:
	s_or_b32 exec_lo, exec_lo, s2
	v_add_co_u32 v5, vcc_lo, v13, s0
	v_add_co_ci_u32_e64 v9, null, s1, v16, vcc_lo
	v_add_co_u32 v0, vcc_lo, v5, v0
	v_add_co_ci_u32_e64 v1, null, v9, v1, vcc_lo
	flat_store_short_d16_hi v[0:1], v4
	flat_load_ushort v4, v[2:3] offset:32
	s_waitcnt vmcnt(0) lgkmcnt(0)
	v_lshlrev_b32_e32 v4, 16, v4
	v_mul_f32_e32 v4, s8, v4
	v_and_b32_e32 v5, 0x7f800000, v4
	v_cmp_ne_u32_e32 vcc_lo, 0x7f800000, v5
                                        ; implicit-def: $vgpr5
	s_and_saveexec_b32 s0, vcc_lo
	s_xor_b32 s0, exec_lo, s0
; %bb.174:
	v_bfe_u32 v5, v4, 16, 1
	v_add3_u32 v5, v4, v5, 0x7fff
                                        ; implicit-def: $vgpr4
; %bb.175:
	s_andn2_saveexec_b32 s0, s0
; %bb.176:
	v_mov_b32_e32 v5, 0
	v_or_b32_e32 v9, 0x10000, v4
	v_cmp_eq_u32_sdwa vcc_lo, v4, v5 src0_sel:WORD_0 src1_sel:DWORD
	v_cndmask_b32_e32 v5, v9, v4, vcc_lo
; %bb.177:
	s_or_b32 exec_lo, exec_lo, s0
	v_and_b32_e32 v4, 0xffff0000, v5
	v_fmac_f32_e32 v4, s4, v8
	v_and_b32_e32 v5, 0x7f800000, v4
	v_cmp_ne_u32_e32 vcc_lo, 0x7f800000, v5
                                        ; implicit-def: $vgpr5
	s_and_saveexec_b32 s0, vcc_lo
	s_xor_b32 s0, exec_lo, s0
; %bb.178:
	v_bfe_u32 v5, v4, 16, 1
	v_add3_u32 v5, v4, v5, 0x7fff
                                        ; implicit-def: $vgpr4
; %bb.179:
	s_andn2_saveexec_b32 s0, s0
; %bb.180:
	v_mov_b32_e32 v5, 0
	v_or_b32_e32 v8, 0x10000, v4
	v_cmp_eq_u32_sdwa vcc_lo, v4, v5 src0_sel:WORD_0 src1_sel:DWORD
	v_cndmask_b32_e32 v5, v8, v4, vcc_lo
; %bb.181:
	s_or_b32 exec_lo, exec_lo, s0
	flat_store_short_d16_hi v[0:1], v5 offset:32
	flat_load_ushort v4, v[2:3] offset:64
	s_waitcnt vmcnt(0) lgkmcnt(0)
	v_lshlrev_b32_e32 v4, 16, v4
	v_mul_f32_e32 v4, s8, v4
	v_and_b32_e32 v5, 0x7f800000, v4
	v_cmp_ne_u32_e32 vcc_lo, 0x7f800000, v5
                                        ; implicit-def: $vgpr5
	s_and_saveexec_b32 s0, vcc_lo
	s_xor_b32 s0, exec_lo, s0
; %bb.182:
	v_bfe_u32 v5, v4, 16, 1
	v_add3_u32 v5, v4, v5, 0x7fff
                                        ; implicit-def: $vgpr4
; %bb.183:
	s_andn2_saveexec_b32 s0, s0
; %bb.184:
	v_mov_b32_e32 v5, 0
	v_or_b32_e32 v8, 0x10000, v4
	v_cmp_eq_u32_sdwa vcc_lo, v4, v5 src0_sel:WORD_0 src1_sel:DWORD
	v_cndmask_b32_e32 v5, v8, v4, vcc_lo
; %bb.185:
	s_or_b32 exec_lo, exec_lo, s0
	v_and_b32_e32 v4, 0xffff0000, v5
	v_fmac_f32_e32 v4, s4, v7
	v_and_b32_e32 v5, 0x7f800000, v4
	v_cmp_ne_u32_e32 vcc_lo, 0x7f800000, v5
                                        ; implicit-def: $vgpr5
	s_and_saveexec_b32 s0, vcc_lo
	s_xor_b32 s0, exec_lo, s0
; %bb.186:
	v_bfe_u32 v5, v4, 16, 1
	v_add3_u32 v5, v4, v5, 0x7fff
                                        ; implicit-def: $vgpr4
; %bb.187:
	s_andn2_saveexec_b32 s0, s0
; %bb.188:
	v_mov_b32_e32 v5, 0
	v_or_b32_e32 v7, 0x10000, v4
	v_cmp_eq_u32_sdwa vcc_lo, v4, v5 src0_sel:WORD_0 src1_sel:DWORD
	v_cndmask_b32_e32 v5, v7, v4, vcc_lo
; %bb.189:
	s_or_b32 exec_lo, exec_lo, s0
	flat_store_short_d16_hi v[0:1], v5 offset:64
	flat_load_ushort v2, v[2:3] offset:96
	s_waitcnt vmcnt(0) lgkmcnt(0)
	v_lshlrev_b32_e32 v2, 16, v2
	v_mul_f32_e32 v2, s8, v2
	v_and_b32_e32 v3, 0x7f800000, v2
	v_cmp_ne_u32_e32 vcc_lo, 0x7f800000, v3
                                        ; implicit-def: $vgpr3
	s_and_saveexec_b32 s0, vcc_lo
	s_xor_b32 s0, exec_lo, s0
; %bb.190:
	v_bfe_u32 v3, v2, 16, 1
	v_add3_u32 v3, v2, v3, 0x7fff
                                        ; implicit-def: $vgpr2
; %bb.191:
	s_andn2_saveexec_b32 s0, s0
; %bb.192:
	v_mov_b32_e32 v3, 0
	v_or_b32_e32 v4, 0x10000, v2
	v_cmp_eq_u32_sdwa vcc_lo, v2, v3 src0_sel:WORD_0 src1_sel:DWORD
	v_cndmask_b32_e32 v3, v4, v2, vcc_lo
; %bb.193:
	s_or_b32 exec_lo, exec_lo, s0
	v_and_b32_e32 v2, 0xffff0000, v3
	v_fmac_f32_e32 v2, s4, v6
	v_and_b32_e32 v3, 0x7f800000, v2
	v_cmp_ne_u32_e32 vcc_lo, 0x7f800000, v3
                                        ; implicit-def: $vgpr3
	s_and_saveexec_b32 s0, vcc_lo
	s_xor_b32 s0, exec_lo, s0
	s_cbranch_execnz .LBB147_198
; %bb.194:
	s_andn2_saveexec_b32 s0, s0
	s_cbranch_execnz .LBB147_199
.LBB147_195:
	s_or_b32 exec_lo, exec_lo, s0
	flat_store_short_d16_hi v[0:1], v3 offset:96
	s_endpgm
.LBB147_196:
	s_cbranch_execnz .LBB147_69
.LBB147_197:
	s_endpgm
.LBB147_198:
	v_bfe_u32 v3, v2, 16, 1
	v_add3_u32 v3, v2, v3, 0x7fff
                                        ; implicit-def: $vgpr2
	s_andn2_saveexec_b32 s0, s0
	s_cbranch_execz .LBB147_195
.LBB147_199:
	v_mov_b32_e32 v3, 0
	v_or_b32_e32 v4, 0x10000, v2
	v_cmp_eq_u32_sdwa vcc_lo, v2, v3 src0_sel:WORD_0 src1_sel:DWORD
	v_cndmask_b32_e32 v3, v4, v2, vcc_lo
	s_or_b32 exec_lo, exec_lo, s0
	flat_store_short_d16_hi v[0:1], v3 offset:96
	s_endpgm
	.section	.rodata,"a",@progbits
	.p2align	6, 0x0
	.amdhsa_kernel _ZN12_GLOBAL__N_127rocblas_gemm_batched_kernelIfLi16ELi16ELi64ELi64ELi4ELi64ELi4ELi4ELi64ELc78ELc67EKPK16rocblas_bfloat16S4_KPS1_EEvlllT_PT11_llS9_llS7_PT12_llPT13_lli
		.amdhsa_group_segment_fixed_size 2048
		.amdhsa_private_segment_fixed_size 0
		.amdhsa_kernarg_size 140
		.amdhsa_user_sgpr_count 6
		.amdhsa_user_sgpr_private_segment_buffer 1
		.amdhsa_user_sgpr_dispatch_ptr 0
		.amdhsa_user_sgpr_queue_ptr 0
		.amdhsa_user_sgpr_kernarg_segment_ptr 1
		.amdhsa_user_sgpr_dispatch_id 0
		.amdhsa_user_sgpr_flat_scratch_init 0
		.amdhsa_user_sgpr_private_segment_size 0
		.amdhsa_wavefront_size32 1
		.amdhsa_uses_dynamic_stack 0
		.amdhsa_system_sgpr_private_segment_wavefront_offset 0
		.amdhsa_system_sgpr_workgroup_id_x 1
		.amdhsa_system_sgpr_workgroup_id_y 1
		.amdhsa_system_sgpr_workgroup_id_z 1
		.amdhsa_system_sgpr_workgroup_info 0
		.amdhsa_system_vgpr_workitem_id 1
		.amdhsa_next_free_vgpr 58
		.amdhsa_next_free_sgpr 36
		.amdhsa_reserve_vcc 1
		.amdhsa_reserve_flat_scratch 0
		.amdhsa_float_round_mode_32 0
		.amdhsa_float_round_mode_16_64 0
		.amdhsa_float_denorm_mode_32 3
		.amdhsa_float_denorm_mode_16_64 3
		.amdhsa_dx10_clamp 1
		.amdhsa_ieee_mode 1
		.amdhsa_fp16_overflow 0
		.amdhsa_workgroup_processor_mode 1
		.amdhsa_memory_ordered 1
		.amdhsa_forward_progress 1
		.amdhsa_shared_vgpr_count 0
		.amdhsa_exception_fp_ieee_invalid_op 0
		.amdhsa_exception_fp_denorm_src 0
		.amdhsa_exception_fp_ieee_div_zero 0
		.amdhsa_exception_fp_ieee_overflow 0
		.amdhsa_exception_fp_ieee_underflow 0
		.amdhsa_exception_fp_ieee_inexact 0
		.amdhsa_exception_int_div_zero 0
	.end_amdhsa_kernel
	.section	.text._ZN12_GLOBAL__N_127rocblas_gemm_batched_kernelIfLi16ELi16ELi64ELi64ELi4ELi64ELi4ELi4ELi64ELc78ELc67EKPK16rocblas_bfloat16S4_KPS1_EEvlllT_PT11_llS9_llS7_PT12_llPT13_lli,"axG",@progbits,_ZN12_GLOBAL__N_127rocblas_gemm_batched_kernelIfLi16ELi16ELi64ELi64ELi4ELi64ELi4ELi4ELi64ELc78ELc67EKPK16rocblas_bfloat16S4_KPS1_EEvlllT_PT11_llS9_llS7_PT12_llPT13_lli,comdat
.Lfunc_end147:
	.size	_ZN12_GLOBAL__N_127rocblas_gemm_batched_kernelIfLi16ELi16ELi64ELi64ELi4ELi64ELi4ELi4ELi64ELc78ELc67EKPK16rocblas_bfloat16S4_KPS1_EEvlllT_PT11_llS9_llS7_PT12_llPT13_lli, .Lfunc_end147-_ZN12_GLOBAL__N_127rocblas_gemm_batched_kernelIfLi16ELi16ELi64ELi64ELi4ELi64ELi4ELi4ELi64ELc78ELc67EKPK16rocblas_bfloat16S4_KPS1_EEvlllT_PT11_llS9_llS7_PT12_llPT13_lli
                                        ; -- End function
	.set _ZN12_GLOBAL__N_127rocblas_gemm_batched_kernelIfLi16ELi16ELi64ELi64ELi4ELi64ELi4ELi4ELi64ELc78ELc67EKPK16rocblas_bfloat16S4_KPS1_EEvlllT_PT11_llS9_llS7_PT12_llPT13_lli.num_vgpr, 58
	.set _ZN12_GLOBAL__N_127rocblas_gemm_batched_kernelIfLi16ELi16ELi64ELi64ELi4ELi64ELi4ELi4ELi64ELc78ELc67EKPK16rocblas_bfloat16S4_KPS1_EEvlllT_PT11_llS9_llS7_PT12_llPT13_lli.num_agpr, 0
	.set _ZN12_GLOBAL__N_127rocblas_gemm_batched_kernelIfLi16ELi16ELi64ELi64ELi4ELi64ELi4ELi4ELi64ELc78ELc67EKPK16rocblas_bfloat16S4_KPS1_EEvlllT_PT11_llS9_llS7_PT12_llPT13_lli.numbered_sgpr, 36
	.set _ZN12_GLOBAL__N_127rocblas_gemm_batched_kernelIfLi16ELi16ELi64ELi64ELi4ELi64ELi4ELi4ELi64ELc78ELc67EKPK16rocblas_bfloat16S4_KPS1_EEvlllT_PT11_llS9_llS7_PT12_llPT13_lli.num_named_barrier, 0
	.set _ZN12_GLOBAL__N_127rocblas_gemm_batched_kernelIfLi16ELi16ELi64ELi64ELi4ELi64ELi4ELi4ELi64ELc78ELc67EKPK16rocblas_bfloat16S4_KPS1_EEvlllT_PT11_llS9_llS7_PT12_llPT13_lli.private_seg_size, 0
	.set _ZN12_GLOBAL__N_127rocblas_gemm_batched_kernelIfLi16ELi16ELi64ELi64ELi4ELi64ELi4ELi4ELi64ELc78ELc67EKPK16rocblas_bfloat16S4_KPS1_EEvlllT_PT11_llS9_llS7_PT12_llPT13_lli.uses_vcc, 1
	.set _ZN12_GLOBAL__N_127rocblas_gemm_batched_kernelIfLi16ELi16ELi64ELi64ELi4ELi64ELi4ELi4ELi64ELc78ELc67EKPK16rocblas_bfloat16S4_KPS1_EEvlllT_PT11_llS9_llS7_PT12_llPT13_lli.uses_flat_scratch, 0
	.set _ZN12_GLOBAL__N_127rocblas_gemm_batched_kernelIfLi16ELi16ELi64ELi64ELi4ELi64ELi4ELi4ELi64ELc78ELc67EKPK16rocblas_bfloat16S4_KPS1_EEvlllT_PT11_llS9_llS7_PT12_llPT13_lli.has_dyn_sized_stack, 0
	.set _ZN12_GLOBAL__N_127rocblas_gemm_batched_kernelIfLi16ELi16ELi64ELi64ELi4ELi64ELi4ELi4ELi64ELc78ELc67EKPK16rocblas_bfloat16S4_KPS1_EEvlllT_PT11_llS9_llS7_PT12_llPT13_lli.has_recursion, 0
	.set _ZN12_GLOBAL__N_127rocblas_gemm_batched_kernelIfLi16ELi16ELi64ELi64ELi4ELi64ELi4ELi4ELi64ELc78ELc67EKPK16rocblas_bfloat16S4_KPS1_EEvlllT_PT11_llS9_llS7_PT12_llPT13_lli.has_indirect_call, 0
	.section	.AMDGPU.csdata,"",@progbits
; Kernel info:
; codeLenInByte = 6192
; TotalNumSgprs: 38
; NumVgprs: 58
; ScratchSize: 0
; MemoryBound: 0
; FloatMode: 240
; IeeeMode: 1
; LDSByteSize: 2048 bytes/workgroup (compile time only)
; SGPRBlocks: 0
; VGPRBlocks: 7
; NumSGPRsForWavesPerEU: 38
; NumVGPRsForWavesPerEU: 58
; Occupancy: 16
; WaveLimiterHint : 1
; COMPUTE_PGM_RSRC2:SCRATCH_EN: 0
; COMPUTE_PGM_RSRC2:USER_SGPR: 6
; COMPUTE_PGM_RSRC2:TRAP_HANDLER: 0
; COMPUTE_PGM_RSRC2:TGID_X_EN: 1
; COMPUTE_PGM_RSRC2:TGID_Y_EN: 1
; COMPUTE_PGM_RSRC2:TGID_Z_EN: 1
; COMPUTE_PGM_RSRC2:TIDIG_COMP_CNT: 1
	.section	.text._ZN12_GLOBAL__N_127rocblas_gemm_batched_kernelIfLi16ELi16ELi64ELi64ELi4ELi64ELi4ELi4ELi64ELc84ELc67EKPK16rocblas_bfloat16S4_KPS1_EEvlllT_PT11_llS9_llS7_PT12_llPT13_lli,"axG",@progbits,_ZN12_GLOBAL__N_127rocblas_gemm_batched_kernelIfLi16ELi16ELi64ELi64ELi4ELi64ELi4ELi4ELi64ELc84ELc67EKPK16rocblas_bfloat16S4_KPS1_EEvlllT_PT11_llS9_llS7_PT12_llPT13_lli,comdat
	.globl	_ZN12_GLOBAL__N_127rocblas_gemm_batched_kernelIfLi16ELi16ELi64ELi64ELi4ELi64ELi4ELi4ELi64ELc84ELc67EKPK16rocblas_bfloat16S4_KPS1_EEvlllT_PT11_llS9_llS7_PT12_llPT13_lli ; -- Begin function _ZN12_GLOBAL__N_127rocblas_gemm_batched_kernelIfLi16ELi16ELi64ELi64ELi4ELi64ELi4ELi4ELi64ELc84ELc67EKPK16rocblas_bfloat16S4_KPS1_EEvlllT_PT11_llS9_llS7_PT12_llPT13_lli
	.p2align	8
	.type	_ZN12_GLOBAL__N_127rocblas_gemm_batched_kernelIfLi16ELi16ELi64ELi64ELi4ELi64ELi4ELi4ELi64ELc84ELc67EKPK16rocblas_bfloat16S4_KPS1_EEvlllT_PT11_llS9_llS7_PT12_llPT13_lli,@function
_ZN12_GLOBAL__N_127rocblas_gemm_batched_kernelIfLi16ELi16ELi64ELi64ELi4ELi64ELi4ELi4ELi64ELc84ELc67EKPK16rocblas_bfloat16S4_KPS1_EEvlllT_PT11_llS9_llS7_PT12_llPT13_lli: ; @_ZN12_GLOBAL__N_127rocblas_gemm_batched_kernelIfLi16ELi16ELi64ELi64ELi4ELi64ELi4ELi4ELi64ELc84ELc67EKPK16rocblas_bfloat16S4_KPS1_EEvlllT_PT11_llS9_llS7_PT12_llPT13_lli
; %bb.0:
	s_clause 0x1
	s_load_dwordx8 s[12:19], s[4:5], 0x58
	s_load_dwordx2 s[28:29], s[4:5], 0x10
	s_mov_b32 s9, 0
	s_load_dwordx4 s[0:3], s[4:5], 0x78
	s_lshl_b64 s[34:35], s[8:9], 3
	s_mov_b32 s10, s7
	v_mov_b32_e32 v21, 0
	v_mov_b32_e32 v20, 0
	;; [unrolled: 1-line block ×14, first 2 shown]
	s_waitcnt lgkmcnt(0)
	s_add_u32 s8, s12, s34
	s_addc_u32 s9, s13, s35
	s_add_u32 s18, s18, s34
	s_addc_u32 s19, s19, s35
	s_load_dwordx2 s[12:13], s[8:9], 0x0
	s_load_dwordx2 s[18:19], s[18:19], 0x0
	v_cmp_lt_i64_e64 s20, s[28:29], 1
	v_mov_b32_e32 v7, 0
	v_mov_b32_e32 v6, 0
	s_ashr_i32 s7, s6, 31
	s_ashr_i32 s11, s10, 31
	s_lshl_b64 s[6:7], s[6:7], 6
	s_and_b32 vcc_lo, exec_lo, s20
	s_lshl_b64 s[30:31], s[10:11], 6
	s_cbranch_vccnz .LBB148_3
; %bb.1:
	v_lshlrev_b32_e32 v9, 4, v1
	s_clause 0x1
	s_load_dwordx8 s[20:27], s[4:5], 0x20
	s_load_dwordx4 s[8:11], s[4:5], 0x40
	v_and_b32_e32 v10, 3, v0
	v_mov_b32_e32 v6, 0
	v_lshlrev_b32_e32 v22, 2, v0
	v_add_nc_u32_e32 v7, v9, v0
	v_add_nc_u32_e32 v25, 0x400, v9
	v_lshlrev_b32_e32 v12, 2, v10
	v_mov_b32_e32 v9, 0
	v_mov_b32_e32 v16, 0
	v_lshrrev_b32_e32 v8, 2, v7
	v_and_b32_e32 v11, 63, v7
	v_lshrrev_b32_e32 v15, 6, v7
	v_mov_b32_e32 v17, 0
	v_mov_b32_e32 v18, 0
	v_add_co_u32 v2, s33, v8, s30
	v_add_co_ci_u32_e64 v3, null, 0, s31, s33
	v_add_co_u32 v4, s33, s6, v11
	v_add_co_ci_u32_e64 v5, null, s7, 0, s33
	s_waitcnt lgkmcnt(0)
	v_mad_u64_u32 v[2:3], null, s8, v10, v[2:3]
	v_mul_lo_u32 v13, s23, v4
	v_mul_lo_u32 v14, s22, v5
	v_mad_u64_u32 v[4:5], null, s22, v4, 0
	s_add_u32 s20, s20, s34
	s_addc_u32 s21, s21, s35
	s_add_u32 s22, s26, s34
	s_addc_u32 s23, s27, s35
	s_load_dwordx2 s[20:21], s[20:21], 0x0
	s_load_dwordx2 s[22:23], s[22:23], 0x0
	v_add3_u32 v5, v5, v14, v13
	v_lshl_or_b32 v12, v8, 4, v12
	v_mad_u64_u32 v[7:8], null, s9, v10, v[3:4]
	s_lshl_b64 s[24:25], s[24:25], 1
	v_lshlrev_b64 v[4:5], 1, v[4:5]
	s_lshl_b64 s[10:11], s[10:11], 1
	v_lshlrev_b32_e32 v11, 2, v11
	v_add_nc_u32_e32 v24, 0x400, v12
	v_mov_b32_e32 v10, 0
	v_mov_b32_e32 v3, v7
	v_lshlrev_b32_e32 v7, 1, v15
	v_add_co_u32 v4, vcc_lo, v4, s24
	v_add_co_ci_u32_e64 v5, null, s25, v5, vcc_lo
	v_lshl_or_b32 v23, v15, 8, v11
	v_add_co_u32 v7, vcc_lo, v4, v7
	v_add_co_ci_u32_e64 v8, null, 0, v5, vcc_lo
	v_lshlrev_b64 v[4:5], 1, v[2:3]
	s_waitcnt lgkmcnt(0)
	v_add_co_u32 v2, vcc_lo, s20, v7
	s_add_u32 s10, s22, s10
	v_add_co_ci_u32_e64 v3, null, s21, v8, vcc_lo
	s_addc_u32 s11, s23, s11
	v_add_co_u32 v4, vcc_lo, s10, v4
	v_add_co_ci_u32_e64 v5, null, s11, v5, vcc_lo
	v_mov_b32_e32 v7, 0
	v_mov_b32_e32 v8, 0
	;; [unrolled: 1-line block ×10, first 2 shown]
	s_lshl_b64 s[8:9], s[8:9], 3
	s_mov_b64 s[10:11], 0
.LBB148_2:                              ; =>This Inner Loop Header: Depth=1
	flat_load_ushort v26, v[2:3]
	flat_load_ushort v27, v[4:5]
	s_add_u32 s10, s10, 4
	s_addc_u32 s11, s11, 0
	v_add_co_u32 v2, vcc_lo, v2, 8
	v_cmp_lt_i64_e64 s20, s[10:11], s[28:29]
	v_add_co_ci_u32_e64 v3, null, 0, v3, vcc_lo
	v_add_co_u32 v4, vcc_lo, v4, s8
	v_add_co_ci_u32_e64 v5, null, s9, v5, vcc_lo
	s_and_b32 vcc_lo, exec_lo, s20
	s_waitcnt vmcnt(1) lgkmcnt(1)
	v_lshlrev_b32_e32 v26, 16, v26
	s_waitcnt vmcnt(0) lgkmcnt(0)
	v_lshlrev_b32_e32 v27, 16, v27
	ds_write_b32 v23, v26
	ds_write_b32 v24, v27
	s_waitcnt lgkmcnt(0)
	s_barrier
	buffer_gl0_inv
	ds_read_b128 v[26:29], v25
	ds_read2_b32 v[42:43], v22 offset1:16
	ds_read2_b32 v[44:45], v22 offset0:32 offset1:48
	ds_read_b128 v[30:33], v25 offset:256
	ds_read_b128 v[34:37], v25 offset:512
	ds_read_b128 v[38:41], v25 offset:768
	ds_read2_b32 v[46:47], v22 offset0:64 offset1:80
	ds_read2_b32 v[48:49], v22 offset0:96 offset1:112
	ds_read2_b32 v[50:51], v22 offset0:128 offset1:144
	ds_read2_b32 v[52:53], v22 offset0:160 offset1:176
	ds_read2_b32 v[54:55], v22 offset0:192 offset1:208
	ds_read2_b32 v[56:57], v22 offset0:224 offset1:240
	s_waitcnt lgkmcnt(0)
	s_barrier
	buffer_gl0_inv
	v_fmac_f32_e32 v21, v42, v26
	v_fmac_f32_e32 v20, v43, v26
	;; [unrolled: 1-line block ×64, first 2 shown]
	s_cbranch_vccnz .LBB148_2
.LBB148_3:
	s_clause 0x1
	s_load_dword s8, s[4:5], 0x50
	s_load_dword s4, s[4:5], 0x18
	s_lshl_b64 s[2:3], s[2:3], 1
	s_waitcnt lgkmcnt(0)
	s_add_u32 s5, s18, s2
	v_add_co_u32 v22, s2, s30, v1
	s_addc_u32 s9, s19, s3
	v_add_co_ci_u32_e64 v23, null, s31, 0, s2
	v_add_co_u32 v0, s3, s6, v0
	v_add_co_ci_u32_e64 v1, null, s7, 0, s3
	v_cmp_neq_f32_e64 s2, s8, 0
	s_and_b32 vcc_lo, exec_lo, s2
	s_cbranch_vccnz .LBB148_196
; %bb.4:
	v_mul_f32_e32 v2, s4, v21
	s_mov_b32 s2, exec_lo
                                        ; implicit-def: $vgpr26
	v_and_b32_e32 v3, 0x7f800000, v2
	v_cmpx_ne_u32_e32 0x7f800000, v3
	s_xor_b32 s2, exec_lo, s2
; %bb.5:
	v_bfe_u32 v3, v2, 16, 1
	v_add3_u32 v26, v2, v3, 0x7fff
                                        ; implicit-def: $vgpr2
; %bb.6:
	s_andn2_saveexec_b32 s2, s2
; %bb.7:
	v_mov_b32_e32 v3, 0
	v_or_b32_e32 v4, 0x10000, v2
	v_cmp_eq_u32_sdwa vcc_lo, v2, v3 src0_sel:WORD_0 src1_sel:DWORD
	v_cndmask_b32_e32 v26, v4, v2, vcc_lo
; %bb.8:
	s_or_b32 exec_lo, exec_lo, s2
	v_mul_lo_u32 v4, v23, s0
	v_mul_lo_u32 v5, v22, s1
	v_mad_u64_u32 v[2:3], null, v22, s0, 0
	v_mul_f32_e32 v27, s4, v20
	v_and_b32_e32 v28, 0x7f800000, v27
	v_add3_u32 v3, v3, v5, v4
	v_lshlrev_b64 v[4:5], 1, v[2:3]
	v_lshlrev_b64 v[2:3], 1, v[0:1]
	v_add_co_u32 v24, vcc_lo, s5, v4
	v_add_co_ci_u32_e64 v25, null, s9, v5, vcc_lo
	v_add_co_u32 v4, vcc_lo, v24, v2
	v_add_co_ci_u32_e64 v5, null, v25, v3, vcc_lo
	v_cmp_ne_u32_e32 vcc_lo, 0x7f800000, v28
                                        ; implicit-def: $vgpr28
	flat_store_short_d16_hi v[4:5], v26
	s_and_saveexec_b32 s2, vcc_lo
	s_xor_b32 s2, exec_lo, s2
; %bb.9:
	v_bfe_u32 v26, v27, 16, 1
	v_add3_u32 v28, v27, v26, 0x7fff
                                        ; implicit-def: $vgpr27
; %bb.10:
	s_andn2_saveexec_b32 s2, s2
; %bb.11:
	v_mov_b32_e32 v26, 0
	v_or_b32_e32 v28, 0x10000, v27
	v_cmp_eq_u32_sdwa vcc_lo, v27, v26 src0_sel:WORD_0 src1_sel:DWORD
	v_cndmask_b32_e32 v28, v28, v27, vcc_lo
; %bb.12:
	s_or_b32 exec_lo, exec_lo, s2
	v_mul_f32_e32 v26, s4, v19
	flat_store_short_d16_hi v[4:5], v28 offset:32
	v_and_b32_e32 v27, 0x7f800000, v26
	v_cmp_ne_u32_e32 vcc_lo, 0x7f800000, v27
                                        ; implicit-def: $vgpr27
	s_and_saveexec_b32 s2, vcc_lo
	s_xor_b32 s2, exec_lo, s2
; %bb.13:
	v_bfe_u32 v27, v26, 16, 1
	v_add3_u32 v27, v26, v27, 0x7fff
                                        ; implicit-def: $vgpr26
; %bb.14:
	s_andn2_saveexec_b32 s2, s2
; %bb.15:
	v_mov_b32_e32 v27, 0
	v_or_b32_e32 v28, 0x10000, v26
	v_cmp_eq_u32_sdwa vcc_lo, v26, v27 src0_sel:WORD_0 src1_sel:DWORD
	v_cndmask_b32_e32 v27, v28, v26, vcc_lo
; %bb.16:
	s_or_b32 exec_lo, exec_lo, s2
	v_mul_f32_e32 v26, s4, v18
	flat_store_short_d16_hi v[4:5], v27 offset:64
	v_and_b32_e32 v28, 0x7f800000, v26
	v_cmp_ne_u32_e32 vcc_lo, 0x7f800000, v28
                                        ; implicit-def: $vgpr28
	s_and_saveexec_b32 s2, vcc_lo
	s_xor_b32 s2, exec_lo, s2
; %bb.17:
	v_bfe_u32 v27, v26, 16, 1
	v_add3_u32 v28, v26, v27, 0x7fff
                                        ; implicit-def: $vgpr26
; %bb.18:
	s_andn2_saveexec_b32 s2, s2
; %bb.19:
	v_mov_b32_e32 v27, 0
	v_or_b32_e32 v28, 0x10000, v26
	v_cmp_eq_u32_sdwa vcc_lo, v26, v27 src0_sel:WORD_0 src1_sel:DWORD
	v_cndmask_b32_e32 v28, v28, v26, vcc_lo
; %bb.20:
	s_or_b32 exec_lo, exec_lo, s2
	v_mul_f32_e32 v27, s4, v17
	flat_store_short_d16_hi v[4:5], v28 offset:96
	v_and_b32_e32 v26, 0x7f800000, v27
	v_cmp_ne_u32_e32 vcc_lo, 0x7f800000, v26
                                        ; implicit-def: $vgpr26
	s_and_saveexec_b32 s2, vcc_lo
	s_xor_b32 s2, exec_lo, s2
; %bb.21:
	v_bfe_u32 v4, v27, 16, 1
	v_add3_u32 v26, v27, v4, 0x7fff
                                        ; implicit-def: $vgpr27
; %bb.22:
	s_andn2_saveexec_b32 s2, s2
; %bb.23:
	v_mov_b32_e32 v4, 0
	v_or_b32_e32 v5, 0x10000, v27
	v_cmp_eq_u32_sdwa vcc_lo, v27, v4 src0_sel:WORD_0 src1_sel:DWORD
	v_cndmask_b32_e32 v26, v5, v27, vcc_lo
; %bb.24:
	s_or_b32 exec_lo, exec_lo, s2
	v_mul_f32_e32 v27, s4, v16
	s_lshl_b64 s[2:3], s[0:1], 5
	v_add_co_u32 v24, vcc_lo, v24, s2
	v_add_co_ci_u32_e64 v25, null, s3, v25, vcc_lo
	v_and_b32_e32 v28, 0x7f800000, v27
	v_add_co_u32 v4, vcc_lo, v24, v2
	v_add_co_ci_u32_e64 v5, null, v25, v3, vcc_lo
	v_cmp_ne_u32_e32 vcc_lo, 0x7f800000, v28
                                        ; implicit-def: $vgpr28
	flat_store_short_d16_hi v[4:5], v26
	s_and_saveexec_b32 s2, vcc_lo
	s_xor_b32 s2, exec_lo, s2
; %bb.25:
	v_bfe_u32 v26, v27, 16, 1
	v_add3_u32 v28, v27, v26, 0x7fff
                                        ; implicit-def: $vgpr27
; %bb.26:
	s_andn2_saveexec_b32 s2, s2
; %bb.27:
	v_mov_b32_e32 v26, 0
	v_or_b32_e32 v28, 0x10000, v27
	v_cmp_eq_u32_sdwa vcc_lo, v27, v26 src0_sel:WORD_0 src1_sel:DWORD
	v_cndmask_b32_e32 v28, v28, v27, vcc_lo
; %bb.28:
	s_or_b32 exec_lo, exec_lo, s2
	v_mul_f32_e32 v26, s4, v15
	flat_store_short_d16_hi v[4:5], v28 offset:32
	v_and_b32_e32 v27, 0x7f800000, v26
	v_cmp_ne_u32_e32 vcc_lo, 0x7f800000, v27
                                        ; implicit-def: $vgpr27
	s_and_saveexec_b32 s2, vcc_lo
	s_xor_b32 s2, exec_lo, s2
; %bb.29:
	v_bfe_u32 v27, v26, 16, 1
	v_add3_u32 v27, v26, v27, 0x7fff
                                        ; implicit-def: $vgpr26
; %bb.30:
	s_andn2_saveexec_b32 s2, s2
; %bb.31:
	v_mov_b32_e32 v27, 0
	v_or_b32_e32 v28, 0x10000, v26
	v_cmp_eq_u32_sdwa vcc_lo, v26, v27 src0_sel:WORD_0 src1_sel:DWORD
	v_cndmask_b32_e32 v27, v28, v26, vcc_lo
; %bb.32:
	s_or_b32 exec_lo, exec_lo, s2
	v_mul_f32_e32 v26, s4, v14
	flat_store_short_d16_hi v[4:5], v27 offset:64
	v_and_b32_e32 v28, 0x7f800000, v26
	v_cmp_ne_u32_e32 vcc_lo, 0x7f800000, v28
                                        ; implicit-def: $vgpr28
	s_and_saveexec_b32 s2, vcc_lo
	s_xor_b32 s2, exec_lo, s2
; %bb.33:
	v_bfe_u32 v27, v26, 16, 1
	v_add3_u32 v28, v26, v27, 0x7fff
                                        ; implicit-def: $vgpr26
; %bb.34:
	s_andn2_saveexec_b32 s2, s2
; %bb.35:
	v_mov_b32_e32 v27, 0
	v_or_b32_e32 v28, 0x10000, v26
	v_cmp_eq_u32_sdwa vcc_lo, v26, v27 src0_sel:WORD_0 src1_sel:DWORD
	v_cndmask_b32_e32 v28, v28, v26, vcc_lo
; %bb.36:
	s_or_b32 exec_lo, exec_lo, s2
	v_mul_f32_e32 v27, s4, v13
	flat_store_short_d16_hi v[4:5], v28 offset:96
	v_and_b32_e32 v26, 0x7f800000, v27
	v_cmp_ne_u32_e32 vcc_lo, 0x7f800000, v26
                                        ; implicit-def: $vgpr26
	s_and_saveexec_b32 s2, vcc_lo
	s_xor_b32 s2, exec_lo, s2
; %bb.37:
	v_bfe_u32 v4, v27, 16, 1
	v_add3_u32 v26, v27, v4, 0x7fff
                                        ; implicit-def: $vgpr27
; %bb.38:
	s_or_saveexec_b32 s6, s2
	s_lshl_b64 s[2:3], s[0:1], 4
	s_xor_b32 exec_lo, exec_lo, s6
; %bb.39:
	v_mov_b32_e32 v4, 0
	v_or_b32_e32 v5, 0x10000, v27
	v_cmp_eq_u32_sdwa vcc_lo, v27, v4 src0_sel:WORD_0 src1_sel:DWORD
	v_cndmask_b32_e32 v26, v5, v27, vcc_lo
; %bb.40:
	s_or_b32 exec_lo, exec_lo, s6
	v_mul_f32_e32 v27, s4, v12
	s_lshl_b64 s[2:3], s[2:3], 1
	v_add_co_u32 v24, vcc_lo, v24, s2
	v_add_co_ci_u32_e64 v25, null, s3, v25, vcc_lo
	v_and_b32_e32 v28, 0x7f800000, v27
	v_add_co_u32 v4, vcc_lo, v24, v2
	v_add_co_ci_u32_e64 v5, null, v25, v3, vcc_lo
	v_cmp_ne_u32_e32 vcc_lo, 0x7f800000, v28
                                        ; implicit-def: $vgpr28
	flat_store_short_d16_hi v[4:5], v26
	s_and_saveexec_b32 s6, vcc_lo
	s_xor_b32 s6, exec_lo, s6
; %bb.41:
	v_bfe_u32 v26, v27, 16, 1
	v_add3_u32 v28, v27, v26, 0x7fff
                                        ; implicit-def: $vgpr27
; %bb.42:
	s_andn2_saveexec_b32 s6, s6
; %bb.43:
	v_mov_b32_e32 v26, 0
	v_or_b32_e32 v28, 0x10000, v27
	v_cmp_eq_u32_sdwa vcc_lo, v27, v26 src0_sel:WORD_0 src1_sel:DWORD
	v_cndmask_b32_e32 v28, v28, v27, vcc_lo
; %bb.44:
	s_or_b32 exec_lo, exec_lo, s6
	v_mul_f32_e32 v26, s4, v11
	flat_store_short_d16_hi v[4:5], v28 offset:32
	v_and_b32_e32 v27, 0x7f800000, v26
	v_cmp_ne_u32_e32 vcc_lo, 0x7f800000, v27
                                        ; implicit-def: $vgpr27
	s_and_saveexec_b32 s6, vcc_lo
	s_xor_b32 s6, exec_lo, s6
; %bb.45:
	v_bfe_u32 v27, v26, 16, 1
	v_add3_u32 v27, v26, v27, 0x7fff
                                        ; implicit-def: $vgpr26
; %bb.46:
	s_andn2_saveexec_b32 s6, s6
; %bb.47:
	v_mov_b32_e32 v27, 0
	v_or_b32_e32 v28, 0x10000, v26
	v_cmp_eq_u32_sdwa vcc_lo, v26, v27 src0_sel:WORD_0 src1_sel:DWORD
	v_cndmask_b32_e32 v27, v28, v26, vcc_lo
; %bb.48:
	s_or_b32 exec_lo, exec_lo, s6
	v_mul_f32_e32 v26, s4, v10
	s_mov_b32 s6, exec_lo
	flat_store_short_d16_hi v[4:5], v27 offset:64
                                        ; implicit-def: $vgpr27
	v_and_b32_e32 v28, 0x7f800000, v26
	v_cmpx_ne_u32_e32 0x7f800000, v28
	s_xor_b32 s6, exec_lo, s6
; %bb.49:
	v_bfe_u32 v27, v26, 16, 1
	v_add3_u32 v27, v26, v27, 0x7fff
                                        ; implicit-def: $vgpr26
; %bb.50:
	s_andn2_saveexec_b32 s6, s6
; %bb.51:
	v_mov_b32_e32 v27, 0
	v_or_b32_e32 v28, 0x10000, v26
	v_cmp_eq_u32_sdwa vcc_lo, v26, v27 src0_sel:WORD_0 src1_sel:DWORD
	v_cndmask_b32_e32 v27, v28, v26, vcc_lo
; %bb.52:
	s_or_b32 exec_lo, exec_lo, s6
	v_mul_f32_e32 v26, s4, v9
	s_mov_b32 s6, exec_lo
	flat_store_short_d16_hi v[4:5], v27 offset:96
                                        ; implicit-def: $vgpr4
	v_and_b32_e32 v28, 0x7f800000, v26
	v_cmpx_ne_u32_e32 0x7f800000, v28
	s_xor_b32 s6, exec_lo, s6
; %bb.53:
	v_bfe_u32 v4, v26, 16, 1
	v_add3_u32 v4, v26, v4, 0x7fff
                                        ; implicit-def: $vgpr26
; %bb.54:
	s_andn2_saveexec_b32 s6, s6
; %bb.55:
	v_mov_b32_e32 v4, 0
	v_or_b32_e32 v5, 0x10000, v26
	v_cmp_eq_u32_sdwa vcc_lo, v26, v4 src0_sel:WORD_0 src1_sel:DWORD
	v_cndmask_b32_e32 v4, v5, v26, vcc_lo
; %bb.56:
	s_or_b32 exec_lo, exec_lo, s6
	v_add_co_u32 v24, vcc_lo, v24, s2
	v_mul_f32_e32 v5, s4, v8
	v_add_co_ci_u32_e64 v25, null, s3, v25, vcc_lo
	v_add_co_u32 v2, vcc_lo, v24, v2
	v_and_b32_e32 v26, 0x7f800000, v5
	v_add_co_ci_u32_e64 v3, null, v25, v3, vcc_lo
	s_mov_b32 s2, exec_lo
                                        ; implicit-def: $vgpr24
	flat_store_short_d16_hi v[2:3], v4
	v_cmpx_ne_u32_e32 0x7f800000, v26
	s_xor_b32 s2, exec_lo, s2
; %bb.57:
	v_bfe_u32 v4, v5, 16, 1
	v_add3_u32 v24, v5, v4, 0x7fff
                                        ; implicit-def: $vgpr5
; %bb.58:
	s_andn2_saveexec_b32 s2, s2
; %bb.59:
	v_mov_b32_e32 v4, 0
	v_or_b32_e32 v24, 0x10000, v5
	v_cmp_eq_u32_sdwa vcc_lo, v5, v4 src0_sel:WORD_0 src1_sel:DWORD
	v_cndmask_b32_e32 v24, v24, v5, vcc_lo
; %bb.60:
	s_or_b32 exec_lo, exec_lo, s2
	v_mul_f32_e32 v4, s4, v7
	flat_store_short_d16_hi v[2:3], v24 offset:32
	v_and_b32_e32 v5, 0x7f800000, v4
	v_cmp_ne_u32_e32 vcc_lo, 0x7f800000, v5
                                        ; implicit-def: $vgpr5
	s_and_saveexec_b32 s2, vcc_lo
	s_xor_b32 s2, exec_lo, s2
; %bb.61:
	v_bfe_u32 v5, v4, 16, 1
	v_add3_u32 v5, v4, v5, 0x7fff
                                        ; implicit-def: $vgpr4
; %bb.62:
	s_andn2_saveexec_b32 s2, s2
; %bb.63:
	v_mov_b32_e32 v5, 0
	v_or_b32_e32 v24, 0x10000, v4
	v_cmp_eq_u32_sdwa vcc_lo, v4, v5 src0_sel:WORD_0 src1_sel:DWORD
	v_cndmask_b32_e32 v5, v24, v4, vcc_lo
; %bb.64:
	s_or_b32 exec_lo, exec_lo, s2
	v_mul_f32_e32 v4, s4, v6
	s_mov_b32 s2, exec_lo
	flat_store_short_d16_hi v[2:3], v5 offset:64
                                        ; implicit-def: $vgpr5
	v_and_b32_e32 v24, 0x7f800000, v4
	v_cmpx_ne_u32_e32 0x7f800000, v24
	s_xor_b32 s2, exec_lo, s2
; %bb.65:
	v_bfe_u32 v5, v4, 16, 1
	v_add3_u32 v5, v4, v5, 0x7fff
                                        ; implicit-def: $vgpr4
; %bb.66:
	s_andn2_saveexec_b32 s2, s2
; %bb.67:
	v_mov_b32_e32 v5, 0
	v_or_b32_e32 v24, 0x10000, v4
	v_cmp_eq_u32_sdwa vcc_lo, v4, v5 src0_sel:WORD_0 src1_sel:DWORD
	v_cndmask_b32_e32 v5, v24, v4, vcc_lo
; %bb.68:
	s_or_b32 exec_lo, exec_lo, s2
	flat_store_short_d16_hi v[2:3], v5 offset:96
	s_branch .LBB148_197
.LBB148_69:
	v_mul_lo_u32 v4, v23, s14
	v_mul_lo_u32 v5, v22, s15
	v_mad_u64_u32 v[2:3], null, v22, s14, 0
	s_lshl_b64 s[2:3], s[16:17], 1
	v_lshlrev_b64 v[0:1], 1, v[0:1]
	s_add_u32 s2, s12, s2
	s_addc_u32 s3, s13, s3
	v_add3_u32 v3, v3, v5, v4
	v_lshlrev_b64 v[2:3], 1, v[2:3]
	v_add_co_u32 v24, vcc_lo, s2, v2
	v_add_co_ci_u32_e64 v25, null, s3, v3, vcc_lo
	v_add_co_u32 v2, vcc_lo, v24, v0
	v_add_co_ci_u32_e64 v3, null, v25, v1, vcc_lo
	flat_load_ushort v4, v[2:3]
	s_waitcnt vmcnt(0) lgkmcnt(0)
	v_lshlrev_b32_e32 v4, 16, v4
	v_mul_f32_e32 v4, s8, v4
	v_and_b32_e32 v5, 0x7f800000, v4
	v_cmp_ne_u32_e32 vcc_lo, 0x7f800000, v5
                                        ; implicit-def: $vgpr5
	s_and_saveexec_b32 s2, vcc_lo
	s_xor_b32 s2, exec_lo, s2
; %bb.70:
	v_bfe_u32 v5, v4, 16, 1
	v_add3_u32 v5, v4, v5, 0x7fff
                                        ; implicit-def: $vgpr4
; %bb.71:
	s_andn2_saveexec_b32 s2, s2
; %bb.72:
	v_mov_b32_e32 v5, 0
	v_or_b32_e32 v26, 0x10000, v4
	v_cmp_eq_u32_sdwa vcc_lo, v4, v5 src0_sel:WORD_0 src1_sel:DWORD
	v_cndmask_b32_e32 v5, v26, v4, vcc_lo
; %bb.73:
	s_or_b32 exec_lo, exec_lo, s2
	v_and_b32_e32 v4, 0xffff0000, v5
	s_mov_b32 s2, exec_lo
                                        ; implicit-def: $vgpr26
	v_fmac_f32_e32 v4, s4, v21
	v_and_b32_e32 v5, 0x7f800000, v4
	v_cmpx_ne_u32_e32 0x7f800000, v5
	s_xor_b32 s2, exec_lo, s2
; %bb.74:
	v_bfe_u32 v5, v4, 16, 1
	v_add3_u32 v26, v4, v5, 0x7fff
                                        ; implicit-def: $vgpr4
; %bb.75:
	s_andn2_saveexec_b32 s2, s2
; %bb.76:
	v_mov_b32_e32 v5, 0
	v_or_b32_e32 v21, 0x10000, v4
	v_cmp_eq_u32_sdwa vcc_lo, v4, v5 src0_sel:WORD_0 src1_sel:DWORD
	v_cndmask_b32_e32 v26, v21, v4, vcc_lo
; %bb.77:
	s_or_b32 exec_lo, exec_lo, s2
	v_mul_lo_u32 v21, v23, s0
	v_mul_lo_u32 v23, v22, s1
	v_mad_u64_u32 v[4:5], null, v22, s0, 0
	v_add3_u32 v5, v5, v23, v21
	v_lshlrev_b64 v[4:5], 1, v[4:5]
	v_add_co_u32 v21, vcc_lo, s5, v4
	v_add_co_ci_u32_e64 v22, null, s9, v5, vcc_lo
	v_add_co_u32 v4, vcc_lo, v21, v0
	v_add_co_ci_u32_e64 v5, null, v22, v1, vcc_lo
	flat_store_short_d16_hi v[4:5], v26
	flat_load_ushort v23, v[2:3] offset:32
	s_waitcnt vmcnt(0) lgkmcnt(0)
	v_lshlrev_b32_e32 v23, 16, v23
	v_mul_f32_e32 v23, s8, v23
	v_and_b32_e32 v26, 0x7f800000, v23
	v_cmp_ne_u32_e32 vcc_lo, 0x7f800000, v26
                                        ; implicit-def: $vgpr26
	s_and_saveexec_b32 s2, vcc_lo
	s_xor_b32 s2, exec_lo, s2
; %bb.78:
	v_bfe_u32 v26, v23, 16, 1
	v_add3_u32 v26, v23, v26, 0x7fff
                                        ; implicit-def: $vgpr23
; %bb.79:
	s_andn2_saveexec_b32 s2, s2
; %bb.80:
	v_mov_b32_e32 v26, 0
	v_or_b32_e32 v27, 0x10000, v23
	v_cmp_eq_u32_sdwa vcc_lo, v23, v26 src0_sel:WORD_0 src1_sel:DWORD
	v_cndmask_b32_e32 v26, v27, v23, vcc_lo
; %bb.81:
	s_or_b32 exec_lo, exec_lo, s2
	v_and_b32_e32 v23, 0xffff0000, v26
	v_fmac_f32_e32 v23, s4, v20
	v_and_b32_e32 v20, 0x7f800000, v23
	v_cmp_ne_u32_e32 vcc_lo, 0x7f800000, v20
                                        ; implicit-def: $vgpr20
	s_and_saveexec_b32 s2, vcc_lo
	s_xor_b32 s2, exec_lo, s2
; %bb.82:
	v_bfe_u32 v20, v23, 16, 1
	v_add3_u32 v20, v23, v20, 0x7fff
                                        ; implicit-def: $vgpr23
; %bb.83:
	s_andn2_saveexec_b32 s2, s2
; %bb.84:
	v_mov_b32_e32 v20, 0
	v_or_b32_e32 v26, 0x10000, v23
	v_cmp_eq_u32_sdwa vcc_lo, v23, v20 src0_sel:WORD_0 src1_sel:DWORD
	v_cndmask_b32_e32 v20, v26, v23, vcc_lo
; %bb.85:
	s_or_b32 exec_lo, exec_lo, s2
	flat_store_short_d16_hi v[4:5], v20 offset:32
	flat_load_ushort v20, v[2:3] offset:64
	s_waitcnt vmcnt(0) lgkmcnt(0)
	v_lshlrev_b32_e32 v20, 16, v20
	v_mul_f32_e32 v20, s8, v20
	v_and_b32_e32 v23, 0x7f800000, v20
	v_cmp_ne_u32_e32 vcc_lo, 0x7f800000, v23
                                        ; implicit-def: $vgpr23
	s_and_saveexec_b32 s2, vcc_lo
	s_xor_b32 s2, exec_lo, s2
; %bb.86:
	v_bfe_u32 v23, v20, 16, 1
	v_add3_u32 v23, v20, v23, 0x7fff
                                        ; implicit-def: $vgpr20
; %bb.87:
	s_andn2_saveexec_b32 s2, s2
; %bb.88:
	v_mov_b32_e32 v23, 0
	v_or_b32_e32 v26, 0x10000, v20
	v_cmp_eq_u32_sdwa vcc_lo, v20, v23 src0_sel:WORD_0 src1_sel:DWORD
	v_cndmask_b32_e32 v23, v26, v20, vcc_lo
; %bb.89:
	s_or_b32 exec_lo, exec_lo, s2
	v_and_b32_e32 v20, 0xffff0000, v23
	v_fmac_f32_e32 v20, s4, v19
	v_and_b32_e32 v19, 0x7f800000, v20
	v_cmp_ne_u32_e32 vcc_lo, 0x7f800000, v19
                                        ; implicit-def: $vgpr19
	s_and_saveexec_b32 s2, vcc_lo
	s_xor_b32 s2, exec_lo, s2
; %bb.90:
	v_bfe_u32 v19, v20, 16, 1
	v_add3_u32 v19, v20, v19, 0x7fff
                                        ; implicit-def: $vgpr20
; %bb.91:
	s_andn2_saveexec_b32 s2, s2
; %bb.92:
	v_mov_b32_e32 v19, 0
	v_or_b32_e32 v23, 0x10000, v20
	v_cmp_eq_u32_sdwa vcc_lo, v20, v19 src0_sel:WORD_0 src1_sel:DWORD
	v_cndmask_b32_e32 v19, v23, v20, vcc_lo
; %bb.93:
	s_or_b32 exec_lo, exec_lo, s2
	flat_store_short_d16_hi v[4:5], v19 offset:64
	flat_load_ushort v2, v[2:3] offset:96
	s_waitcnt vmcnt(0) lgkmcnt(0)
	v_lshlrev_b32_e32 v2, 16, v2
	v_mul_f32_e32 v2, s8, v2
	v_and_b32_e32 v3, 0x7f800000, v2
	v_cmp_ne_u32_e32 vcc_lo, 0x7f800000, v3
                                        ; implicit-def: $vgpr3
	s_and_saveexec_b32 s2, vcc_lo
	s_xor_b32 s2, exec_lo, s2
; %bb.94:
	v_bfe_u32 v3, v2, 16, 1
	v_add3_u32 v3, v2, v3, 0x7fff
                                        ; implicit-def: $vgpr2
; %bb.95:
	s_andn2_saveexec_b32 s2, s2
; %bb.96:
	v_mov_b32_e32 v3, 0
	v_or_b32_e32 v19, 0x10000, v2
	v_cmp_eq_u32_sdwa vcc_lo, v2, v3 src0_sel:WORD_0 src1_sel:DWORD
	v_cndmask_b32_e32 v3, v19, v2, vcc_lo
; %bb.97:
	s_or_b32 exec_lo, exec_lo, s2
	v_and_b32_e32 v2, 0xffff0000, v3
	s_mov_b32 s2, exec_lo
	v_fmac_f32_e32 v2, s4, v18
                                        ; implicit-def: $vgpr18
	v_and_b32_e32 v3, 0x7f800000, v2
	v_cmpx_ne_u32_e32 0x7f800000, v3
	s_xor_b32 s2, exec_lo, s2
; %bb.98:
	v_bfe_u32 v3, v2, 16, 1
	v_add3_u32 v18, v2, v3, 0x7fff
                                        ; implicit-def: $vgpr2
; %bb.99:
	s_andn2_saveexec_b32 s2, s2
; %bb.100:
	v_mov_b32_e32 v3, 0
	v_or_b32_e32 v18, 0x10000, v2
	v_cmp_eq_u32_sdwa vcc_lo, v2, v3 src0_sel:WORD_0 src1_sel:DWORD
	v_cndmask_b32_e32 v18, v18, v2, vcc_lo
; %bb.101:
	s_or_b32 exec_lo, exec_lo, s2
	s_lshl_b64 s[2:3], s[14:15], 5
	flat_store_short_d16_hi v[4:5], v18 offset:96
	v_add_co_u32 v19, vcc_lo, v24, s2
	v_add_co_ci_u32_e64 v20, null, s3, v25, vcc_lo
	v_add_co_u32 v2, vcc_lo, v19, v0
	v_add_co_ci_u32_e64 v3, null, v20, v1, vcc_lo
	flat_load_ushort v4, v[2:3]
	s_waitcnt vmcnt(0) lgkmcnt(0)
	v_lshlrev_b32_e32 v4, 16, v4
	v_mul_f32_e32 v4, s8, v4
	v_and_b32_e32 v5, 0x7f800000, v4
	v_cmp_ne_u32_e32 vcc_lo, 0x7f800000, v5
                                        ; implicit-def: $vgpr5
	s_and_saveexec_b32 s2, vcc_lo
	s_xor_b32 s2, exec_lo, s2
; %bb.102:
	v_bfe_u32 v5, v4, 16, 1
	v_add3_u32 v5, v4, v5, 0x7fff
                                        ; implicit-def: $vgpr4
; %bb.103:
	s_andn2_saveexec_b32 s2, s2
; %bb.104:
	v_mov_b32_e32 v5, 0
	v_or_b32_e32 v18, 0x10000, v4
	v_cmp_eq_u32_sdwa vcc_lo, v4, v5 src0_sel:WORD_0 src1_sel:DWORD
	v_cndmask_b32_e32 v5, v18, v4, vcc_lo
; %bb.105:
	s_or_b32 exec_lo, exec_lo, s2
	v_and_b32_e32 v4, 0xffff0000, v5
	s_mov_b32 s2, exec_lo
                                        ; implicit-def: $vgpr23
	v_fmac_f32_e32 v4, s4, v17
	v_and_b32_e32 v5, 0x7f800000, v4
	v_cmpx_ne_u32_e32 0x7f800000, v5
	s_xor_b32 s2, exec_lo, s2
; %bb.106:
	v_bfe_u32 v5, v4, 16, 1
	v_add3_u32 v23, v4, v5, 0x7fff
                                        ; implicit-def: $vgpr4
; %bb.107:
	s_andn2_saveexec_b32 s2, s2
; %bb.108:
	v_mov_b32_e32 v5, 0
	v_or_b32_e32 v17, 0x10000, v4
	v_cmp_eq_u32_sdwa vcc_lo, v4, v5 src0_sel:WORD_0 src1_sel:DWORD
	v_cndmask_b32_e32 v23, v17, v4, vcc_lo
; %bb.109:
	s_or_b32 exec_lo, exec_lo, s2
	s_lshl_b64 s[2:3], s[0:1], 5
	v_add_co_u32 v17, vcc_lo, v21, s2
	v_add_co_ci_u32_e64 v18, null, s3, v22, vcc_lo
	v_add_co_u32 v4, vcc_lo, v17, v0
	v_add_co_ci_u32_e64 v5, null, v18, v1, vcc_lo
	flat_store_short_d16_hi v[4:5], v23
	flat_load_ushort v21, v[2:3] offset:32
	s_waitcnt vmcnt(0) lgkmcnt(0)
	v_lshlrev_b32_e32 v21, 16, v21
	v_mul_f32_e32 v21, s8, v21
	v_and_b32_e32 v22, 0x7f800000, v21
	v_cmp_ne_u32_e32 vcc_lo, 0x7f800000, v22
                                        ; implicit-def: $vgpr22
	s_and_saveexec_b32 s2, vcc_lo
	s_xor_b32 s2, exec_lo, s2
; %bb.110:
	v_bfe_u32 v22, v21, 16, 1
	v_add3_u32 v22, v21, v22, 0x7fff
                                        ; implicit-def: $vgpr21
; %bb.111:
	s_andn2_saveexec_b32 s2, s2
; %bb.112:
	v_mov_b32_e32 v22, 0
	v_or_b32_e32 v23, 0x10000, v21
	v_cmp_eq_u32_sdwa vcc_lo, v21, v22 src0_sel:WORD_0 src1_sel:DWORD
	v_cndmask_b32_e32 v22, v23, v21, vcc_lo
; %bb.113:
	s_or_b32 exec_lo, exec_lo, s2
	v_and_b32_e32 v21, 0xffff0000, v22
	v_fmac_f32_e32 v21, s4, v16
	v_and_b32_e32 v16, 0x7f800000, v21
	v_cmp_ne_u32_e32 vcc_lo, 0x7f800000, v16
                                        ; implicit-def: $vgpr16
	s_and_saveexec_b32 s2, vcc_lo
	s_xor_b32 s2, exec_lo, s2
; %bb.114:
	v_bfe_u32 v16, v21, 16, 1
	v_add3_u32 v16, v21, v16, 0x7fff
                                        ; implicit-def: $vgpr21
; %bb.115:
	s_andn2_saveexec_b32 s2, s2
; %bb.116:
	v_mov_b32_e32 v16, 0
	v_or_b32_e32 v22, 0x10000, v21
	v_cmp_eq_u32_sdwa vcc_lo, v21, v16 src0_sel:WORD_0 src1_sel:DWORD
	v_cndmask_b32_e32 v16, v22, v21, vcc_lo
; %bb.117:
	s_or_b32 exec_lo, exec_lo, s2
	flat_store_short_d16_hi v[4:5], v16 offset:32
	flat_load_ushort v16, v[2:3] offset:64
	s_waitcnt vmcnt(0) lgkmcnt(0)
	v_lshlrev_b32_e32 v16, 16, v16
	v_mul_f32_e32 v16, s8, v16
	v_and_b32_e32 v21, 0x7f800000, v16
	v_cmp_ne_u32_e32 vcc_lo, 0x7f800000, v21
                                        ; implicit-def: $vgpr21
	s_and_saveexec_b32 s2, vcc_lo
	s_xor_b32 s2, exec_lo, s2
; %bb.118:
	v_bfe_u32 v21, v16, 16, 1
	v_add3_u32 v21, v16, v21, 0x7fff
                                        ; implicit-def: $vgpr16
; %bb.119:
	s_andn2_saveexec_b32 s2, s2
; %bb.120:
	v_mov_b32_e32 v21, 0
	v_or_b32_e32 v22, 0x10000, v16
	v_cmp_eq_u32_sdwa vcc_lo, v16, v21 src0_sel:WORD_0 src1_sel:DWORD
	v_cndmask_b32_e32 v21, v22, v16, vcc_lo
; %bb.121:
	s_or_b32 exec_lo, exec_lo, s2
	v_and_b32_e32 v16, 0xffff0000, v21
	v_fmac_f32_e32 v16, s4, v15
	v_and_b32_e32 v15, 0x7f800000, v16
	v_cmp_ne_u32_e32 vcc_lo, 0x7f800000, v15
                                        ; implicit-def: $vgpr15
	s_and_saveexec_b32 s2, vcc_lo
	s_xor_b32 s2, exec_lo, s2
; %bb.122:
	v_bfe_u32 v15, v16, 16, 1
	v_add3_u32 v15, v16, v15, 0x7fff
                                        ; implicit-def: $vgpr16
; %bb.123:
	s_andn2_saveexec_b32 s2, s2
; %bb.124:
	v_mov_b32_e32 v15, 0
	v_or_b32_e32 v21, 0x10000, v16
	v_cmp_eq_u32_sdwa vcc_lo, v16, v15 src0_sel:WORD_0 src1_sel:DWORD
	v_cndmask_b32_e32 v15, v21, v16, vcc_lo
; %bb.125:
	s_or_b32 exec_lo, exec_lo, s2
	flat_store_short_d16_hi v[4:5], v15 offset:64
	flat_load_ushort v2, v[2:3] offset:96
	s_waitcnt vmcnt(0) lgkmcnt(0)
	v_lshlrev_b32_e32 v2, 16, v2
	v_mul_f32_e32 v2, s8, v2
	v_and_b32_e32 v3, 0x7f800000, v2
	v_cmp_ne_u32_e32 vcc_lo, 0x7f800000, v3
                                        ; implicit-def: $vgpr3
	s_and_saveexec_b32 s2, vcc_lo
	s_xor_b32 s2, exec_lo, s2
; %bb.126:
	v_bfe_u32 v3, v2, 16, 1
	v_add3_u32 v3, v2, v3, 0x7fff
                                        ; implicit-def: $vgpr2
; %bb.127:
	s_andn2_saveexec_b32 s2, s2
; %bb.128:
	v_mov_b32_e32 v3, 0
	v_or_b32_e32 v15, 0x10000, v2
	v_cmp_eq_u32_sdwa vcc_lo, v2, v3 src0_sel:WORD_0 src1_sel:DWORD
	v_cndmask_b32_e32 v3, v15, v2, vcc_lo
; %bb.129:
	s_or_b32 exec_lo, exec_lo, s2
	v_and_b32_e32 v2, 0xffff0000, v3
	s_mov_b32 s2, exec_lo
                                        ; implicit-def: $vgpr16
	v_fmac_f32_e32 v2, s4, v14
	v_and_b32_e32 v3, 0x7f800000, v2
	v_cmpx_ne_u32_e32 0x7f800000, v3
	s_xor_b32 s2, exec_lo, s2
; %bb.130:
	v_bfe_u32 v3, v2, 16, 1
	v_add3_u32 v16, v2, v3, 0x7fff
                                        ; implicit-def: $vgpr2
; %bb.131:
	s_or_saveexec_b32 s5, s2
	s_lshl_b64 s[2:3], s[14:15], 4
	s_xor_b32 exec_lo, exec_lo, s5
; %bb.132:
	v_mov_b32_e32 v3, 0
	v_or_b32_e32 v14, 0x10000, v2
	v_cmp_eq_u32_sdwa vcc_lo, v2, v3 src0_sel:WORD_0 src1_sel:DWORD
	v_cndmask_b32_e32 v16, v14, v2, vcc_lo
; %bb.133:
	s_or_b32 exec_lo, exec_lo, s5
	s_lshl_b64 s[2:3], s[2:3], 1
	flat_store_short_d16_hi v[4:5], v16 offset:96
	v_add_co_u32 v14, vcc_lo, v19, s2
	v_add_co_ci_u32_e64 v15, null, s3, v20, vcc_lo
	v_add_co_u32 v2, vcc_lo, v14, v0
	v_add_co_ci_u32_e64 v3, null, v15, v1, vcc_lo
	flat_load_ushort v4, v[2:3]
	s_waitcnt vmcnt(0) lgkmcnt(0)
	v_lshlrev_b32_e32 v4, 16, v4
	v_mul_f32_e32 v4, s8, v4
	v_and_b32_e32 v5, 0x7f800000, v4
	v_cmp_ne_u32_e32 vcc_lo, 0x7f800000, v5
                                        ; implicit-def: $vgpr5
	s_and_saveexec_b32 s5, vcc_lo
	s_xor_b32 s5, exec_lo, s5
; %bb.134:
	v_bfe_u32 v5, v4, 16, 1
	v_add3_u32 v5, v4, v5, 0x7fff
                                        ; implicit-def: $vgpr4
; %bb.135:
	s_andn2_saveexec_b32 s5, s5
; %bb.136:
	v_mov_b32_e32 v5, 0
	v_or_b32_e32 v16, 0x10000, v4
	v_cmp_eq_u32_sdwa vcc_lo, v4, v5 src0_sel:WORD_0 src1_sel:DWORD
	v_cndmask_b32_e32 v5, v16, v4, vcc_lo
; %bb.137:
	s_or_b32 exec_lo, exec_lo, s5
	v_and_b32_e32 v4, 0xffff0000, v5
	s_mov_b32 s5, exec_lo
                                        ; implicit-def: $vgpr19
	v_fmac_f32_e32 v4, s4, v13
	v_and_b32_e32 v5, 0x7f800000, v4
	v_cmpx_ne_u32_e32 0x7f800000, v5
	s_xor_b32 s5, exec_lo, s5
; %bb.138:
	v_bfe_u32 v5, v4, 16, 1
	v_add3_u32 v19, v4, v5, 0x7fff
                                        ; implicit-def: $vgpr4
; %bb.139:
	s_or_saveexec_b32 s5, s5
	s_lshl_b64 s[0:1], s[0:1], 4
	s_xor_b32 exec_lo, exec_lo, s5
; %bb.140:
	v_mov_b32_e32 v5, 0
	v_or_b32_e32 v13, 0x10000, v4
	v_cmp_eq_u32_sdwa vcc_lo, v4, v5 src0_sel:WORD_0 src1_sel:DWORD
	v_cndmask_b32_e32 v19, v13, v4, vcc_lo
; %bb.141:
	s_or_b32 exec_lo, exec_lo, s5
	s_lshl_b64 s[0:1], s[0:1], 1
	v_add_co_u32 v13, vcc_lo, v17, s0
	v_add_co_ci_u32_e64 v16, null, s1, v18, vcc_lo
	v_add_co_u32 v4, vcc_lo, v13, v0
	v_add_co_ci_u32_e64 v5, null, v16, v1, vcc_lo
	flat_store_short_d16_hi v[4:5], v19
	flat_load_ushort v17, v[2:3] offset:32
	s_waitcnt vmcnt(0) lgkmcnt(0)
	v_lshlrev_b32_e32 v17, 16, v17
	v_mul_f32_e32 v17, s8, v17
	v_and_b32_e32 v18, 0x7f800000, v17
	v_cmp_ne_u32_e32 vcc_lo, 0x7f800000, v18
                                        ; implicit-def: $vgpr18
	s_and_saveexec_b32 s5, vcc_lo
	s_xor_b32 s5, exec_lo, s5
; %bb.142:
	v_bfe_u32 v18, v17, 16, 1
	v_add3_u32 v18, v17, v18, 0x7fff
                                        ; implicit-def: $vgpr17
; %bb.143:
	s_andn2_saveexec_b32 s5, s5
; %bb.144:
	v_mov_b32_e32 v18, 0
	v_or_b32_e32 v19, 0x10000, v17
	v_cmp_eq_u32_sdwa vcc_lo, v17, v18 src0_sel:WORD_0 src1_sel:DWORD
	v_cndmask_b32_e32 v18, v19, v17, vcc_lo
; %bb.145:
	s_or_b32 exec_lo, exec_lo, s5
	v_and_b32_e32 v17, 0xffff0000, v18
	v_fmac_f32_e32 v17, s4, v12
	v_and_b32_e32 v12, 0x7f800000, v17
	v_cmp_ne_u32_e32 vcc_lo, 0x7f800000, v12
                                        ; implicit-def: $vgpr12
	s_and_saveexec_b32 s5, vcc_lo
	s_xor_b32 s5, exec_lo, s5
; %bb.146:
	v_bfe_u32 v12, v17, 16, 1
	v_add3_u32 v12, v17, v12, 0x7fff
                                        ; implicit-def: $vgpr17
; %bb.147:
	s_andn2_saveexec_b32 s5, s5
; %bb.148:
	v_mov_b32_e32 v12, 0
	v_or_b32_e32 v18, 0x10000, v17
	v_cmp_eq_u32_sdwa vcc_lo, v17, v12 src0_sel:WORD_0 src1_sel:DWORD
	v_cndmask_b32_e32 v12, v18, v17, vcc_lo
; %bb.149:
	s_or_b32 exec_lo, exec_lo, s5
	flat_store_short_d16_hi v[4:5], v12 offset:32
	flat_load_ushort v12, v[2:3] offset:64
	s_waitcnt vmcnt(0) lgkmcnt(0)
	v_lshlrev_b32_e32 v12, 16, v12
	v_mul_f32_e32 v12, s8, v12
	v_and_b32_e32 v17, 0x7f800000, v12
	v_cmp_ne_u32_e32 vcc_lo, 0x7f800000, v17
                                        ; implicit-def: $vgpr17
	s_and_saveexec_b32 s5, vcc_lo
	s_xor_b32 s5, exec_lo, s5
; %bb.150:
	v_bfe_u32 v17, v12, 16, 1
	v_add3_u32 v17, v12, v17, 0x7fff
                                        ; implicit-def: $vgpr12
; %bb.151:
	s_andn2_saveexec_b32 s5, s5
; %bb.152:
	v_mov_b32_e32 v17, 0
	v_or_b32_e32 v18, 0x10000, v12
	v_cmp_eq_u32_sdwa vcc_lo, v12, v17 src0_sel:WORD_0 src1_sel:DWORD
	v_cndmask_b32_e32 v17, v18, v12, vcc_lo
; %bb.153:
	s_or_b32 exec_lo, exec_lo, s5
	v_and_b32_e32 v12, 0xffff0000, v17
	v_fmac_f32_e32 v12, s4, v11
	v_and_b32_e32 v11, 0x7f800000, v12
	v_cmp_ne_u32_e32 vcc_lo, 0x7f800000, v11
                                        ; implicit-def: $vgpr11
	s_and_saveexec_b32 s5, vcc_lo
	s_xor_b32 s5, exec_lo, s5
; %bb.154:
	v_bfe_u32 v11, v12, 16, 1
	v_add3_u32 v11, v12, v11, 0x7fff
                                        ; implicit-def: $vgpr12
; %bb.155:
	s_andn2_saveexec_b32 s5, s5
; %bb.156:
	v_mov_b32_e32 v11, 0
	v_or_b32_e32 v17, 0x10000, v12
	v_cmp_eq_u32_sdwa vcc_lo, v12, v11 src0_sel:WORD_0 src1_sel:DWORD
	v_cndmask_b32_e32 v11, v17, v12, vcc_lo
; %bb.157:
	s_or_b32 exec_lo, exec_lo, s5
	flat_store_short_d16_hi v[4:5], v11 offset:64
	flat_load_ushort v2, v[2:3] offset:96
	s_waitcnt vmcnt(0) lgkmcnt(0)
	v_lshlrev_b32_e32 v2, 16, v2
	v_mul_f32_e32 v2, s8, v2
	v_and_b32_e32 v3, 0x7f800000, v2
	v_cmp_ne_u32_e32 vcc_lo, 0x7f800000, v3
                                        ; implicit-def: $vgpr3
	s_and_saveexec_b32 s5, vcc_lo
	s_xor_b32 s5, exec_lo, s5
; %bb.158:
	v_bfe_u32 v3, v2, 16, 1
	v_add3_u32 v3, v2, v3, 0x7fff
                                        ; implicit-def: $vgpr2
; %bb.159:
	s_andn2_saveexec_b32 s5, s5
; %bb.160:
	v_mov_b32_e32 v3, 0
	v_or_b32_e32 v11, 0x10000, v2
	v_cmp_eq_u32_sdwa vcc_lo, v2, v3 src0_sel:WORD_0 src1_sel:DWORD
	v_cndmask_b32_e32 v3, v11, v2, vcc_lo
; %bb.161:
	s_or_b32 exec_lo, exec_lo, s5
	v_and_b32_e32 v2, 0xffff0000, v3
	s_mov_b32 s5, exec_lo
	v_fmac_f32_e32 v2, s4, v10
                                        ; implicit-def: $vgpr10
	v_and_b32_e32 v3, 0x7f800000, v2
	v_cmpx_ne_u32_e32 0x7f800000, v3
	s_xor_b32 s5, exec_lo, s5
; %bb.162:
	v_bfe_u32 v3, v2, 16, 1
	v_add3_u32 v10, v2, v3, 0x7fff
                                        ; implicit-def: $vgpr2
; %bb.163:
	s_andn2_saveexec_b32 s5, s5
; %bb.164:
	v_mov_b32_e32 v3, 0
	v_or_b32_e32 v10, 0x10000, v2
	v_cmp_eq_u32_sdwa vcc_lo, v2, v3 src0_sel:WORD_0 src1_sel:DWORD
	v_cndmask_b32_e32 v10, v10, v2, vcc_lo
; %bb.165:
	s_or_b32 exec_lo, exec_lo, s5
	v_add_co_u32 v2, vcc_lo, v14, s2
	v_add_co_ci_u32_e64 v3, null, s3, v15, vcc_lo
	flat_store_short_d16_hi v[4:5], v10 offset:96
	v_add_co_u32 v2, vcc_lo, v2, v0
	v_add_co_ci_u32_e64 v3, null, v3, v1, vcc_lo
	flat_load_ushort v4, v[2:3]
	s_waitcnt vmcnt(0) lgkmcnt(0)
	v_lshlrev_b32_e32 v4, 16, v4
	v_mul_f32_e32 v4, s8, v4
	v_and_b32_e32 v5, 0x7f800000, v4
	v_cmp_ne_u32_e32 vcc_lo, 0x7f800000, v5
                                        ; implicit-def: $vgpr5
	s_and_saveexec_b32 s2, vcc_lo
	s_xor_b32 s2, exec_lo, s2
; %bb.166:
	v_bfe_u32 v5, v4, 16, 1
	v_add3_u32 v5, v4, v5, 0x7fff
                                        ; implicit-def: $vgpr4
; %bb.167:
	s_andn2_saveexec_b32 s2, s2
; %bb.168:
	v_mov_b32_e32 v5, 0
	v_or_b32_e32 v10, 0x10000, v4
	v_cmp_eq_u32_sdwa vcc_lo, v4, v5 src0_sel:WORD_0 src1_sel:DWORD
	v_cndmask_b32_e32 v5, v10, v4, vcc_lo
; %bb.169:
	s_or_b32 exec_lo, exec_lo, s2
	v_and_b32_e32 v5, 0xffff0000, v5
	v_fmac_f32_e32 v5, s4, v9
	v_and_b32_e32 v4, 0x7f800000, v5
	v_cmp_ne_u32_e32 vcc_lo, 0x7f800000, v4
                                        ; implicit-def: $vgpr4
	s_and_saveexec_b32 s2, vcc_lo
	s_xor_b32 s2, exec_lo, s2
; %bb.170:
	v_bfe_u32 v4, v5, 16, 1
	v_add3_u32 v4, v5, v4, 0x7fff
                                        ; implicit-def: $vgpr5
; %bb.171:
	s_andn2_saveexec_b32 s2, s2
; %bb.172:
	v_mov_b32_e32 v4, 0
	v_or_b32_e32 v9, 0x10000, v5
	v_cmp_eq_u32_sdwa vcc_lo, v5, v4 src0_sel:WORD_0 src1_sel:DWORD
	v_cndmask_b32_e32 v4, v9, v5, vcc_lo
; %bb.173:
	s_or_b32 exec_lo, exec_lo, s2
	v_add_co_u32 v5, vcc_lo, v13, s0
	v_add_co_ci_u32_e64 v9, null, s1, v16, vcc_lo
	v_add_co_u32 v0, vcc_lo, v5, v0
	v_add_co_ci_u32_e64 v1, null, v9, v1, vcc_lo
	flat_store_short_d16_hi v[0:1], v4
	flat_load_ushort v4, v[2:3] offset:32
	s_waitcnt vmcnt(0) lgkmcnt(0)
	v_lshlrev_b32_e32 v4, 16, v4
	v_mul_f32_e32 v4, s8, v4
	v_and_b32_e32 v5, 0x7f800000, v4
	v_cmp_ne_u32_e32 vcc_lo, 0x7f800000, v5
                                        ; implicit-def: $vgpr5
	s_and_saveexec_b32 s0, vcc_lo
	s_xor_b32 s0, exec_lo, s0
; %bb.174:
	v_bfe_u32 v5, v4, 16, 1
	v_add3_u32 v5, v4, v5, 0x7fff
                                        ; implicit-def: $vgpr4
; %bb.175:
	s_andn2_saveexec_b32 s0, s0
; %bb.176:
	v_mov_b32_e32 v5, 0
	v_or_b32_e32 v9, 0x10000, v4
	v_cmp_eq_u32_sdwa vcc_lo, v4, v5 src0_sel:WORD_0 src1_sel:DWORD
	v_cndmask_b32_e32 v5, v9, v4, vcc_lo
; %bb.177:
	s_or_b32 exec_lo, exec_lo, s0
	v_and_b32_e32 v4, 0xffff0000, v5
	v_fmac_f32_e32 v4, s4, v8
	v_and_b32_e32 v5, 0x7f800000, v4
	v_cmp_ne_u32_e32 vcc_lo, 0x7f800000, v5
                                        ; implicit-def: $vgpr5
	s_and_saveexec_b32 s0, vcc_lo
	s_xor_b32 s0, exec_lo, s0
; %bb.178:
	v_bfe_u32 v5, v4, 16, 1
	v_add3_u32 v5, v4, v5, 0x7fff
                                        ; implicit-def: $vgpr4
; %bb.179:
	s_andn2_saveexec_b32 s0, s0
; %bb.180:
	v_mov_b32_e32 v5, 0
	v_or_b32_e32 v8, 0x10000, v4
	v_cmp_eq_u32_sdwa vcc_lo, v4, v5 src0_sel:WORD_0 src1_sel:DWORD
	v_cndmask_b32_e32 v5, v8, v4, vcc_lo
; %bb.181:
	s_or_b32 exec_lo, exec_lo, s0
	flat_store_short_d16_hi v[0:1], v5 offset:32
	flat_load_ushort v4, v[2:3] offset:64
	s_waitcnt vmcnt(0) lgkmcnt(0)
	v_lshlrev_b32_e32 v4, 16, v4
	v_mul_f32_e32 v4, s8, v4
	v_and_b32_e32 v5, 0x7f800000, v4
	v_cmp_ne_u32_e32 vcc_lo, 0x7f800000, v5
                                        ; implicit-def: $vgpr5
	s_and_saveexec_b32 s0, vcc_lo
	s_xor_b32 s0, exec_lo, s0
; %bb.182:
	v_bfe_u32 v5, v4, 16, 1
	v_add3_u32 v5, v4, v5, 0x7fff
                                        ; implicit-def: $vgpr4
; %bb.183:
	s_andn2_saveexec_b32 s0, s0
; %bb.184:
	v_mov_b32_e32 v5, 0
	v_or_b32_e32 v8, 0x10000, v4
	v_cmp_eq_u32_sdwa vcc_lo, v4, v5 src0_sel:WORD_0 src1_sel:DWORD
	v_cndmask_b32_e32 v5, v8, v4, vcc_lo
; %bb.185:
	s_or_b32 exec_lo, exec_lo, s0
	v_and_b32_e32 v4, 0xffff0000, v5
	v_fmac_f32_e32 v4, s4, v7
	v_and_b32_e32 v5, 0x7f800000, v4
	v_cmp_ne_u32_e32 vcc_lo, 0x7f800000, v5
                                        ; implicit-def: $vgpr5
	s_and_saveexec_b32 s0, vcc_lo
	s_xor_b32 s0, exec_lo, s0
; %bb.186:
	v_bfe_u32 v5, v4, 16, 1
	v_add3_u32 v5, v4, v5, 0x7fff
                                        ; implicit-def: $vgpr4
; %bb.187:
	s_andn2_saveexec_b32 s0, s0
; %bb.188:
	v_mov_b32_e32 v5, 0
	v_or_b32_e32 v7, 0x10000, v4
	v_cmp_eq_u32_sdwa vcc_lo, v4, v5 src0_sel:WORD_0 src1_sel:DWORD
	v_cndmask_b32_e32 v5, v7, v4, vcc_lo
; %bb.189:
	s_or_b32 exec_lo, exec_lo, s0
	flat_store_short_d16_hi v[0:1], v5 offset:64
	flat_load_ushort v2, v[2:3] offset:96
	s_waitcnt vmcnt(0) lgkmcnt(0)
	v_lshlrev_b32_e32 v2, 16, v2
	v_mul_f32_e32 v2, s8, v2
	v_and_b32_e32 v3, 0x7f800000, v2
	v_cmp_ne_u32_e32 vcc_lo, 0x7f800000, v3
                                        ; implicit-def: $vgpr3
	s_and_saveexec_b32 s0, vcc_lo
	s_xor_b32 s0, exec_lo, s0
; %bb.190:
	v_bfe_u32 v3, v2, 16, 1
	v_add3_u32 v3, v2, v3, 0x7fff
                                        ; implicit-def: $vgpr2
; %bb.191:
	s_andn2_saveexec_b32 s0, s0
; %bb.192:
	v_mov_b32_e32 v3, 0
	v_or_b32_e32 v4, 0x10000, v2
	v_cmp_eq_u32_sdwa vcc_lo, v2, v3 src0_sel:WORD_0 src1_sel:DWORD
	v_cndmask_b32_e32 v3, v4, v2, vcc_lo
; %bb.193:
	s_or_b32 exec_lo, exec_lo, s0
	v_and_b32_e32 v2, 0xffff0000, v3
	v_fmac_f32_e32 v2, s4, v6
	v_and_b32_e32 v3, 0x7f800000, v2
	v_cmp_ne_u32_e32 vcc_lo, 0x7f800000, v3
                                        ; implicit-def: $vgpr3
	s_and_saveexec_b32 s0, vcc_lo
	s_xor_b32 s0, exec_lo, s0
	s_cbranch_execnz .LBB148_198
; %bb.194:
	s_andn2_saveexec_b32 s0, s0
	s_cbranch_execnz .LBB148_199
.LBB148_195:
	s_or_b32 exec_lo, exec_lo, s0
	flat_store_short_d16_hi v[0:1], v3 offset:96
	s_endpgm
.LBB148_196:
	s_cbranch_execnz .LBB148_69
.LBB148_197:
	s_endpgm
.LBB148_198:
	v_bfe_u32 v3, v2, 16, 1
	v_add3_u32 v3, v2, v3, 0x7fff
                                        ; implicit-def: $vgpr2
	s_andn2_saveexec_b32 s0, s0
	s_cbranch_execz .LBB148_195
.LBB148_199:
	v_mov_b32_e32 v3, 0
	v_or_b32_e32 v4, 0x10000, v2
	v_cmp_eq_u32_sdwa vcc_lo, v2, v3 src0_sel:WORD_0 src1_sel:DWORD
	v_cndmask_b32_e32 v3, v4, v2, vcc_lo
	s_or_b32 exec_lo, exec_lo, s0
	flat_store_short_d16_hi v[0:1], v3 offset:96
	s_endpgm
	.section	.rodata,"a",@progbits
	.p2align	6, 0x0
	.amdhsa_kernel _ZN12_GLOBAL__N_127rocblas_gemm_batched_kernelIfLi16ELi16ELi64ELi64ELi4ELi64ELi4ELi4ELi64ELc84ELc67EKPK16rocblas_bfloat16S4_KPS1_EEvlllT_PT11_llS9_llS7_PT12_llPT13_lli
		.amdhsa_group_segment_fixed_size 2048
		.amdhsa_private_segment_fixed_size 0
		.amdhsa_kernarg_size 140
		.amdhsa_user_sgpr_count 6
		.amdhsa_user_sgpr_private_segment_buffer 1
		.amdhsa_user_sgpr_dispatch_ptr 0
		.amdhsa_user_sgpr_queue_ptr 0
		.amdhsa_user_sgpr_kernarg_segment_ptr 1
		.amdhsa_user_sgpr_dispatch_id 0
		.amdhsa_user_sgpr_flat_scratch_init 0
		.amdhsa_user_sgpr_private_segment_size 0
		.amdhsa_wavefront_size32 1
		.amdhsa_uses_dynamic_stack 0
		.amdhsa_system_sgpr_private_segment_wavefront_offset 0
		.amdhsa_system_sgpr_workgroup_id_x 1
		.amdhsa_system_sgpr_workgroup_id_y 1
		.amdhsa_system_sgpr_workgroup_id_z 1
		.amdhsa_system_sgpr_workgroup_info 0
		.amdhsa_system_vgpr_workitem_id 1
		.amdhsa_next_free_vgpr 58
		.amdhsa_next_free_sgpr 36
		.amdhsa_reserve_vcc 1
		.amdhsa_reserve_flat_scratch 0
		.amdhsa_float_round_mode_32 0
		.amdhsa_float_round_mode_16_64 0
		.amdhsa_float_denorm_mode_32 3
		.amdhsa_float_denorm_mode_16_64 3
		.amdhsa_dx10_clamp 1
		.amdhsa_ieee_mode 1
		.amdhsa_fp16_overflow 0
		.amdhsa_workgroup_processor_mode 1
		.amdhsa_memory_ordered 1
		.amdhsa_forward_progress 1
		.amdhsa_shared_vgpr_count 0
		.amdhsa_exception_fp_ieee_invalid_op 0
		.amdhsa_exception_fp_denorm_src 0
		.amdhsa_exception_fp_ieee_div_zero 0
		.amdhsa_exception_fp_ieee_overflow 0
		.amdhsa_exception_fp_ieee_underflow 0
		.amdhsa_exception_fp_ieee_inexact 0
		.amdhsa_exception_int_div_zero 0
	.end_amdhsa_kernel
	.section	.text._ZN12_GLOBAL__N_127rocblas_gemm_batched_kernelIfLi16ELi16ELi64ELi64ELi4ELi64ELi4ELi4ELi64ELc84ELc67EKPK16rocblas_bfloat16S4_KPS1_EEvlllT_PT11_llS9_llS7_PT12_llPT13_lli,"axG",@progbits,_ZN12_GLOBAL__N_127rocblas_gemm_batched_kernelIfLi16ELi16ELi64ELi64ELi4ELi64ELi4ELi4ELi64ELc84ELc67EKPK16rocblas_bfloat16S4_KPS1_EEvlllT_PT11_llS9_llS7_PT12_llPT13_lli,comdat
.Lfunc_end148:
	.size	_ZN12_GLOBAL__N_127rocblas_gemm_batched_kernelIfLi16ELi16ELi64ELi64ELi4ELi64ELi4ELi4ELi64ELc84ELc67EKPK16rocblas_bfloat16S4_KPS1_EEvlllT_PT11_llS9_llS7_PT12_llPT13_lli, .Lfunc_end148-_ZN12_GLOBAL__N_127rocblas_gemm_batched_kernelIfLi16ELi16ELi64ELi64ELi4ELi64ELi4ELi4ELi64ELc84ELc67EKPK16rocblas_bfloat16S4_KPS1_EEvlllT_PT11_llS9_llS7_PT12_llPT13_lli
                                        ; -- End function
	.set _ZN12_GLOBAL__N_127rocblas_gemm_batched_kernelIfLi16ELi16ELi64ELi64ELi4ELi64ELi4ELi4ELi64ELc84ELc67EKPK16rocblas_bfloat16S4_KPS1_EEvlllT_PT11_llS9_llS7_PT12_llPT13_lli.num_vgpr, 58
	.set _ZN12_GLOBAL__N_127rocblas_gemm_batched_kernelIfLi16ELi16ELi64ELi64ELi4ELi64ELi4ELi4ELi64ELc84ELc67EKPK16rocblas_bfloat16S4_KPS1_EEvlllT_PT11_llS9_llS7_PT12_llPT13_lli.num_agpr, 0
	.set _ZN12_GLOBAL__N_127rocblas_gemm_batched_kernelIfLi16ELi16ELi64ELi64ELi4ELi64ELi4ELi4ELi64ELc84ELc67EKPK16rocblas_bfloat16S4_KPS1_EEvlllT_PT11_llS9_llS7_PT12_llPT13_lli.numbered_sgpr, 36
	.set _ZN12_GLOBAL__N_127rocblas_gemm_batched_kernelIfLi16ELi16ELi64ELi64ELi4ELi64ELi4ELi4ELi64ELc84ELc67EKPK16rocblas_bfloat16S4_KPS1_EEvlllT_PT11_llS9_llS7_PT12_llPT13_lli.num_named_barrier, 0
	.set _ZN12_GLOBAL__N_127rocblas_gemm_batched_kernelIfLi16ELi16ELi64ELi64ELi4ELi64ELi4ELi4ELi64ELc84ELc67EKPK16rocblas_bfloat16S4_KPS1_EEvlllT_PT11_llS9_llS7_PT12_llPT13_lli.private_seg_size, 0
	.set _ZN12_GLOBAL__N_127rocblas_gemm_batched_kernelIfLi16ELi16ELi64ELi64ELi4ELi64ELi4ELi4ELi64ELc84ELc67EKPK16rocblas_bfloat16S4_KPS1_EEvlllT_PT11_llS9_llS7_PT12_llPT13_lli.uses_vcc, 1
	.set _ZN12_GLOBAL__N_127rocblas_gemm_batched_kernelIfLi16ELi16ELi64ELi64ELi4ELi64ELi4ELi4ELi64ELc84ELc67EKPK16rocblas_bfloat16S4_KPS1_EEvlllT_PT11_llS9_llS7_PT12_llPT13_lli.uses_flat_scratch, 0
	.set _ZN12_GLOBAL__N_127rocblas_gemm_batched_kernelIfLi16ELi16ELi64ELi64ELi4ELi64ELi4ELi4ELi64ELc84ELc67EKPK16rocblas_bfloat16S4_KPS1_EEvlllT_PT11_llS9_llS7_PT12_llPT13_lli.has_dyn_sized_stack, 0
	.set _ZN12_GLOBAL__N_127rocblas_gemm_batched_kernelIfLi16ELi16ELi64ELi64ELi4ELi64ELi4ELi4ELi64ELc84ELc67EKPK16rocblas_bfloat16S4_KPS1_EEvlllT_PT11_llS9_llS7_PT12_llPT13_lli.has_recursion, 0
	.set _ZN12_GLOBAL__N_127rocblas_gemm_batched_kernelIfLi16ELi16ELi64ELi64ELi4ELi64ELi4ELi4ELi64ELc84ELc67EKPK16rocblas_bfloat16S4_KPS1_EEvlllT_PT11_llS9_llS7_PT12_llPT13_lli.has_indirect_call, 0
	.section	.AMDGPU.csdata,"",@progbits
; Kernel info:
; codeLenInByte = 6236
; TotalNumSgprs: 38
; NumVgprs: 58
; ScratchSize: 0
; MemoryBound: 0
; FloatMode: 240
; IeeeMode: 1
; LDSByteSize: 2048 bytes/workgroup (compile time only)
; SGPRBlocks: 0
; VGPRBlocks: 7
; NumSGPRsForWavesPerEU: 38
; NumVGPRsForWavesPerEU: 58
; Occupancy: 16
; WaveLimiterHint : 1
; COMPUTE_PGM_RSRC2:SCRATCH_EN: 0
; COMPUTE_PGM_RSRC2:USER_SGPR: 6
; COMPUTE_PGM_RSRC2:TRAP_HANDLER: 0
; COMPUTE_PGM_RSRC2:TGID_X_EN: 1
; COMPUTE_PGM_RSRC2:TGID_Y_EN: 1
; COMPUTE_PGM_RSRC2:TGID_Z_EN: 1
; COMPUTE_PGM_RSRC2:TIDIG_COMP_CNT: 1
	.section	.text._ZN12_GLOBAL__N_127rocblas_gemm_batched_kernelIfLi16ELi16ELi32ELi32ELi8ELi32ELi8ELi8ELi32ELc78ELc78EKPK16rocblas_bfloat16S4_KPS1_EEvlllT_PT11_llS9_llS7_PT12_llPT13_lli,"axG",@progbits,_ZN12_GLOBAL__N_127rocblas_gemm_batched_kernelIfLi16ELi16ELi32ELi32ELi8ELi32ELi8ELi8ELi32ELc78ELc78EKPK16rocblas_bfloat16S4_KPS1_EEvlllT_PT11_llS9_llS7_PT12_llPT13_lli,comdat
	.globl	_ZN12_GLOBAL__N_127rocblas_gemm_batched_kernelIfLi16ELi16ELi32ELi32ELi8ELi32ELi8ELi8ELi32ELc78ELc78EKPK16rocblas_bfloat16S4_KPS1_EEvlllT_PT11_llS9_llS7_PT12_llPT13_lli ; -- Begin function _ZN12_GLOBAL__N_127rocblas_gemm_batched_kernelIfLi16ELi16ELi32ELi32ELi8ELi32ELi8ELi8ELi32ELc78ELc78EKPK16rocblas_bfloat16S4_KPS1_EEvlllT_PT11_llS9_llS7_PT12_llPT13_lli
	.p2align	8
	.type	_ZN12_GLOBAL__N_127rocblas_gemm_batched_kernelIfLi16ELi16ELi32ELi32ELi8ELi32ELi8ELi8ELi32ELc78ELc78EKPK16rocblas_bfloat16S4_KPS1_EEvlllT_PT11_llS9_llS7_PT12_llPT13_lli,@function
_ZN12_GLOBAL__N_127rocblas_gemm_batched_kernelIfLi16ELi16ELi32ELi32ELi8ELi32ELi8ELi8ELi32ELc78ELc78EKPK16rocblas_bfloat16S4_KPS1_EEvlllT_PT11_llS9_llS7_PT12_llPT13_lli: ; @_ZN12_GLOBAL__N_127rocblas_gemm_batched_kernelIfLi16ELi16ELi32ELi32ELi8ELi32ELi8ELi8ELi32ELc78ELc78EKPK16rocblas_bfloat16S4_KPS1_EEvlllT_PT11_llS9_llS7_PT12_llPT13_lli
; %bb.0:
	s_clause 0x1
	s_load_dwordx8 s[12:19], s[4:5], 0x58
	s_load_dwordx2 s[28:29], s[4:5], 0x10
	s_mov_b32 s9, 0
	s_load_dwordx4 s[0:3], s[4:5], 0x78
	s_lshl_b64 s[34:35], s[8:9], 3
	s_mov_b32 s10, s7
	v_mov_b32_e32 v9, 0
	v_mov_b32_e32 v8, 0
	;; [unrolled: 1-line block ×4, first 2 shown]
	s_waitcnt lgkmcnt(0)
	s_add_u32 s8, s12, s34
	s_addc_u32 s9, s13, s35
	s_add_u32 s18, s18, s34
	s_addc_u32 s19, s19, s35
	s_load_dwordx2 s[12:13], s[8:9], 0x0
	s_load_dwordx2 s[18:19], s[18:19], 0x0
	v_cmp_lt_i64_e64 s8, s[28:29], 1
	s_ashr_i32 s7, s6, 31
	s_ashr_i32 s11, s10, 31
	s_lshl_b64 s[6:7], s[6:7], 5
	s_lshl_b64 s[30:31], s[10:11], 5
	s_and_b32 vcc_lo, exec_lo, s8
	s_cbranch_vccnz .LBB149_3
; %bb.1:
	s_clause 0x1
	s_load_dwordx8 s[20:27], s[4:5], 0x20
	s_load_dwordx4 s[8:11], s[4:5], 0x40
	v_lshl_add_u32 v2, v1, 4, v0
	v_and_b32_e32 v7, 7, v0
	v_mov_b32_e32 v6, 0
	v_lshlrev_b32_e32 v10, 2, v0
	v_lshrrev_b32_e32 v8, 3, v2
	v_lshrrev_b32_e32 v14, 5, v2
	v_lshlrev_b32_e32 v11, 2, v7
	v_and_b32_e32 v9, 31, v2
	v_lshlrev_b32_e32 v17, 1, v7
	v_add_co_u32 v4, s33, v8, s30
	v_add_co_ci_u32_e64 v5, null, 0, s31, s33
	v_lshl_or_b32 v8, v8, 5, v11
	v_lshlrev_b32_e32 v12, 2, v9
	v_lshl_add_u32 v11, v1, 5, 0x400
	s_waitcnt lgkmcnt(0)
	s_add_u32 s20, s20, s34
	s_addc_u32 s21, s21, s35
	v_mad_u64_u32 v[2:3], null, s22, v14, s[6:7]
	s_load_dwordx2 s[20:21], s[20:21], 0x0
	v_mul_lo_u32 v15, s9, v4
	v_mul_lo_u32 v16, s8, v5
	v_mad_u64_u32 v[4:5], null, s8, v4, 0
	s_add_u32 s8, s26, s34
	s_addc_u32 s9, s27, s35
	v_add_nc_u32_e32 v13, 0x400, v8
	s_load_dwordx2 s[8:9], s[8:9], 0x0
	s_lshl_b64 s[24:25], s[24:25], 1
	v_lshl_or_b32 v12, v14, 7, v12
	v_add3_u32 v5, v5, v16, v15
	v_mad_u64_u32 v[7:8], null, s23, v14, v[3:4]
	v_add_co_u32 v8, vcc_lo, v2, v9
	v_lshlrev_b64 v[3:4], 1, v[4:5]
	v_add_co_ci_u32_e64 v9, null, 0, v7, vcc_lo
	s_waitcnt lgkmcnt(0)
	s_add_u32 s20, s20, s24
	s_addc_u32 s21, s21, s25
	s_lshl_b64 s[10:11], s[10:11], 1
	v_add_co_u32 v5, vcc_lo, v3, s10
	v_add_co_ci_u32_e64 v4, null, s11, v4, vcc_lo
	v_lshlrev_b64 v[2:3], 1, v[8:9]
	v_add_co_u32 v5, vcc_lo, v5, v17
	v_add_co_ci_u32_e64 v7, null, 0, v4, vcc_lo
	v_mov_b32_e32 v8, 0
	v_add_co_u32 v2, vcc_lo, s20, v2
	v_add_co_ci_u32_e64 v3, null, s21, v3, vcc_lo
	v_add_co_u32 v4, vcc_lo, s8, v5
	v_add_co_ci_u32_e64 v5, null, s9, v7, vcc_lo
	v_mov_b32_e32 v7, 0
	v_mov_b32_e32 v9, 0
	s_lshl_b64 s[8:9], s[22:23], 4
	s_mov_b64 s[10:11], 0
.LBB149_2:                              ; =>This Inner Loop Header: Depth=1
	flat_load_ushort v14, v[2:3]
	flat_load_ushort v15, v[4:5]
	s_add_u32 s10, s10, 8
	s_addc_u32 s11, s11, 0
	v_add_co_u32 v2, vcc_lo, v2, s8
	v_cmp_lt_i64_e64 s20, s[10:11], s[28:29]
	v_add_co_ci_u32_e64 v3, null, s9, v3, vcc_lo
	v_add_co_u32 v4, vcc_lo, v4, 16
	v_add_co_ci_u32_e64 v5, null, 0, v5, vcc_lo
	s_and_b32 vcc_lo, exec_lo, s20
	s_waitcnt vmcnt(1) lgkmcnt(1)
	v_lshlrev_b32_e32 v14, 16, v14
	s_waitcnt vmcnt(0) lgkmcnt(0)
	v_lshlrev_b32_e32 v15, 16, v15
	ds_write_b32 v12, v14
	ds_write_b32 v13, v15
	s_waitcnt lgkmcnt(0)
	s_barrier
	buffer_gl0_inv
	ds_read_b128 v[14:17], v11
	ds_read2_b32 v[30:31], v10 offset1:16
	ds_read_b128 v[18:21], v11 offset:512
	ds_read2_b32 v[32:33], v10 offset0:32 offset1:48
	ds_read2_b32 v[34:35], v10 offset0:64 offset1:80
	ds_read_b128 v[22:25], v11 offset:16
	ds_read2_b32 v[36:37], v10 offset0:96 offset1:112
	ds_read2_b32 v[38:39], v10 offset0:128 offset1:144
	;; [unrolled: 3-line block ×3, first 2 shown]
	ds_read2_b32 v[44:45], v10 offset0:224 offset1:240
	s_waitcnt lgkmcnt(0)
	s_barrier
	buffer_gl0_inv
	v_fmac_f32_e32 v9, v30, v14
	v_fmac_f32_e32 v8, v31, v14
	;; [unrolled: 1-line block ×32, first 2 shown]
	s_cbranch_vccnz .LBB149_2
.LBB149_3:
	s_clause 0x1
	s_load_dword s8, s[4:5], 0x50
	s_load_dword s4, s[4:5], 0x18
	v_add_co_u32 v10, s5, s30, v1
	v_add_co_ci_u32_e64 v11, null, s31, 0, s5
	v_add_co_u32 v0, s6, s6, v0
	s_lshl_b64 s[2:3], s[2:3], 1
	v_add_co_ci_u32_e64 v1, null, s7, 0, s6
	s_waitcnt lgkmcnt(0)
	s_add_u32 s2, s18, s2
	s_addc_u32 s3, s19, s3
	v_cmp_neq_f32_e64 s5, s8, 0
	s_and_b32 vcc_lo, exec_lo, s5
	s_cbranch_vccnz .LBB149_52
; %bb.4:
	v_mul_f32_e32 v2, s4, v9
	s_mov_b32 s5, exec_lo
                                        ; implicit-def: $vgpr14
	v_and_b32_e32 v3, 0x7f800000, v2
	v_cmpx_ne_u32_e32 0x7f800000, v3
	s_xor_b32 s5, exec_lo, s5
; %bb.5:
	v_bfe_u32 v3, v2, 16, 1
	v_add3_u32 v14, v2, v3, 0x7fff
                                        ; implicit-def: $vgpr2
; %bb.6:
	s_andn2_saveexec_b32 s5, s5
; %bb.7:
	v_mov_b32_e32 v3, 0
	v_or_b32_e32 v4, 0x10000, v2
	v_cmp_eq_u32_sdwa vcc_lo, v2, v3 src0_sel:WORD_0 src1_sel:DWORD
	v_cndmask_b32_e32 v14, v4, v2, vcc_lo
; %bb.8:
	s_or_b32 exec_lo, exec_lo, s5
	v_mul_lo_u32 v4, v11, s0
	v_mul_lo_u32 v5, v10, s1
	v_mad_u64_u32 v[2:3], null, v10, s0, 0
	v_mul_f32_e32 v15, s4, v8
	v_and_b32_e32 v16, 0x7f800000, v15
	v_add3_u32 v3, v3, v5, v4
	v_lshlrev_b64 v[4:5], 1, v[2:3]
	v_lshlrev_b64 v[2:3], 1, v[0:1]
	v_add_co_u32 v12, vcc_lo, s2, v4
	v_add_co_ci_u32_e64 v13, null, s3, v5, vcc_lo
	v_add_co_u32 v4, vcc_lo, v12, v2
	v_add_co_ci_u32_e64 v5, null, v13, v3, vcc_lo
	v_cmp_ne_u32_e32 vcc_lo, 0x7f800000, v16
                                        ; implicit-def: $vgpr16
	flat_store_short_d16_hi v[4:5], v14
	s_and_saveexec_b32 s5, vcc_lo
	s_xor_b32 s5, exec_lo, s5
; %bb.9:
	v_bfe_u32 v14, v15, 16, 1
	v_add3_u32 v16, v15, v14, 0x7fff
                                        ; implicit-def: $vgpr15
; %bb.10:
	s_andn2_saveexec_b32 s5, s5
; %bb.11:
	v_mov_b32_e32 v14, 0
	v_or_b32_e32 v16, 0x10000, v15
	v_cmp_eq_u32_sdwa vcc_lo, v15, v14 src0_sel:WORD_0 src1_sel:DWORD
	v_cndmask_b32_e32 v16, v16, v15, vcc_lo
; %bb.12:
	s_or_b32 exec_lo, exec_lo, s5
	v_mul_f32_e32 v14, s4, v7
	s_mov_b32 s5, exec_lo
	flat_store_short_d16_hi v[4:5], v16 offset:32
                                        ; implicit-def: $vgpr4
	v_and_b32_e32 v15, 0x7f800000, v14
	v_cmpx_ne_u32_e32 0x7f800000, v15
	s_xor_b32 s5, exec_lo, s5
; %bb.13:
	v_bfe_u32 v4, v14, 16, 1
	v_add3_u32 v4, v14, v4, 0x7fff
                                        ; implicit-def: $vgpr14
; %bb.14:
	s_andn2_saveexec_b32 s5, s5
; %bb.15:
	v_mov_b32_e32 v4, 0
	v_or_b32_e32 v5, 0x10000, v14
	v_cmp_eq_u32_sdwa vcc_lo, v14, v4 src0_sel:WORD_0 src1_sel:DWORD
	v_cndmask_b32_e32 v4, v5, v14, vcc_lo
; %bb.16:
	s_or_b32 exec_lo, exec_lo, s5
	s_lshl_b64 s[6:7], s[0:1], 5
	v_mul_f32_e32 v5, s4, v6
	v_add_co_u32 v12, vcc_lo, v12, s6
	v_add_co_ci_u32_e64 v13, null, s7, v13, vcc_lo
	v_and_b32_e32 v14, 0x7f800000, v5
	v_add_co_u32 v2, vcc_lo, v12, v2
	v_add_co_ci_u32_e64 v3, null, v13, v3, vcc_lo
	s_mov_b32 s5, exec_lo
	flat_store_short_d16_hi v[2:3], v4
                                        ; implicit-def: $vgpr4
	v_cmpx_ne_u32_e32 0x7f800000, v14
	s_xor_b32 s5, exec_lo, s5
; %bb.17:
	v_bfe_u32 v4, v5, 16, 1
	v_add3_u32 v4, v5, v4, 0x7fff
                                        ; implicit-def: $vgpr5
; %bb.18:
	s_andn2_saveexec_b32 s5, s5
; %bb.19:
	v_mov_b32_e32 v4, 0
	v_or_b32_e32 v12, 0x10000, v5
	v_cmp_eq_u32_sdwa vcc_lo, v5, v4 src0_sel:WORD_0 src1_sel:DWORD
	v_cndmask_b32_e32 v4, v12, v5, vcc_lo
; %bb.20:
	s_or_b32 exec_lo, exec_lo, s5
	flat_store_short_d16_hi v[2:3], v4 offset:32
	s_branch .LBB149_53
.LBB149_21:
	v_mul_lo_u32 v4, v11, s14
	v_mul_lo_u32 v5, v10, s15
	v_mad_u64_u32 v[2:3], null, v10, s14, 0
	s_lshl_b64 s[6:7], s[16:17], 1
	v_lshlrev_b64 v[0:1], 1, v[0:1]
	s_add_u32 s5, s12, s6
	s_addc_u32 s6, s13, s7
	v_add3_u32 v3, v3, v5, v4
	v_lshlrev_b64 v[2:3], 1, v[2:3]
	v_add_co_u32 v12, vcc_lo, s5, v2
	v_add_co_ci_u32_e64 v13, null, s6, v3, vcc_lo
	v_add_co_u32 v2, vcc_lo, v12, v0
	v_add_co_ci_u32_e64 v3, null, v13, v1, vcc_lo
	flat_load_ushort v4, v[2:3]
	s_waitcnt vmcnt(0) lgkmcnt(0)
	v_lshlrev_b32_e32 v4, 16, v4
	v_mul_f32_e32 v4, s8, v4
	v_and_b32_e32 v5, 0x7f800000, v4
	v_cmp_ne_u32_e32 vcc_lo, 0x7f800000, v5
                                        ; implicit-def: $vgpr5
	s_and_saveexec_b32 s5, vcc_lo
	s_xor_b32 s5, exec_lo, s5
; %bb.22:
	v_bfe_u32 v5, v4, 16, 1
	v_add3_u32 v5, v4, v5, 0x7fff
                                        ; implicit-def: $vgpr4
; %bb.23:
	s_andn2_saveexec_b32 s5, s5
; %bb.24:
	v_mov_b32_e32 v5, 0
	v_or_b32_e32 v14, 0x10000, v4
	v_cmp_eq_u32_sdwa vcc_lo, v4, v5 src0_sel:WORD_0 src1_sel:DWORD
	v_cndmask_b32_e32 v5, v14, v4, vcc_lo
; %bb.25:
	s_or_b32 exec_lo, exec_lo, s5
	v_and_b32_e32 v4, 0xffff0000, v5
	s_mov_b32 s5, exec_lo
                                        ; implicit-def: $vgpr14
	v_fmac_f32_e32 v4, s4, v9
	v_and_b32_e32 v5, 0x7f800000, v4
	v_cmpx_ne_u32_e32 0x7f800000, v5
	s_xor_b32 s5, exec_lo, s5
; %bb.26:
	v_bfe_u32 v5, v4, 16, 1
	v_add3_u32 v14, v4, v5, 0x7fff
                                        ; implicit-def: $vgpr4
; %bb.27:
	s_andn2_saveexec_b32 s5, s5
; %bb.28:
	v_mov_b32_e32 v5, 0
	v_or_b32_e32 v9, 0x10000, v4
	v_cmp_eq_u32_sdwa vcc_lo, v4, v5 src0_sel:WORD_0 src1_sel:DWORD
	v_cndmask_b32_e32 v14, v9, v4, vcc_lo
; %bb.29:
	s_or_b32 exec_lo, exec_lo, s5
	v_mul_lo_u32 v9, v11, s0
	v_mul_lo_u32 v11, v10, s1
	v_mad_u64_u32 v[4:5], null, v10, s0, 0
	v_add3_u32 v5, v5, v11, v9
	v_lshlrev_b64 v[4:5], 1, v[4:5]
	v_add_co_u32 v9, vcc_lo, s2, v4
	v_add_co_ci_u32_e64 v10, null, s3, v5, vcc_lo
	v_add_co_u32 v4, vcc_lo, v9, v0
	v_add_co_ci_u32_e64 v5, null, v10, v1, vcc_lo
	flat_store_short_d16_hi v[4:5], v14
	flat_load_ushort v2, v[2:3] offset:32
	s_waitcnt vmcnt(0) lgkmcnt(0)
	v_lshlrev_b32_e32 v2, 16, v2
	v_mul_f32_e32 v2, s8, v2
	v_and_b32_e32 v3, 0x7f800000, v2
	v_cmp_ne_u32_e32 vcc_lo, 0x7f800000, v3
                                        ; implicit-def: $vgpr3
	s_and_saveexec_b32 s2, vcc_lo
	s_xor_b32 s2, exec_lo, s2
; %bb.30:
	v_bfe_u32 v3, v2, 16, 1
	v_add3_u32 v3, v2, v3, 0x7fff
                                        ; implicit-def: $vgpr2
; %bb.31:
	s_andn2_saveexec_b32 s2, s2
; %bb.32:
	v_mov_b32_e32 v3, 0
	v_or_b32_e32 v11, 0x10000, v2
	v_cmp_eq_u32_sdwa vcc_lo, v2, v3 src0_sel:WORD_0 src1_sel:DWORD
	v_cndmask_b32_e32 v3, v11, v2, vcc_lo
; %bb.33:
	s_or_b32 exec_lo, exec_lo, s2
	v_and_b32_e32 v2, 0xffff0000, v3
	s_mov_b32 s2, exec_lo
	v_fmac_f32_e32 v2, s4, v8
                                        ; implicit-def: $vgpr8
	v_and_b32_e32 v3, 0x7f800000, v2
	v_cmpx_ne_u32_e32 0x7f800000, v3
	s_xor_b32 s2, exec_lo, s2
; %bb.34:
	v_bfe_u32 v3, v2, 16, 1
	v_add3_u32 v8, v2, v3, 0x7fff
                                        ; implicit-def: $vgpr2
; %bb.35:
	s_andn2_saveexec_b32 s2, s2
; %bb.36:
	v_mov_b32_e32 v3, 0
	v_or_b32_e32 v8, 0x10000, v2
	v_cmp_eq_u32_sdwa vcc_lo, v2, v3 src0_sel:WORD_0 src1_sel:DWORD
	v_cndmask_b32_e32 v8, v8, v2, vcc_lo
; %bb.37:
	s_or_b32 exec_lo, exec_lo, s2
	s_lshl_b64 s[2:3], s[14:15], 5
	flat_store_short_d16_hi v[4:5], v8 offset:32
	v_add_co_u32 v2, vcc_lo, v12, s2
	v_add_co_ci_u32_e64 v3, null, s3, v13, vcc_lo
	v_add_co_u32 v2, vcc_lo, v2, v0
	v_add_co_ci_u32_e64 v3, null, v3, v1, vcc_lo
	flat_load_ushort v4, v[2:3]
	s_waitcnt vmcnt(0) lgkmcnt(0)
	v_lshlrev_b32_e32 v4, 16, v4
	v_mul_f32_e32 v4, s8, v4
	v_and_b32_e32 v5, 0x7f800000, v4
	v_cmp_ne_u32_e32 vcc_lo, 0x7f800000, v5
                                        ; implicit-def: $vgpr5
	s_and_saveexec_b32 s2, vcc_lo
	s_xor_b32 s2, exec_lo, s2
; %bb.38:
	v_bfe_u32 v5, v4, 16, 1
	v_add3_u32 v5, v4, v5, 0x7fff
                                        ; implicit-def: $vgpr4
; %bb.39:
	s_andn2_saveexec_b32 s2, s2
; %bb.40:
	v_mov_b32_e32 v5, 0
	v_or_b32_e32 v8, 0x10000, v4
	v_cmp_eq_u32_sdwa vcc_lo, v4, v5 src0_sel:WORD_0 src1_sel:DWORD
	v_cndmask_b32_e32 v5, v8, v4, vcc_lo
; %bb.41:
	s_or_b32 exec_lo, exec_lo, s2
	v_and_b32_e32 v5, 0xffff0000, v5
	v_fmac_f32_e32 v5, s4, v7
	v_and_b32_e32 v4, 0x7f800000, v5
	v_cmp_ne_u32_e32 vcc_lo, 0x7f800000, v4
                                        ; implicit-def: $vgpr4
	s_and_saveexec_b32 s2, vcc_lo
	s_xor_b32 s2, exec_lo, s2
; %bb.42:
	v_bfe_u32 v4, v5, 16, 1
	v_add3_u32 v4, v5, v4, 0x7fff
                                        ; implicit-def: $vgpr5
; %bb.43:
	s_andn2_saveexec_b32 s2, s2
; %bb.44:
	v_mov_b32_e32 v4, 0
	v_or_b32_e32 v7, 0x10000, v5
	v_cmp_eq_u32_sdwa vcc_lo, v5, v4 src0_sel:WORD_0 src1_sel:DWORD
	v_cndmask_b32_e32 v4, v7, v5, vcc_lo
; %bb.45:
	s_or_b32 exec_lo, exec_lo, s2
	s_lshl_b64 s[0:1], s[0:1], 5
	v_add_co_u32 v5, vcc_lo, v9, s0
	v_add_co_ci_u32_e64 v7, null, s1, v10, vcc_lo
	v_add_co_u32 v0, vcc_lo, v5, v0
	v_add_co_ci_u32_e64 v1, null, v7, v1, vcc_lo
	flat_store_short_d16_hi v[0:1], v4
	flat_load_ushort v2, v[2:3] offset:32
	s_waitcnt vmcnt(0) lgkmcnt(0)
	v_lshlrev_b32_e32 v2, 16, v2
	v_mul_f32_e32 v2, s8, v2
	v_and_b32_e32 v3, 0x7f800000, v2
	v_cmp_ne_u32_e32 vcc_lo, 0x7f800000, v3
                                        ; implicit-def: $vgpr3
	s_and_saveexec_b32 s0, vcc_lo
	s_xor_b32 s0, exec_lo, s0
; %bb.46:
	v_bfe_u32 v3, v2, 16, 1
	v_add3_u32 v3, v2, v3, 0x7fff
                                        ; implicit-def: $vgpr2
; %bb.47:
	s_andn2_saveexec_b32 s0, s0
; %bb.48:
	v_mov_b32_e32 v3, 0
	v_or_b32_e32 v4, 0x10000, v2
	v_cmp_eq_u32_sdwa vcc_lo, v2, v3 src0_sel:WORD_0 src1_sel:DWORD
	v_cndmask_b32_e32 v3, v4, v2, vcc_lo
; %bb.49:
	s_or_b32 exec_lo, exec_lo, s0
	v_and_b32_e32 v2, 0xffff0000, v3
	v_fmac_f32_e32 v2, s4, v6
	v_and_b32_e32 v3, 0x7f800000, v2
	v_cmp_ne_u32_e32 vcc_lo, 0x7f800000, v3
                                        ; implicit-def: $vgpr3
	s_and_saveexec_b32 s0, vcc_lo
	s_xor_b32 s0, exec_lo, s0
	s_cbranch_execnz .LBB149_54
; %bb.50:
	s_andn2_saveexec_b32 s0, s0
	s_cbranch_execnz .LBB149_55
.LBB149_51:
	s_or_b32 exec_lo, exec_lo, s0
	flat_store_short_d16_hi v[0:1], v3 offset:32
	s_endpgm
.LBB149_52:
	s_cbranch_execnz .LBB149_21
.LBB149_53:
	s_endpgm
.LBB149_54:
	v_bfe_u32 v3, v2, 16, 1
	v_add3_u32 v3, v2, v3, 0x7fff
                                        ; implicit-def: $vgpr2
	s_andn2_saveexec_b32 s0, s0
	s_cbranch_execz .LBB149_51
.LBB149_55:
	v_mov_b32_e32 v3, 0
	v_or_b32_e32 v4, 0x10000, v2
	v_cmp_eq_u32_sdwa vcc_lo, v2, v3 src0_sel:WORD_0 src1_sel:DWORD
	v_cndmask_b32_e32 v3, v4, v2, vcc_lo
	s_or_b32 exec_lo, exec_lo, s0
	flat_store_short_d16_hi v[0:1], v3 offset:32
	s_endpgm
	.section	.rodata,"a",@progbits
	.p2align	6, 0x0
	.amdhsa_kernel _ZN12_GLOBAL__N_127rocblas_gemm_batched_kernelIfLi16ELi16ELi32ELi32ELi8ELi32ELi8ELi8ELi32ELc78ELc78EKPK16rocblas_bfloat16S4_KPS1_EEvlllT_PT11_llS9_llS7_PT12_llPT13_lli
		.amdhsa_group_segment_fixed_size 2048
		.amdhsa_private_segment_fixed_size 0
		.amdhsa_kernarg_size 140
		.amdhsa_user_sgpr_count 6
		.amdhsa_user_sgpr_private_segment_buffer 1
		.amdhsa_user_sgpr_dispatch_ptr 0
		.amdhsa_user_sgpr_queue_ptr 0
		.amdhsa_user_sgpr_kernarg_segment_ptr 1
		.amdhsa_user_sgpr_dispatch_id 0
		.amdhsa_user_sgpr_flat_scratch_init 0
		.amdhsa_user_sgpr_private_segment_size 0
		.amdhsa_wavefront_size32 1
		.amdhsa_uses_dynamic_stack 0
		.amdhsa_system_sgpr_private_segment_wavefront_offset 0
		.amdhsa_system_sgpr_workgroup_id_x 1
		.amdhsa_system_sgpr_workgroup_id_y 1
		.amdhsa_system_sgpr_workgroup_id_z 1
		.amdhsa_system_sgpr_workgroup_info 0
		.amdhsa_system_vgpr_workitem_id 1
		.amdhsa_next_free_vgpr 46
		.amdhsa_next_free_sgpr 36
		.amdhsa_reserve_vcc 1
		.amdhsa_reserve_flat_scratch 0
		.amdhsa_float_round_mode_32 0
		.amdhsa_float_round_mode_16_64 0
		.amdhsa_float_denorm_mode_32 3
		.amdhsa_float_denorm_mode_16_64 3
		.amdhsa_dx10_clamp 1
		.amdhsa_ieee_mode 1
		.amdhsa_fp16_overflow 0
		.amdhsa_workgroup_processor_mode 1
		.amdhsa_memory_ordered 1
		.amdhsa_forward_progress 1
		.amdhsa_shared_vgpr_count 0
		.amdhsa_exception_fp_ieee_invalid_op 0
		.amdhsa_exception_fp_denorm_src 0
		.amdhsa_exception_fp_ieee_div_zero 0
		.amdhsa_exception_fp_ieee_overflow 0
		.amdhsa_exception_fp_ieee_underflow 0
		.amdhsa_exception_fp_ieee_inexact 0
		.amdhsa_exception_int_div_zero 0
	.end_amdhsa_kernel
	.section	.text._ZN12_GLOBAL__N_127rocblas_gemm_batched_kernelIfLi16ELi16ELi32ELi32ELi8ELi32ELi8ELi8ELi32ELc78ELc78EKPK16rocblas_bfloat16S4_KPS1_EEvlllT_PT11_llS9_llS7_PT12_llPT13_lli,"axG",@progbits,_ZN12_GLOBAL__N_127rocblas_gemm_batched_kernelIfLi16ELi16ELi32ELi32ELi8ELi32ELi8ELi8ELi32ELc78ELc78EKPK16rocblas_bfloat16S4_KPS1_EEvlllT_PT11_llS9_llS7_PT12_llPT13_lli,comdat
.Lfunc_end149:
	.size	_ZN12_GLOBAL__N_127rocblas_gemm_batched_kernelIfLi16ELi16ELi32ELi32ELi8ELi32ELi8ELi8ELi32ELc78ELc78EKPK16rocblas_bfloat16S4_KPS1_EEvlllT_PT11_llS9_llS7_PT12_llPT13_lli, .Lfunc_end149-_ZN12_GLOBAL__N_127rocblas_gemm_batched_kernelIfLi16ELi16ELi32ELi32ELi8ELi32ELi8ELi8ELi32ELc78ELc78EKPK16rocblas_bfloat16S4_KPS1_EEvlllT_PT11_llS9_llS7_PT12_llPT13_lli
                                        ; -- End function
	.set _ZN12_GLOBAL__N_127rocblas_gemm_batched_kernelIfLi16ELi16ELi32ELi32ELi8ELi32ELi8ELi8ELi32ELc78ELc78EKPK16rocblas_bfloat16S4_KPS1_EEvlllT_PT11_llS9_llS7_PT12_llPT13_lli.num_vgpr, 46
	.set _ZN12_GLOBAL__N_127rocblas_gemm_batched_kernelIfLi16ELi16ELi32ELi32ELi8ELi32ELi8ELi8ELi32ELc78ELc78EKPK16rocblas_bfloat16S4_KPS1_EEvlllT_PT11_llS9_llS7_PT12_llPT13_lli.num_agpr, 0
	.set _ZN12_GLOBAL__N_127rocblas_gemm_batched_kernelIfLi16ELi16ELi32ELi32ELi8ELi32ELi8ELi8ELi32ELc78ELc78EKPK16rocblas_bfloat16S4_KPS1_EEvlllT_PT11_llS9_llS7_PT12_llPT13_lli.numbered_sgpr, 36
	.set _ZN12_GLOBAL__N_127rocblas_gemm_batched_kernelIfLi16ELi16ELi32ELi32ELi8ELi32ELi8ELi8ELi32ELc78ELc78EKPK16rocblas_bfloat16S4_KPS1_EEvlllT_PT11_llS9_llS7_PT12_llPT13_lli.num_named_barrier, 0
	.set _ZN12_GLOBAL__N_127rocblas_gemm_batched_kernelIfLi16ELi16ELi32ELi32ELi8ELi32ELi8ELi8ELi32ELc78ELc78EKPK16rocblas_bfloat16S4_KPS1_EEvlllT_PT11_llS9_llS7_PT12_llPT13_lli.private_seg_size, 0
	.set _ZN12_GLOBAL__N_127rocblas_gemm_batched_kernelIfLi16ELi16ELi32ELi32ELi8ELi32ELi8ELi8ELi32ELc78ELc78EKPK16rocblas_bfloat16S4_KPS1_EEvlllT_PT11_llS9_llS7_PT12_llPT13_lli.uses_vcc, 1
	.set _ZN12_GLOBAL__N_127rocblas_gemm_batched_kernelIfLi16ELi16ELi32ELi32ELi8ELi32ELi8ELi8ELi32ELc78ELc78EKPK16rocblas_bfloat16S4_KPS1_EEvlllT_PT11_llS9_llS7_PT12_llPT13_lli.uses_flat_scratch, 0
	.set _ZN12_GLOBAL__N_127rocblas_gemm_batched_kernelIfLi16ELi16ELi32ELi32ELi8ELi32ELi8ELi8ELi32ELc78ELc78EKPK16rocblas_bfloat16S4_KPS1_EEvlllT_PT11_llS9_llS7_PT12_llPT13_lli.has_dyn_sized_stack, 0
	.set _ZN12_GLOBAL__N_127rocblas_gemm_batched_kernelIfLi16ELi16ELi32ELi32ELi8ELi32ELi8ELi8ELi32ELc78ELc78EKPK16rocblas_bfloat16S4_KPS1_EEvlllT_PT11_llS9_llS7_PT12_llPT13_lli.has_recursion, 0
	.set _ZN12_GLOBAL__N_127rocblas_gemm_batched_kernelIfLi16ELi16ELi32ELi32ELi8ELi32ELi8ELi8ELi32ELc78ELc78EKPK16rocblas_bfloat16S4_KPS1_EEvlllT_PT11_llS9_llS7_PT12_llPT13_lli.has_indirect_call, 0
	.section	.AMDGPU.csdata,"",@progbits
; Kernel info:
; codeLenInByte = 2424
; TotalNumSgprs: 38
; NumVgprs: 46
; ScratchSize: 0
; MemoryBound: 0
; FloatMode: 240
; IeeeMode: 1
; LDSByteSize: 2048 bytes/workgroup (compile time only)
; SGPRBlocks: 0
; VGPRBlocks: 5
; NumSGPRsForWavesPerEU: 38
; NumVGPRsForWavesPerEU: 46
; Occupancy: 16
; WaveLimiterHint : 1
; COMPUTE_PGM_RSRC2:SCRATCH_EN: 0
; COMPUTE_PGM_RSRC2:USER_SGPR: 6
; COMPUTE_PGM_RSRC2:TRAP_HANDLER: 0
; COMPUTE_PGM_RSRC2:TGID_X_EN: 1
; COMPUTE_PGM_RSRC2:TGID_Y_EN: 1
; COMPUTE_PGM_RSRC2:TGID_Z_EN: 1
; COMPUTE_PGM_RSRC2:TIDIG_COMP_CNT: 1
	.section	.text._ZN12_GLOBAL__N_127rocblas_gemm_batched_kernelIfLi16ELi16ELi32ELi32ELi8ELi32ELi8ELi8ELi32ELc84ELc78EKPK16rocblas_bfloat16S4_KPS1_EEvlllT_PT11_llS9_llS7_PT12_llPT13_lli,"axG",@progbits,_ZN12_GLOBAL__N_127rocblas_gemm_batched_kernelIfLi16ELi16ELi32ELi32ELi8ELi32ELi8ELi8ELi32ELc84ELc78EKPK16rocblas_bfloat16S4_KPS1_EEvlllT_PT11_llS9_llS7_PT12_llPT13_lli,comdat
	.globl	_ZN12_GLOBAL__N_127rocblas_gemm_batched_kernelIfLi16ELi16ELi32ELi32ELi8ELi32ELi8ELi8ELi32ELc84ELc78EKPK16rocblas_bfloat16S4_KPS1_EEvlllT_PT11_llS9_llS7_PT12_llPT13_lli ; -- Begin function _ZN12_GLOBAL__N_127rocblas_gemm_batched_kernelIfLi16ELi16ELi32ELi32ELi8ELi32ELi8ELi8ELi32ELc84ELc78EKPK16rocblas_bfloat16S4_KPS1_EEvlllT_PT11_llS9_llS7_PT12_llPT13_lli
	.p2align	8
	.type	_ZN12_GLOBAL__N_127rocblas_gemm_batched_kernelIfLi16ELi16ELi32ELi32ELi8ELi32ELi8ELi8ELi32ELc84ELc78EKPK16rocblas_bfloat16S4_KPS1_EEvlllT_PT11_llS9_llS7_PT12_llPT13_lli,@function
_ZN12_GLOBAL__N_127rocblas_gemm_batched_kernelIfLi16ELi16ELi32ELi32ELi8ELi32ELi8ELi8ELi32ELc84ELc78EKPK16rocblas_bfloat16S4_KPS1_EEvlllT_PT11_llS9_llS7_PT12_llPT13_lli: ; @_ZN12_GLOBAL__N_127rocblas_gemm_batched_kernelIfLi16ELi16ELi32ELi32ELi8ELi32ELi8ELi8ELi32ELc84ELc78EKPK16rocblas_bfloat16S4_KPS1_EEvlllT_PT11_llS9_llS7_PT12_llPT13_lli
; %bb.0:
	s_clause 0x1
	s_load_dwordx8 s[12:19], s[4:5], 0x58
	s_load_dwordx2 s[28:29], s[4:5], 0x10
	s_mov_b32 s9, 0
	s_load_dwordx4 s[0:3], s[4:5], 0x78
	s_lshl_b64 s[34:35], s[8:9], 3
	s_mov_b32 s10, s7
	v_mov_b32_e32 v9, 0
	v_mov_b32_e32 v8, 0
	;; [unrolled: 1-line block ×4, first 2 shown]
	s_waitcnt lgkmcnt(0)
	s_add_u32 s8, s12, s34
	s_addc_u32 s9, s13, s35
	s_add_u32 s18, s18, s34
	s_addc_u32 s19, s19, s35
	s_load_dwordx2 s[12:13], s[8:9], 0x0
	s_load_dwordx2 s[18:19], s[18:19], 0x0
	v_cmp_lt_i64_e64 s8, s[28:29], 1
	s_ashr_i32 s7, s6, 31
	s_ashr_i32 s11, s10, 31
	s_lshl_b64 s[6:7], s[6:7], 5
	s_lshl_b64 s[30:31], s[10:11], 5
	s_and_b32 vcc_lo, exec_lo, s8
	s_cbranch_vccnz .LBB150_3
; %bb.1:
	s_clause 0x1
	s_load_dwordx8 s[20:27], s[4:5], 0x20
	s_load_dwordx4 s[8:11], s[4:5], 0x40
	v_lshl_add_u32 v2, v1, 4, v0
	v_and_b32_e32 v7, 7, v0
	v_and_b32_e32 v6, 31, v2
	v_lshrrev_b32_e32 v8, 3, v2
	v_lshrrev_b32_e32 v9, 5, v2
	v_lshlrev_b32_e32 v10, 2, v7
	v_lshlrev_b32_e32 v7, 1, v7
	v_add_co_u32 v2, s33, s6, v6
	v_add_co_ci_u32_e64 v3, null, s7, 0, s33
	v_add_co_u32 v4, s33, v8, s30
	v_add_co_ci_u32_e64 v5, null, 0, s31, s33
	s_waitcnt lgkmcnt(0)
	v_mul_lo_u32 v11, s23, v2
	v_mul_lo_u32 v12, s22, v3
	v_mad_u64_u32 v[2:3], null, s22, v2, 0
	v_mul_lo_u32 v13, s9, v4
	v_mul_lo_u32 v14, s8, v5
	v_mad_u64_u32 v[4:5], null, s8, v4, 0
	s_add_u32 s20, s20, s34
	s_addc_u32 s21, s21, s35
	s_add_u32 s26, s26, s34
	v_add3_u32 v3, v3, v12, v11
	s_load_dwordx2 s[20:21], s[20:21], 0x0
	s_addc_u32 s27, s27, s35
	v_add3_u32 v5, v5, v14, v13
	s_load_dwordx2 s[8:9], s[26:27], 0x0
	v_lshlrev_b64 v[2:3], 1, v[2:3]
	v_lshl_or_b32 v8, v8, 5, v10
	s_lshl_b64 s[22:23], s[24:25], 1
	v_lshlrev_b64 v[4:5], 1, v[4:5]
	s_lshl_b64 s[10:11], s[10:11], 1
	v_lshlrev_b32_e32 v15, 2, v6
	v_add_nc_u32_e32 v11, 0x400, v8
	v_add_co_u32 v2, vcc_lo, v2, s22
	v_lshlrev_b32_e32 v8, 1, v9
	v_add_co_ci_u32_e64 v3, null, s23, v3, vcc_lo
	v_add_co_u32 v4, vcc_lo, v4, s10
	v_add_co_ci_u32_e64 v5, null, s11, v5, vcc_lo
	v_add_co_u32 v2, vcc_lo, v2, v8
	;; [unrolled: 2-line block ×3, first 2 shown]
	v_add_co_ci_u32_e64 v5, null, 0, v5, vcc_lo
	s_waitcnt lgkmcnt(0)
	v_add_co_u32 v2, vcc_lo, s20, v2
	v_add_co_ci_u32_e64 v3, null, s21, v3, vcc_lo
	v_add_co_u32 v4, vcc_lo, s8, v4
	v_mov_b32_e32 v6, 0
	v_lshl_or_b32 v10, v9, 7, v15
	v_lshlrev_b32_e32 v12, 2, v0
	v_lshl_add_u32 v13, v1, 5, 0x400
	v_add_co_ci_u32_e64 v5, null, s9, v5, vcc_lo
	v_mov_b32_e32 v7, 0
	v_mov_b32_e32 v8, 0
	;; [unrolled: 1-line block ×3, first 2 shown]
	s_mov_b64 s[8:9], 0
.LBB150_2:                              ; =>This Inner Loop Header: Depth=1
	flat_load_ushort v14, v[2:3]
	flat_load_ushort v15, v[4:5]
	s_add_u32 s8, s8, 8
	s_addc_u32 s9, s9, 0
	v_add_co_u32 v2, vcc_lo, v2, 16
	v_cmp_lt_i64_e64 s10, s[8:9], s[28:29]
	v_add_co_ci_u32_e64 v3, null, 0, v3, vcc_lo
	v_add_co_u32 v4, vcc_lo, v4, 16
	v_add_co_ci_u32_e64 v5, null, 0, v5, vcc_lo
	s_and_b32 vcc_lo, exec_lo, s10
	s_waitcnt vmcnt(1) lgkmcnt(1)
	v_lshlrev_b32_e32 v14, 16, v14
	s_waitcnt vmcnt(0) lgkmcnt(0)
	v_lshlrev_b32_e32 v15, 16, v15
	ds_write_b32 v10, v14
	ds_write_b32 v11, v15
	s_waitcnt lgkmcnt(0)
	s_barrier
	buffer_gl0_inv
	ds_read_b128 v[14:17], v13
	ds_read2_b32 v[30:31], v12 offset1:16
	ds_read_b128 v[18:21], v13 offset:512
	ds_read2_b32 v[32:33], v12 offset0:32 offset1:48
	ds_read2_b32 v[34:35], v12 offset0:64 offset1:80
	ds_read_b128 v[22:25], v13 offset:16
	ds_read2_b32 v[36:37], v12 offset0:96 offset1:112
	ds_read2_b32 v[38:39], v12 offset0:128 offset1:144
	;; [unrolled: 3-line block ×3, first 2 shown]
	ds_read2_b32 v[44:45], v12 offset0:224 offset1:240
	s_waitcnt lgkmcnt(0)
	s_barrier
	buffer_gl0_inv
	v_fmac_f32_e32 v9, v30, v14
	v_fmac_f32_e32 v8, v31, v14
	;; [unrolled: 1-line block ×32, first 2 shown]
	s_cbranch_vccnz .LBB150_2
.LBB150_3:
	s_clause 0x1
	s_load_dword s8, s[4:5], 0x50
	s_load_dword s4, s[4:5], 0x18
	v_add_co_u32 v10, s5, s30, v1
	v_add_co_ci_u32_e64 v11, null, s31, 0, s5
	v_add_co_u32 v0, s6, s6, v0
	s_lshl_b64 s[2:3], s[2:3], 1
	v_add_co_ci_u32_e64 v1, null, s7, 0, s6
	s_waitcnt lgkmcnt(0)
	s_add_u32 s2, s18, s2
	s_addc_u32 s3, s19, s3
	v_cmp_neq_f32_e64 s5, s8, 0
	s_and_b32 vcc_lo, exec_lo, s5
	s_cbranch_vccnz .LBB150_52
; %bb.4:
	v_mul_f32_e32 v2, s4, v9
	s_mov_b32 s5, exec_lo
                                        ; implicit-def: $vgpr14
	v_and_b32_e32 v3, 0x7f800000, v2
	v_cmpx_ne_u32_e32 0x7f800000, v3
	s_xor_b32 s5, exec_lo, s5
; %bb.5:
	v_bfe_u32 v3, v2, 16, 1
	v_add3_u32 v14, v2, v3, 0x7fff
                                        ; implicit-def: $vgpr2
; %bb.6:
	s_andn2_saveexec_b32 s5, s5
; %bb.7:
	v_mov_b32_e32 v3, 0
	v_or_b32_e32 v4, 0x10000, v2
	v_cmp_eq_u32_sdwa vcc_lo, v2, v3 src0_sel:WORD_0 src1_sel:DWORD
	v_cndmask_b32_e32 v14, v4, v2, vcc_lo
; %bb.8:
	s_or_b32 exec_lo, exec_lo, s5
	v_mul_lo_u32 v4, v11, s0
	v_mul_lo_u32 v5, v10, s1
	v_mad_u64_u32 v[2:3], null, v10, s0, 0
	v_mul_f32_e32 v15, s4, v8
	v_and_b32_e32 v16, 0x7f800000, v15
	v_add3_u32 v3, v3, v5, v4
	v_lshlrev_b64 v[4:5], 1, v[2:3]
	v_lshlrev_b64 v[2:3], 1, v[0:1]
	v_add_co_u32 v12, vcc_lo, s2, v4
	v_add_co_ci_u32_e64 v13, null, s3, v5, vcc_lo
	v_add_co_u32 v4, vcc_lo, v12, v2
	v_add_co_ci_u32_e64 v5, null, v13, v3, vcc_lo
	v_cmp_ne_u32_e32 vcc_lo, 0x7f800000, v16
                                        ; implicit-def: $vgpr16
	flat_store_short_d16_hi v[4:5], v14
	s_and_saveexec_b32 s5, vcc_lo
	s_xor_b32 s5, exec_lo, s5
; %bb.9:
	v_bfe_u32 v14, v15, 16, 1
	v_add3_u32 v16, v15, v14, 0x7fff
                                        ; implicit-def: $vgpr15
; %bb.10:
	s_andn2_saveexec_b32 s5, s5
; %bb.11:
	v_mov_b32_e32 v14, 0
	v_or_b32_e32 v16, 0x10000, v15
	v_cmp_eq_u32_sdwa vcc_lo, v15, v14 src0_sel:WORD_0 src1_sel:DWORD
	v_cndmask_b32_e32 v16, v16, v15, vcc_lo
; %bb.12:
	s_or_b32 exec_lo, exec_lo, s5
	v_mul_f32_e32 v14, s4, v7
	s_mov_b32 s5, exec_lo
	flat_store_short_d16_hi v[4:5], v16 offset:32
                                        ; implicit-def: $vgpr4
	v_and_b32_e32 v15, 0x7f800000, v14
	v_cmpx_ne_u32_e32 0x7f800000, v15
	s_xor_b32 s5, exec_lo, s5
; %bb.13:
	v_bfe_u32 v4, v14, 16, 1
	v_add3_u32 v4, v14, v4, 0x7fff
                                        ; implicit-def: $vgpr14
; %bb.14:
	s_andn2_saveexec_b32 s5, s5
; %bb.15:
	v_mov_b32_e32 v4, 0
	v_or_b32_e32 v5, 0x10000, v14
	v_cmp_eq_u32_sdwa vcc_lo, v14, v4 src0_sel:WORD_0 src1_sel:DWORD
	v_cndmask_b32_e32 v4, v5, v14, vcc_lo
; %bb.16:
	s_or_b32 exec_lo, exec_lo, s5
	s_lshl_b64 s[6:7], s[0:1], 5
	v_mul_f32_e32 v5, s4, v6
	v_add_co_u32 v12, vcc_lo, v12, s6
	v_add_co_ci_u32_e64 v13, null, s7, v13, vcc_lo
	v_and_b32_e32 v14, 0x7f800000, v5
	v_add_co_u32 v2, vcc_lo, v12, v2
	v_add_co_ci_u32_e64 v3, null, v13, v3, vcc_lo
	s_mov_b32 s5, exec_lo
	flat_store_short_d16_hi v[2:3], v4
                                        ; implicit-def: $vgpr4
	v_cmpx_ne_u32_e32 0x7f800000, v14
	s_xor_b32 s5, exec_lo, s5
; %bb.17:
	v_bfe_u32 v4, v5, 16, 1
	v_add3_u32 v4, v5, v4, 0x7fff
                                        ; implicit-def: $vgpr5
; %bb.18:
	s_andn2_saveexec_b32 s5, s5
; %bb.19:
	v_mov_b32_e32 v4, 0
	v_or_b32_e32 v12, 0x10000, v5
	v_cmp_eq_u32_sdwa vcc_lo, v5, v4 src0_sel:WORD_0 src1_sel:DWORD
	v_cndmask_b32_e32 v4, v12, v5, vcc_lo
; %bb.20:
	s_or_b32 exec_lo, exec_lo, s5
	flat_store_short_d16_hi v[2:3], v4 offset:32
	s_branch .LBB150_53
.LBB150_21:
	v_mul_lo_u32 v4, v11, s14
	v_mul_lo_u32 v5, v10, s15
	v_mad_u64_u32 v[2:3], null, v10, s14, 0
	s_lshl_b64 s[6:7], s[16:17], 1
	v_lshlrev_b64 v[0:1], 1, v[0:1]
	s_add_u32 s5, s12, s6
	s_addc_u32 s6, s13, s7
	v_add3_u32 v3, v3, v5, v4
	v_lshlrev_b64 v[2:3], 1, v[2:3]
	v_add_co_u32 v12, vcc_lo, s5, v2
	v_add_co_ci_u32_e64 v13, null, s6, v3, vcc_lo
	v_add_co_u32 v2, vcc_lo, v12, v0
	v_add_co_ci_u32_e64 v3, null, v13, v1, vcc_lo
	flat_load_ushort v4, v[2:3]
	s_waitcnt vmcnt(0) lgkmcnt(0)
	v_lshlrev_b32_e32 v4, 16, v4
	v_mul_f32_e32 v4, s8, v4
	v_and_b32_e32 v5, 0x7f800000, v4
	v_cmp_ne_u32_e32 vcc_lo, 0x7f800000, v5
                                        ; implicit-def: $vgpr5
	s_and_saveexec_b32 s5, vcc_lo
	s_xor_b32 s5, exec_lo, s5
; %bb.22:
	v_bfe_u32 v5, v4, 16, 1
	v_add3_u32 v5, v4, v5, 0x7fff
                                        ; implicit-def: $vgpr4
; %bb.23:
	s_andn2_saveexec_b32 s5, s5
; %bb.24:
	v_mov_b32_e32 v5, 0
	v_or_b32_e32 v14, 0x10000, v4
	v_cmp_eq_u32_sdwa vcc_lo, v4, v5 src0_sel:WORD_0 src1_sel:DWORD
	v_cndmask_b32_e32 v5, v14, v4, vcc_lo
; %bb.25:
	s_or_b32 exec_lo, exec_lo, s5
	v_and_b32_e32 v4, 0xffff0000, v5
	s_mov_b32 s5, exec_lo
                                        ; implicit-def: $vgpr14
	v_fmac_f32_e32 v4, s4, v9
	v_and_b32_e32 v5, 0x7f800000, v4
	v_cmpx_ne_u32_e32 0x7f800000, v5
	s_xor_b32 s5, exec_lo, s5
; %bb.26:
	v_bfe_u32 v5, v4, 16, 1
	v_add3_u32 v14, v4, v5, 0x7fff
                                        ; implicit-def: $vgpr4
; %bb.27:
	s_andn2_saveexec_b32 s5, s5
; %bb.28:
	v_mov_b32_e32 v5, 0
	v_or_b32_e32 v9, 0x10000, v4
	v_cmp_eq_u32_sdwa vcc_lo, v4, v5 src0_sel:WORD_0 src1_sel:DWORD
	v_cndmask_b32_e32 v14, v9, v4, vcc_lo
; %bb.29:
	s_or_b32 exec_lo, exec_lo, s5
	v_mul_lo_u32 v9, v11, s0
	v_mul_lo_u32 v11, v10, s1
	v_mad_u64_u32 v[4:5], null, v10, s0, 0
	v_add3_u32 v5, v5, v11, v9
	v_lshlrev_b64 v[4:5], 1, v[4:5]
	v_add_co_u32 v9, vcc_lo, s2, v4
	v_add_co_ci_u32_e64 v10, null, s3, v5, vcc_lo
	v_add_co_u32 v4, vcc_lo, v9, v0
	v_add_co_ci_u32_e64 v5, null, v10, v1, vcc_lo
	flat_store_short_d16_hi v[4:5], v14
	flat_load_ushort v2, v[2:3] offset:32
	s_waitcnt vmcnt(0) lgkmcnt(0)
	v_lshlrev_b32_e32 v2, 16, v2
	v_mul_f32_e32 v2, s8, v2
	v_and_b32_e32 v3, 0x7f800000, v2
	v_cmp_ne_u32_e32 vcc_lo, 0x7f800000, v3
                                        ; implicit-def: $vgpr3
	s_and_saveexec_b32 s2, vcc_lo
	s_xor_b32 s2, exec_lo, s2
; %bb.30:
	v_bfe_u32 v3, v2, 16, 1
	v_add3_u32 v3, v2, v3, 0x7fff
                                        ; implicit-def: $vgpr2
; %bb.31:
	s_andn2_saveexec_b32 s2, s2
; %bb.32:
	v_mov_b32_e32 v3, 0
	v_or_b32_e32 v11, 0x10000, v2
	v_cmp_eq_u32_sdwa vcc_lo, v2, v3 src0_sel:WORD_0 src1_sel:DWORD
	v_cndmask_b32_e32 v3, v11, v2, vcc_lo
; %bb.33:
	s_or_b32 exec_lo, exec_lo, s2
	v_and_b32_e32 v2, 0xffff0000, v3
	s_mov_b32 s2, exec_lo
	v_fmac_f32_e32 v2, s4, v8
                                        ; implicit-def: $vgpr8
	v_and_b32_e32 v3, 0x7f800000, v2
	v_cmpx_ne_u32_e32 0x7f800000, v3
	s_xor_b32 s2, exec_lo, s2
; %bb.34:
	v_bfe_u32 v3, v2, 16, 1
	v_add3_u32 v8, v2, v3, 0x7fff
                                        ; implicit-def: $vgpr2
; %bb.35:
	s_andn2_saveexec_b32 s2, s2
; %bb.36:
	v_mov_b32_e32 v3, 0
	v_or_b32_e32 v8, 0x10000, v2
	v_cmp_eq_u32_sdwa vcc_lo, v2, v3 src0_sel:WORD_0 src1_sel:DWORD
	v_cndmask_b32_e32 v8, v8, v2, vcc_lo
; %bb.37:
	s_or_b32 exec_lo, exec_lo, s2
	s_lshl_b64 s[2:3], s[14:15], 5
	flat_store_short_d16_hi v[4:5], v8 offset:32
	v_add_co_u32 v2, vcc_lo, v12, s2
	v_add_co_ci_u32_e64 v3, null, s3, v13, vcc_lo
	v_add_co_u32 v2, vcc_lo, v2, v0
	v_add_co_ci_u32_e64 v3, null, v3, v1, vcc_lo
	flat_load_ushort v4, v[2:3]
	s_waitcnt vmcnt(0) lgkmcnt(0)
	v_lshlrev_b32_e32 v4, 16, v4
	v_mul_f32_e32 v4, s8, v4
	v_and_b32_e32 v5, 0x7f800000, v4
	v_cmp_ne_u32_e32 vcc_lo, 0x7f800000, v5
                                        ; implicit-def: $vgpr5
	s_and_saveexec_b32 s2, vcc_lo
	s_xor_b32 s2, exec_lo, s2
; %bb.38:
	v_bfe_u32 v5, v4, 16, 1
	v_add3_u32 v5, v4, v5, 0x7fff
                                        ; implicit-def: $vgpr4
; %bb.39:
	s_andn2_saveexec_b32 s2, s2
; %bb.40:
	v_mov_b32_e32 v5, 0
	v_or_b32_e32 v8, 0x10000, v4
	v_cmp_eq_u32_sdwa vcc_lo, v4, v5 src0_sel:WORD_0 src1_sel:DWORD
	v_cndmask_b32_e32 v5, v8, v4, vcc_lo
; %bb.41:
	s_or_b32 exec_lo, exec_lo, s2
	v_and_b32_e32 v5, 0xffff0000, v5
	v_fmac_f32_e32 v5, s4, v7
	v_and_b32_e32 v4, 0x7f800000, v5
	v_cmp_ne_u32_e32 vcc_lo, 0x7f800000, v4
                                        ; implicit-def: $vgpr4
	s_and_saveexec_b32 s2, vcc_lo
	s_xor_b32 s2, exec_lo, s2
; %bb.42:
	v_bfe_u32 v4, v5, 16, 1
	v_add3_u32 v4, v5, v4, 0x7fff
                                        ; implicit-def: $vgpr5
; %bb.43:
	s_andn2_saveexec_b32 s2, s2
; %bb.44:
	v_mov_b32_e32 v4, 0
	v_or_b32_e32 v7, 0x10000, v5
	v_cmp_eq_u32_sdwa vcc_lo, v5, v4 src0_sel:WORD_0 src1_sel:DWORD
	v_cndmask_b32_e32 v4, v7, v5, vcc_lo
; %bb.45:
	s_or_b32 exec_lo, exec_lo, s2
	s_lshl_b64 s[0:1], s[0:1], 5
	v_add_co_u32 v5, vcc_lo, v9, s0
	v_add_co_ci_u32_e64 v7, null, s1, v10, vcc_lo
	v_add_co_u32 v0, vcc_lo, v5, v0
	v_add_co_ci_u32_e64 v1, null, v7, v1, vcc_lo
	flat_store_short_d16_hi v[0:1], v4
	flat_load_ushort v2, v[2:3] offset:32
	s_waitcnt vmcnt(0) lgkmcnt(0)
	v_lshlrev_b32_e32 v2, 16, v2
	v_mul_f32_e32 v2, s8, v2
	v_and_b32_e32 v3, 0x7f800000, v2
	v_cmp_ne_u32_e32 vcc_lo, 0x7f800000, v3
                                        ; implicit-def: $vgpr3
	s_and_saveexec_b32 s0, vcc_lo
	s_xor_b32 s0, exec_lo, s0
; %bb.46:
	v_bfe_u32 v3, v2, 16, 1
	v_add3_u32 v3, v2, v3, 0x7fff
                                        ; implicit-def: $vgpr2
; %bb.47:
	s_andn2_saveexec_b32 s0, s0
; %bb.48:
	v_mov_b32_e32 v3, 0
	v_or_b32_e32 v4, 0x10000, v2
	v_cmp_eq_u32_sdwa vcc_lo, v2, v3 src0_sel:WORD_0 src1_sel:DWORD
	v_cndmask_b32_e32 v3, v4, v2, vcc_lo
; %bb.49:
	s_or_b32 exec_lo, exec_lo, s0
	v_and_b32_e32 v2, 0xffff0000, v3
	v_fmac_f32_e32 v2, s4, v6
	v_and_b32_e32 v3, 0x7f800000, v2
	v_cmp_ne_u32_e32 vcc_lo, 0x7f800000, v3
                                        ; implicit-def: $vgpr3
	s_and_saveexec_b32 s0, vcc_lo
	s_xor_b32 s0, exec_lo, s0
	s_cbranch_execnz .LBB150_54
; %bb.50:
	s_andn2_saveexec_b32 s0, s0
	s_cbranch_execnz .LBB150_55
.LBB150_51:
	s_or_b32 exec_lo, exec_lo, s0
	flat_store_short_d16_hi v[0:1], v3 offset:32
	s_endpgm
.LBB150_52:
	s_cbranch_execnz .LBB150_21
.LBB150_53:
	s_endpgm
.LBB150_54:
	v_bfe_u32 v3, v2, 16, 1
	v_add3_u32 v3, v2, v3, 0x7fff
                                        ; implicit-def: $vgpr2
	s_andn2_saveexec_b32 s0, s0
	s_cbranch_execz .LBB150_51
.LBB150_55:
	v_mov_b32_e32 v3, 0
	v_or_b32_e32 v4, 0x10000, v2
	v_cmp_eq_u32_sdwa vcc_lo, v2, v3 src0_sel:WORD_0 src1_sel:DWORD
	v_cndmask_b32_e32 v3, v4, v2, vcc_lo
	s_or_b32 exec_lo, exec_lo, s0
	flat_store_short_d16_hi v[0:1], v3 offset:32
	s_endpgm
	.section	.rodata,"a",@progbits
	.p2align	6, 0x0
	.amdhsa_kernel _ZN12_GLOBAL__N_127rocblas_gemm_batched_kernelIfLi16ELi16ELi32ELi32ELi8ELi32ELi8ELi8ELi32ELc84ELc78EKPK16rocblas_bfloat16S4_KPS1_EEvlllT_PT11_llS9_llS7_PT12_llPT13_lli
		.amdhsa_group_segment_fixed_size 2048
		.amdhsa_private_segment_fixed_size 0
		.amdhsa_kernarg_size 140
		.amdhsa_user_sgpr_count 6
		.amdhsa_user_sgpr_private_segment_buffer 1
		.amdhsa_user_sgpr_dispatch_ptr 0
		.amdhsa_user_sgpr_queue_ptr 0
		.amdhsa_user_sgpr_kernarg_segment_ptr 1
		.amdhsa_user_sgpr_dispatch_id 0
		.amdhsa_user_sgpr_flat_scratch_init 0
		.amdhsa_user_sgpr_private_segment_size 0
		.amdhsa_wavefront_size32 1
		.amdhsa_uses_dynamic_stack 0
		.amdhsa_system_sgpr_private_segment_wavefront_offset 0
		.amdhsa_system_sgpr_workgroup_id_x 1
		.amdhsa_system_sgpr_workgroup_id_y 1
		.amdhsa_system_sgpr_workgroup_id_z 1
		.amdhsa_system_sgpr_workgroup_info 0
		.amdhsa_system_vgpr_workitem_id 1
		.amdhsa_next_free_vgpr 46
		.amdhsa_next_free_sgpr 36
		.amdhsa_reserve_vcc 1
		.amdhsa_reserve_flat_scratch 0
		.amdhsa_float_round_mode_32 0
		.amdhsa_float_round_mode_16_64 0
		.amdhsa_float_denorm_mode_32 3
		.amdhsa_float_denorm_mode_16_64 3
		.amdhsa_dx10_clamp 1
		.amdhsa_ieee_mode 1
		.amdhsa_fp16_overflow 0
		.amdhsa_workgroup_processor_mode 1
		.amdhsa_memory_ordered 1
		.amdhsa_forward_progress 1
		.amdhsa_shared_vgpr_count 0
		.amdhsa_exception_fp_ieee_invalid_op 0
		.amdhsa_exception_fp_denorm_src 0
		.amdhsa_exception_fp_ieee_div_zero 0
		.amdhsa_exception_fp_ieee_overflow 0
		.amdhsa_exception_fp_ieee_underflow 0
		.amdhsa_exception_fp_ieee_inexact 0
		.amdhsa_exception_int_div_zero 0
	.end_amdhsa_kernel
	.section	.text._ZN12_GLOBAL__N_127rocblas_gemm_batched_kernelIfLi16ELi16ELi32ELi32ELi8ELi32ELi8ELi8ELi32ELc84ELc78EKPK16rocblas_bfloat16S4_KPS1_EEvlllT_PT11_llS9_llS7_PT12_llPT13_lli,"axG",@progbits,_ZN12_GLOBAL__N_127rocblas_gemm_batched_kernelIfLi16ELi16ELi32ELi32ELi8ELi32ELi8ELi8ELi32ELc84ELc78EKPK16rocblas_bfloat16S4_KPS1_EEvlllT_PT11_llS9_llS7_PT12_llPT13_lli,comdat
.Lfunc_end150:
	.size	_ZN12_GLOBAL__N_127rocblas_gemm_batched_kernelIfLi16ELi16ELi32ELi32ELi8ELi32ELi8ELi8ELi32ELc84ELc78EKPK16rocblas_bfloat16S4_KPS1_EEvlllT_PT11_llS9_llS7_PT12_llPT13_lli, .Lfunc_end150-_ZN12_GLOBAL__N_127rocblas_gemm_batched_kernelIfLi16ELi16ELi32ELi32ELi8ELi32ELi8ELi8ELi32ELc84ELc78EKPK16rocblas_bfloat16S4_KPS1_EEvlllT_PT11_llS9_llS7_PT12_llPT13_lli
                                        ; -- End function
	.set _ZN12_GLOBAL__N_127rocblas_gemm_batched_kernelIfLi16ELi16ELi32ELi32ELi8ELi32ELi8ELi8ELi32ELc84ELc78EKPK16rocblas_bfloat16S4_KPS1_EEvlllT_PT11_llS9_llS7_PT12_llPT13_lli.num_vgpr, 46
	.set _ZN12_GLOBAL__N_127rocblas_gemm_batched_kernelIfLi16ELi16ELi32ELi32ELi8ELi32ELi8ELi8ELi32ELc84ELc78EKPK16rocblas_bfloat16S4_KPS1_EEvlllT_PT11_llS9_llS7_PT12_llPT13_lli.num_agpr, 0
	.set _ZN12_GLOBAL__N_127rocblas_gemm_batched_kernelIfLi16ELi16ELi32ELi32ELi8ELi32ELi8ELi8ELi32ELc84ELc78EKPK16rocblas_bfloat16S4_KPS1_EEvlllT_PT11_llS9_llS7_PT12_llPT13_lli.numbered_sgpr, 36
	.set _ZN12_GLOBAL__N_127rocblas_gemm_batched_kernelIfLi16ELi16ELi32ELi32ELi8ELi32ELi8ELi8ELi32ELc84ELc78EKPK16rocblas_bfloat16S4_KPS1_EEvlllT_PT11_llS9_llS7_PT12_llPT13_lli.num_named_barrier, 0
	.set _ZN12_GLOBAL__N_127rocblas_gemm_batched_kernelIfLi16ELi16ELi32ELi32ELi8ELi32ELi8ELi8ELi32ELc84ELc78EKPK16rocblas_bfloat16S4_KPS1_EEvlllT_PT11_llS9_llS7_PT12_llPT13_lli.private_seg_size, 0
	.set _ZN12_GLOBAL__N_127rocblas_gemm_batched_kernelIfLi16ELi16ELi32ELi32ELi8ELi32ELi8ELi8ELi32ELc84ELc78EKPK16rocblas_bfloat16S4_KPS1_EEvlllT_PT11_llS9_llS7_PT12_llPT13_lli.uses_vcc, 1
	.set _ZN12_GLOBAL__N_127rocblas_gemm_batched_kernelIfLi16ELi16ELi32ELi32ELi8ELi32ELi8ELi8ELi32ELc84ELc78EKPK16rocblas_bfloat16S4_KPS1_EEvlllT_PT11_llS9_llS7_PT12_llPT13_lli.uses_flat_scratch, 0
	.set _ZN12_GLOBAL__N_127rocblas_gemm_batched_kernelIfLi16ELi16ELi32ELi32ELi8ELi32ELi8ELi8ELi32ELc84ELc78EKPK16rocblas_bfloat16S4_KPS1_EEvlllT_PT11_llS9_llS7_PT12_llPT13_lli.has_dyn_sized_stack, 0
	.set _ZN12_GLOBAL__N_127rocblas_gemm_batched_kernelIfLi16ELi16ELi32ELi32ELi8ELi32ELi8ELi8ELi32ELc84ELc78EKPK16rocblas_bfloat16S4_KPS1_EEvlllT_PT11_llS9_llS7_PT12_llPT13_lli.has_recursion, 0
	.set _ZN12_GLOBAL__N_127rocblas_gemm_batched_kernelIfLi16ELi16ELi32ELi32ELi8ELi32ELi8ELi8ELi32ELc84ELc78EKPK16rocblas_bfloat16S4_KPS1_EEvlllT_PT11_llS9_llS7_PT12_llPT13_lli.has_indirect_call, 0
	.section	.AMDGPU.csdata,"",@progbits
; Kernel info:
; codeLenInByte = 2464
; TotalNumSgprs: 38
; NumVgprs: 46
; ScratchSize: 0
; MemoryBound: 0
; FloatMode: 240
; IeeeMode: 1
; LDSByteSize: 2048 bytes/workgroup (compile time only)
; SGPRBlocks: 0
; VGPRBlocks: 5
; NumSGPRsForWavesPerEU: 38
; NumVGPRsForWavesPerEU: 46
; Occupancy: 16
; WaveLimiterHint : 1
; COMPUTE_PGM_RSRC2:SCRATCH_EN: 0
; COMPUTE_PGM_RSRC2:USER_SGPR: 6
; COMPUTE_PGM_RSRC2:TRAP_HANDLER: 0
; COMPUTE_PGM_RSRC2:TGID_X_EN: 1
; COMPUTE_PGM_RSRC2:TGID_Y_EN: 1
; COMPUTE_PGM_RSRC2:TGID_Z_EN: 1
; COMPUTE_PGM_RSRC2:TIDIG_COMP_CNT: 1
	.section	.text._ZN12_GLOBAL__N_127rocblas_gemm_batched_kernelIfLi16ELi16ELi32ELi32ELi8ELi32ELi8ELi8ELi32ELc78ELc84EKPK16rocblas_bfloat16S4_KPS1_EEvlllT_PT11_llS9_llS7_PT12_llPT13_lli,"axG",@progbits,_ZN12_GLOBAL__N_127rocblas_gemm_batched_kernelIfLi16ELi16ELi32ELi32ELi8ELi32ELi8ELi8ELi32ELc78ELc84EKPK16rocblas_bfloat16S4_KPS1_EEvlllT_PT11_llS9_llS7_PT12_llPT13_lli,comdat
	.globl	_ZN12_GLOBAL__N_127rocblas_gemm_batched_kernelIfLi16ELi16ELi32ELi32ELi8ELi32ELi8ELi8ELi32ELc78ELc84EKPK16rocblas_bfloat16S4_KPS1_EEvlllT_PT11_llS9_llS7_PT12_llPT13_lli ; -- Begin function _ZN12_GLOBAL__N_127rocblas_gemm_batched_kernelIfLi16ELi16ELi32ELi32ELi8ELi32ELi8ELi8ELi32ELc78ELc84EKPK16rocblas_bfloat16S4_KPS1_EEvlllT_PT11_llS9_llS7_PT12_llPT13_lli
	.p2align	8
	.type	_ZN12_GLOBAL__N_127rocblas_gemm_batched_kernelIfLi16ELi16ELi32ELi32ELi8ELi32ELi8ELi8ELi32ELc78ELc84EKPK16rocblas_bfloat16S4_KPS1_EEvlllT_PT11_llS9_llS7_PT12_llPT13_lli,@function
_ZN12_GLOBAL__N_127rocblas_gemm_batched_kernelIfLi16ELi16ELi32ELi32ELi8ELi32ELi8ELi8ELi32ELc78ELc84EKPK16rocblas_bfloat16S4_KPS1_EEvlllT_PT11_llS9_llS7_PT12_llPT13_lli: ; @_ZN12_GLOBAL__N_127rocblas_gemm_batched_kernelIfLi16ELi16ELi32ELi32ELi8ELi32ELi8ELi8ELi32ELc78ELc84EKPK16rocblas_bfloat16S4_KPS1_EEvlllT_PT11_llS9_llS7_PT12_llPT13_lli
; %bb.0:
	s_clause 0x1
	s_load_dwordx8 s[12:19], s[4:5], 0x58
	s_load_dwordx2 s[28:29], s[4:5], 0x10
	s_mov_b32 s9, 0
	s_load_dwordx4 s[0:3], s[4:5], 0x78
	s_lshl_b64 s[34:35], s[8:9], 3
	s_mov_b32 s10, s7
	v_mov_b32_e32 v9, 0
	v_mov_b32_e32 v8, 0
	;; [unrolled: 1-line block ×4, first 2 shown]
	s_waitcnt lgkmcnt(0)
	s_add_u32 s8, s12, s34
	s_addc_u32 s9, s13, s35
	s_add_u32 s18, s18, s34
	s_addc_u32 s19, s19, s35
	s_load_dwordx2 s[12:13], s[8:9], 0x0
	s_load_dwordx2 s[18:19], s[18:19], 0x0
	v_cmp_lt_i64_e64 s8, s[28:29], 1
	s_ashr_i32 s7, s6, 31
	s_ashr_i32 s11, s10, 31
	s_lshl_b64 s[6:7], s[6:7], 5
	s_lshl_b64 s[30:31], s[10:11], 5
	s_and_b32 vcc_lo, exec_lo, s8
	s_cbranch_vccnz .LBB151_3
; %bb.1:
	s_clause 0x1
	s_load_dwordx8 s[20:27], s[4:5], 0x20
	s_load_dwordx4 s[8:11], s[4:5], 0x40
	v_lshl_add_u32 v2, v1, 4, v0
	v_and_b32_e32 v9, 7, v0
	v_mov_b32_e32 v6, 0
	v_lshlrev_b32_e32 v10, 2, v0
	v_lshl_add_u32 v11, v1, 5, 0x400
	v_lshrrev_b32_e32 v7, 3, v2
	v_and_b32_e32 v14, 31, v2
	v_lshrrev_b32_e32 v12, 5, v2
	v_lshlrev_b32_e32 v8, 2, v9
	v_add_co_u32 v2, s33, v7, s30
	v_add_co_ci_u32_e64 v3, null, 0, s31, s33
	v_lshl_or_b32 v15, v7, 5, v8
	v_lshlrev_b32_e32 v13, 2, v14
	s_waitcnt lgkmcnt(0)
	v_mad_u64_u32 v[4:5], null, s22, v12, s[6:7]
	s_add_u32 s20, s20, s34
	v_mad_u64_u32 v[2:3], null, s8, v9, v[2:3]
	s_addc_u32 s21, s21, s35
	s_add_u32 s26, s26, s34
	s_load_dwordx2 s[20:21], s[20:21], 0x0
	s_addc_u32 s27, s27, s35
	v_mad_u64_u32 v[7:8], null, s23, v12, v[5:6]
	s_load_dwordx2 s[26:27], s[26:27], 0x0
	v_mad_u64_u32 v[8:9], null, s9, v9, v[3:4]
	v_add_co_u32 v4, vcc_lo, v4, v14
	s_lshl_b64 s[24:25], s[24:25], 1
	v_add_co_ci_u32_e64 v5, null, 0, v7, vcc_lo
	v_lshl_or_b32 v12, v12, 7, v13
	v_mov_b32_e32 v3, v8
	v_add_nc_u32_e32 v13, 0x400, v15
	v_lshlrev_b64 v[4:5], 1, v[4:5]
	v_mov_b32_e32 v9, 0
	v_lshlrev_b64 v[7:8], 1, v[2:3]
	s_waitcnt lgkmcnt(0)
	s_add_u32 s24, s20, s24
	s_addc_u32 s25, s21, s25
	s_lshl_b64 s[10:11], s[10:11], 1
	s_lshl_b64 s[20:21], s[22:23], 4
	s_add_u32 s10, s26, s10
	v_add_co_u32 v2, vcc_lo, s24, v4
	s_addc_u32 s11, s27, s11
	v_add_co_ci_u32_e64 v3, null, s25, v5, vcc_lo
	v_add_co_u32 v4, vcc_lo, s10, v7
	v_add_co_ci_u32_e64 v5, null, s11, v8, vcc_lo
	v_mov_b32_e32 v7, 0
	v_mov_b32_e32 v8, 0
	s_lshl_b64 s[8:9], s[8:9], 4
	s_mov_b64 s[10:11], 0
.LBB151_2:                              ; =>This Inner Loop Header: Depth=1
	flat_load_ushort v14, v[2:3]
	flat_load_ushort v15, v[4:5]
	s_add_u32 s10, s10, 8
	s_addc_u32 s11, s11, 0
	v_add_co_u32 v2, vcc_lo, v2, s20
	v_cmp_lt_i64_e64 s22, s[10:11], s[28:29]
	v_add_co_ci_u32_e64 v3, null, s21, v3, vcc_lo
	v_add_co_u32 v4, vcc_lo, v4, s8
	v_add_co_ci_u32_e64 v5, null, s9, v5, vcc_lo
	s_and_b32 vcc_lo, exec_lo, s22
	s_waitcnt vmcnt(1) lgkmcnt(1)
	v_lshlrev_b32_e32 v14, 16, v14
	s_waitcnt vmcnt(0) lgkmcnt(0)
	v_lshlrev_b32_e32 v15, 16, v15
	ds_write_b32 v12, v14
	ds_write_b32 v13, v15
	s_waitcnt lgkmcnt(0)
	s_barrier
	buffer_gl0_inv
	ds_read_b128 v[14:17], v11
	ds_read2_b32 v[30:31], v10 offset1:16
	ds_read_b128 v[18:21], v11 offset:512
	ds_read2_b32 v[32:33], v10 offset0:32 offset1:48
	ds_read2_b32 v[34:35], v10 offset0:64 offset1:80
	ds_read_b128 v[22:25], v11 offset:16
	ds_read2_b32 v[36:37], v10 offset0:96 offset1:112
	ds_read2_b32 v[38:39], v10 offset0:128 offset1:144
	;; [unrolled: 3-line block ×3, first 2 shown]
	ds_read2_b32 v[44:45], v10 offset0:224 offset1:240
	s_waitcnt lgkmcnt(0)
	s_barrier
	buffer_gl0_inv
	v_fmac_f32_e32 v9, v30, v14
	v_fmac_f32_e32 v8, v31, v14
	;; [unrolled: 1-line block ×32, first 2 shown]
	s_cbranch_vccnz .LBB151_2
.LBB151_3:
	s_clause 0x1
	s_load_dword s8, s[4:5], 0x50
	s_load_dword s4, s[4:5], 0x18
	v_add_co_u32 v10, s5, s30, v1
	v_add_co_ci_u32_e64 v11, null, s31, 0, s5
	v_add_co_u32 v0, s6, s6, v0
	s_lshl_b64 s[2:3], s[2:3], 1
	v_add_co_ci_u32_e64 v1, null, s7, 0, s6
	s_waitcnt lgkmcnt(0)
	s_add_u32 s2, s18, s2
	s_addc_u32 s3, s19, s3
	v_cmp_neq_f32_e64 s5, s8, 0
	s_and_b32 vcc_lo, exec_lo, s5
	s_cbranch_vccnz .LBB151_52
; %bb.4:
	v_mul_f32_e32 v2, s4, v9
	s_mov_b32 s5, exec_lo
                                        ; implicit-def: $vgpr14
	v_and_b32_e32 v3, 0x7f800000, v2
	v_cmpx_ne_u32_e32 0x7f800000, v3
	s_xor_b32 s5, exec_lo, s5
; %bb.5:
	v_bfe_u32 v3, v2, 16, 1
	v_add3_u32 v14, v2, v3, 0x7fff
                                        ; implicit-def: $vgpr2
; %bb.6:
	s_andn2_saveexec_b32 s5, s5
; %bb.7:
	v_mov_b32_e32 v3, 0
	v_or_b32_e32 v4, 0x10000, v2
	v_cmp_eq_u32_sdwa vcc_lo, v2, v3 src0_sel:WORD_0 src1_sel:DWORD
	v_cndmask_b32_e32 v14, v4, v2, vcc_lo
; %bb.8:
	s_or_b32 exec_lo, exec_lo, s5
	v_mul_lo_u32 v4, v11, s0
	v_mul_lo_u32 v5, v10, s1
	v_mad_u64_u32 v[2:3], null, v10, s0, 0
	v_mul_f32_e32 v15, s4, v8
	v_and_b32_e32 v16, 0x7f800000, v15
	v_add3_u32 v3, v3, v5, v4
	v_lshlrev_b64 v[4:5], 1, v[2:3]
	v_lshlrev_b64 v[2:3], 1, v[0:1]
	v_add_co_u32 v12, vcc_lo, s2, v4
	v_add_co_ci_u32_e64 v13, null, s3, v5, vcc_lo
	v_add_co_u32 v4, vcc_lo, v12, v2
	v_add_co_ci_u32_e64 v5, null, v13, v3, vcc_lo
	v_cmp_ne_u32_e32 vcc_lo, 0x7f800000, v16
                                        ; implicit-def: $vgpr16
	flat_store_short_d16_hi v[4:5], v14
	s_and_saveexec_b32 s5, vcc_lo
	s_xor_b32 s5, exec_lo, s5
; %bb.9:
	v_bfe_u32 v14, v15, 16, 1
	v_add3_u32 v16, v15, v14, 0x7fff
                                        ; implicit-def: $vgpr15
; %bb.10:
	s_andn2_saveexec_b32 s5, s5
; %bb.11:
	v_mov_b32_e32 v14, 0
	v_or_b32_e32 v16, 0x10000, v15
	v_cmp_eq_u32_sdwa vcc_lo, v15, v14 src0_sel:WORD_0 src1_sel:DWORD
	v_cndmask_b32_e32 v16, v16, v15, vcc_lo
; %bb.12:
	s_or_b32 exec_lo, exec_lo, s5
	v_mul_f32_e32 v14, s4, v7
	s_mov_b32 s5, exec_lo
	flat_store_short_d16_hi v[4:5], v16 offset:32
                                        ; implicit-def: $vgpr4
	v_and_b32_e32 v15, 0x7f800000, v14
	v_cmpx_ne_u32_e32 0x7f800000, v15
	s_xor_b32 s5, exec_lo, s5
; %bb.13:
	v_bfe_u32 v4, v14, 16, 1
	v_add3_u32 v4, v14, v4, 0x7fff
                                        ; implicit-def: $vgpr14
; %bb.14:
	s_andn2_saveexec_b32 s5, s5
; %bb.15:
	v_mov_b32_e32 v4, 0
	v_or_b32_e32 v5, 0x10000, v14
	v_cmp_eq_u32_sdwa vcc_lo, v14, v4 src0_sel:WORD_0 src1_sel:DWORD
	v_cndmask_b32_e32 v4, v5, v14, vcc_lo
; %bb.16:
	s_or_b32 exec_lo, exec_lo, s5
	s_lshl_b64 s[6:7], s[0:1], 5
	v_mul_f32_e32 v5, s4, v6
	v_add_co_u32 v12, vcc_lo, v12, s6
	v_add_co_ci_u32_e64 v13, null, s7, v13, vcc_lo
	v_and_b32_e32 v14, 0x7f800000, v5
	v_add_co_u32 v2, vcc_lo, v12, v2
	v_add_co_ci_u32_e64 v3, null, v13, v3, vcc_lo
	s_mov_b32 s5, exec_lo
	flat_store_short_d16_hi v[2:3], v4
                                        ; implicit-def: $vgpr4
	v_cmpx_ne_u32_e32 0x7f800000, v14
	s_xor_b32 s5, exec_lo, s5
; %bb.17:
	v_bfe_u32 v4, v5, 16, 1
	v_add3_u32 v4, v5, v4, 0x7fff
                                        ; implicit-def: $vgpr5
; %bb.18:
	s_andn2_saveexec_b32 s5, s5
; %bb.19:
	v_mov_b32_e32 v4, 0
	v_or_b32_e32 v12, 0x10000, v5
	v_cmp_eq_u32_sdwa vcc_lo, v5, v4 src0_sel:WORD_0 src1_sel:DWORD
	v_cndmask_b32_e32 v4, v12, v5, vcc_lo
; %bb.20:
	s_or_b32 exec_lo, exec_lo, s5
	flat_store_short_d16_hi v[2:3], v4 offset:32
	s_branch .LBB151_53
.LBB151_21:
	v_mul_lo_u32 v4, v11, s14
	v_mul_lo_u32 v5, v10, s15
	v_mad_u64_u32 v[2:3], null, v10, s14, 0
	s_lshl_b64 s[6:7], s[16:17], 1
	v_lshlrev_b64 v[0:1], 1, v[0:1]
	s_add_u32 s5, s12, s6
	s_addc_u32 s6, s13, s7
	v_add3_u32 v3, v3, v5, v4
	v_lshlrev_b64 v[2:3], 1, v[2:3]
	v_add_co_u32 v12, vcc_lo, s5, v2
	v_add_co_ci_u32_e64 v13, null, s6, v3, vcc_lo
	v_add_co_u32 v2, vcc_lo, v12, v0
	v_add_co_ci_u32_e64 v3, null, v13, v1, vcc_lo
	flat_load_ushort v4, v[2:3]
	s_waitcnt vmcnt(0) lgkmcnt(0)
	v_lshlrev_b32_e32 v4, 16, v4
	v_mul_f32_e32 v4, s8, v4
	v_and_b32_e32 v5, 0x7f800000, v4
	v_cmp_ne_u32_e32 vcc_lo, 0x7f800000, v5
                                        ; implicit-def: $vgpr5
	s_and_saveexec_b32 s5, vcc_lo
	s_xor_b32 s5, exec_lo, s5
; %bb.22:
	v_bfe_u32 v5, v4, 16, 1
	v_add3_u32 v5, v4, v5, 0x7fff
                                        ; implicit-def: $vgpr4
; %bb.23:
	s_andn2_saveexec_b32 s5, s5
; %bb.24:
	v_mov_b32_e32 v5, 0
	v_or_b32_e32 v14, 0x10000, v4
	v_cmp_eq_u32_sdwa vcc_lo, v4, v5 src0_sel:WORD_0 src1_sel:DWORD
	v_cndmask_b32_e32 v5, v14, v4, vcc_lo
; %bb.25:
	s_or_b32 exec_lo, exec_lo, s5
	v_and_b32_e32 v4, 0xffff0000, v5
	s_mov_b32 s5, exec_lo
                                        ; implicit-def: $vgpr14
	v_fmac_f32_e32 v4, s4, v9
	v_and_b32_e32 v5, 0x7f800000, v4
	v_cmpx_ne_u32_e32 0x7f800000, v5
	s_xor_b32 s5, exec_lo, s5
; %bb.26:
	v_bfe_u32 v5, v4, 16, 1
	v_add3_u32 v14, v4, v5, 0x7fff
                                        ; implicit-def: $vgpr4
; %bb.27:
	s_andn2_saveexec_b32 s5, s5
; %bb.28:
	v_mov_b32_e32 v5, 0
	v_or_b32_e32 v9, 0x10000, v4
	v_cmp_eq_u32_sdwa vcc_lo, v4, v5 src0_sel:WORD_0 src1_sel:DWORD
	v_cndmask_b32_e32 v14, v9, v4, vcc_lo
; %bb.29:
	s_or_b32 exec_lo, exec_lo, s5
	v_mul_lo_u32 v9, v11, s0
	v_mul_lo_u32 v11, v10, s1
	v_mad_u64_u32 v[4:5], null, v10, s0, 0
	v_add3_u32 v5, v5, v11, v9
	v_lshlrev_b64 v[4:5], 1, v[4:5]
	v_add_co_u32 v9, vcc_lo, s2, v4
	v_add_co_ci_u32_e64 v10, null, s3, v5, vcc_lo
	v_add_co_u32 v4, vcc_lo, v9, v0
	v_add_co_ci_u32_e64 v5, null, v10, v1, vcc_lo
	flat_store_short_d16_hi v[4:5], v14
	flat_load_ushort v2, v[2:3] offset:32
	s_waitcnt vmcnt(0) lgkmcnt(0)
	v_lshlrev_b32_e32 v2, 16, v2
	v_mul_f32_e32 v2, s8, v2
	v_and_b32_e32 v3, 0x7f800000, v2
	v_cmp_ne_u32_e32 vcc_lo, 0x7f800000, v3
                                        ; implicit-def: $vgpr3
	s_and_saveexec_b32 s2, vcc_lo
	s_xor_b32 s2, exec_lo, s2
; %bb.30:
	v_bfe_u32 v3, v2, 16, 1
	v_add3_u32 v3, v2, v3, 0x7fff
                                        ; implicit-def: $vgpr2
; %bb.31:
	s_andn2_saveexec_b32 s2, s2
; %bb.32:
	v_mov_b32_e32 v3, 0
	v_or_b32_e32 v11, 0x10000, v2
	v_cmp_eq_u32_sdwa vcc_lo, v2, v3 src0_sel:WORD_0 src1_sel:DWORD
	v_cndmask_b32_e32 v3, v11, v2, vcc_lo
; %bb.33:
	s_or_b32 exec_lo, exec_lo, s2
	v_and_b32_e32 v2, 0xffff0000, v3
	s_mov_b32 s2, exec_lo
	v_fmac_f32_e32 v2, s4, v8
                                        ; implicit-def: $vgpr8
	v_and_b32_e32 v3, 0x7f800000, v2
	v_cmpx_ne_u32_e32 0x7f800000, v3
	s_xor_b32 s2, exec_lo, s2
; %bb.34:
	v_bfe_u32 v3, v2, 16, 1
	v_add3_u32 v8, v2, v3, 0x7fff
                                        ; implicit-def: $vgpr2
; %bb.35:
	s_andn2_saveexec_b32 s2, s2
; %bb.36:
	v_mov_b32_e32 v3, 0
	v_or_b32_e32 v8, 0x10000, v2
	v_cmp_eq_u32_sdwa vcc_lo, v2, v3 src0_sel:WORD_0 src1_sel:DWORD
	v_cndmask_b32_e32 v8, v8, v2, vcc_lo
; %bb.37:
	s_or_b32 exec_lo, exec_lo, s2
	s_lshl_b64 s[2:3], s[14:15], 5
	flat_store_short_d16_hi v[4:5], v8 offset:32
	v_add_co_u32 v2, vcc_lo, v12, s2
	v_add_co_ci_u32_e64 v3, null, s3, v13, vcc_lo
	v_add_co_u32 v2, vcc_lo, v2, v0
	v_add_co_ci_u32_e64 v3, null, v3, v1, vcc_lo
	flat_load_ushort v4, v[2:3]
	s_waitcnt vmcnt(0) lgkmcnt(0)
	v_lshlrev_b32_e32 v4, 16, v4
	v_mul_f32_e32 v4, s8, v4
	v_and_b32_e32 v5, 0x7f800000, v4
	v_cmp_ne_u32_e32 vcc_lo, 0x7f800000, v5
                                        ; implicit-def: $vgpr5
	s_and_saveexec_b32 s2, vcc_lo
	s_xor_b32 s2, exec_lo, s2
; %bb.38:
	v_bfe_u32 v5, v4, 16, 1
	v_add3_u32 v5, v4, v5, 0x7fff
                                        ; implicit-def: $vgpr4
; %bb.39:
	s_andn2_saveexec_b32 s2, s2
; %bb.40:
	v_mov_b32_e32 v5, 0
	v_or_b32_e32 v8, 0x10000, v4
	v_cmp_eq_u32_sdwa vcc_lo, v4, v5 src0_sel:WORD_0 src1_sel:DWORD
	v_cndmask_b32_e32 v5, v8, v4, vcc_lo
; %bb.41:
	s_or_b32 exec_lo, exec_lo, s2
	v_and_b32_e32 v5, 0xffff0000, v5
	v_fmac_f32_e32 v5, s4, v7
	v_and_b32_e32 v4, 0x7f800000, v5
	v_cmp_ne_u32_e32 vcc_lo, 0x7f800000, v4
                                        ; implicit-def: $vgpr4
	s_and_saveexec_b32 s2, vcc_lo
	s_xor_b32 s2, exec_lo, s2
; %bb.42:
	v_bfe_u32 v4, v5, 16, 1
	v_add3_u32 v4, v5, v4, 0x7fff
                                        ; implicit-def: $vgpr5
; %bb.43:
	s_andn2_saveexec_b32 s2, s2
; %bb.44:
	v_mov_b32_e32 v4, 0
	v_or_b32_e32 v7, 0x10000, v5
	v_cmp_eq_u32_sdwa vcc_lo, v5, v4 src0_sel:WORD_0 src1_sel:DWORD
	v_cndmask_b32_e32 v4, v7, v5, vcc_lo
; %bb.45:
	s_or_b32 exec_lo, exec_lo, s2
	s_lshl_b64 s[0:1], s[0:1], 5
	v_add_co_u32 v5, vcc_lo, v9, s0
	v_add_co_ci_u32_e64 v7, null, s1, v10, vcc_lo
	v_add_co_u32 v0, vcc_lo, v5, v0
	v_add_co_ci_u32_e64 v1, null, v7, v1, vcc_lo
	flat_store_short_d16_hi v[0:1], v4
	flat_load_ushort v2, v[2:3] offset:32
	s_waitcnt vmcnt(0) lgkmcnt(0)
	v_lshlrev_b32_e32 v2, 16, v2
	v_mul_f32_e32 v2, s8, v2
	v_and_b32_e32 v3, 0x7f800000, v2
	v_cmp_ne_u32_e32 vcc_lo, 0x7f800000, v3
                                        ; implicit-def: $vgpr3
	s_and_saveexec_b32 s0, vcc_lo
	s_xor_b32 s0, exec_lo, s0
; %bb.46:
	v_bfe_u32 v3, v2, 16, 1
	v_add3_u32 v3, v2, v3, 0x7fff
                                        ; implicit-def: $vgpr2
; %bb.47:
	s_andn2_saveexec_b32 s0, s0
; %bb.48:
	v_mov_b32_e32 v3, 0
	v_or_b32_e32 v4, 0x10000, v2
	v_cmp_eq_u32_sdwa vcc_lo, v2, v3 src0_sel:WORD_0 src1_sel:DWORD
	v_cndmask_b32_e32 v3, v4, v2, vcc_lo
; %bb.49:
	s_or_b32 exec_lo, exec_lo, s0
	v_and_b32_e32 v2, 0xffff0000, v3
	v_fmac_f32_e32 v2, s4, v6
	v_and_b32_e32 v3, 0x7f800000, v2
	v_cmp_ne_u32_e32 vcc_lo, 0x7f800000, v3
                                        ; implicit-def: $vgpr3
	s_and_saveexec_b32 s0, vcc_lo
	s_xor_b32 s0, exec_lo, s0
	s_cbranch_execnz .LBB151_54
; %bb.50:
	s_andn2_saveexec_b32 s0, s0
	s_cbranch_execnz .LBB151_55
.LBB151_51:
	s_or_b32 exec_lo, exec_lo, s0
	flat_store_short_d16_hi v[0:1], v3 offset:32
	s_endpgm
.LBB151_52:
	s_cbranch_execnz .LBB151_21
.LBB151_53:
	s_endpgm
.LBB151_54:
	v_bfe_u32 v3, v2, 16, 1
	v_add3_u32 v3, v2, v3, 0x7fff
                                        ; implicit-def: $vgpr2
	s_andn2_saveexec_b32 s0, s0
	s_cbranch_execz .LBB151_51
.LBB151_55:
	v_mov_b32_e32 v3, 0
	v_or_b32_e32 v4, 0x10000, v2
	v_cmp_eq_u32_sdwa vcc_lo, v2, v3 src0_sel:WORD_0 src1_sel:DWORD
	v_cndmask_b32_e32 v3, v4, v2, vcc_lo
	s_or_b32 exec_lo, exec_lo, s0
	flat_store_short_d16_hi v[0:1], v3 offset:32
	s_endpgm
	.section	.rodata,"a",@progbits
	.p2align	6, 0x0
	.amdhsa_kernel _ZN12_GLOBAL__N_127rocblas_gemm_batched_kernelIfLi16ELi16ELi32ELi32ELi8ELi32ELi8ELi8ELi32ELc78ELc84EKPK16rocblas_bfloat16S4_KPS1_EEvlllT_PT11_llS9_llS7_PT12_llPT13_lli
		.amdhsa_group_segment_fixed_size 2048
		.amdhsa_private_segment_fixed_size 0
		.amdhsa_kernarg_size 140
		.amdhsa_user_sgpr_count 6
		.amdhsa_user_sgpr_private_segment_buffer 1
		.amdhsa_user_sgpr_dispatch_ptr 0
		.amdhsa_user_sgpr_queue_ptr 0
		.amdhsa_user_sgpr_kernarg_segment_ptr 1
		.amdhsa_user_sgpr_dispatch_id 0
		.amdhsa_user_sgpr_flat_scratch_init 0
		.amdhsa_user_sgpr_private_segment_size 0
		.amdhsa_wavefront_size32 1
		.amdhsa_uses_dynamic_stack 0
		.amdhsa_system_sgpr_private_segment_wavefront_offset 0
		.amdhsa_system_sgpr_workgroup_id_x 1
		.amdhsa_system_sgpr_workgroup_id_y 1
		.amdhsa_system_sgpr_workgroup_id_z 1
		.amdhsa_system_sgpr_workgroup_info 0
		.amdhsa_system_vgpr_workitem_id 1
		.amdhsa_next_free_vgpr 46
		.amdhsa_next_free_sgpr 36
		.amdhsa_reserve_vcc 1
		.amdhsa_reserve_flat_scratch 0
		.amdhsa_float_round_mode_32 0
		.amdhsa_float_round_mode_16_64 0
		.amdhsa_float_denorm_mode_32 3
		.amdhsa_float_denorm_mode_16_64 3
		.amdhsa_dx10_clamp 1
		.amdhsa_ieee_mode 1
		.amdhsa_fp16_overflow 0
		.amdhsa_workgroup_processor_mode 1
		.amdhsa_memory_ordered 1
		.amdhsa_forward_progress 1
		.amdhsa_shared_vgpr_count 0
		.amdhsa_exception_fp_ieee_invalid_op 0
		.amdhsa_exception_fp_denorm_src 0
		.amdhsa_exception_fp_ieee_div_zero 0
		.amdhsa_exception_fp_ieee_overflow 0
		.amdhsa_exception_fp_ieee_underflow 0
		.amdhsa_exception_fp_ieee_inexact 0
		.amdhsa_exception_int_div_zero 0
	.end_amdhsa_kernel
	.section	.text._ZN12_GLOBAL__N_127rocblas_gemm_batched_kernelIfLi16ELi16ELi32ELi32ELi8ELi32ELi8ELi8ELi32ELc78ELc84EKPK16rocblas_bfloat16S4_KPS1_EEvlllT_PT11_llS9_llS7_PT12_llPT13_lli,"axG",@progbits,_ZN12_GLOBAL__N_127rocblas_gemm_batched_kernelIfLi16ELi16ELi32ELi32ELi8ELi32ELi8ELi8ELi32ELc78ELc84EKPK16rocblas_bfloat16S4_KPS1_EEvlllT_PT11_llS9_llS7_PT12_llPT13_lli,comdat
.Lfunc_end151:
	.size	_ZN12_GLOBAL__N_127rocblas_gemm_batched_kernelIfLi16ELi16ELi32ELi32ELi8ELi32ELi8ELi8ELi32ELc78ELc84EKPK16rocblas_bfloat16S4_KPS1_EEvlllT_PT11_llS9_llS7_PT12_llPT13_lli, .Lfunc_end151-_ZN12_GLOBAL__N_127rocblas_gemm_batched_kernelIfLi16ELi16ELi32ELi32ELi8ELi32ELi8ELi8ELi32ELc78ELc84EKPK16rocblas_bfloat16S4_KPS1_EEvlllT_PT11_llS9_llS7_PT12_llPT13_lli
                                        ; -- End function
	.set _ZN12_GLOBAL__N_127rocblas_gemm_batched_kernelIfLi16ELi16ELi32ELi32ELi8ELi32ELi8ELi8ELi32ELc78ELc84EKPK16rocblas_bfloat16S4_KPS1_EEvlllT_PT11_llS9_llS7_PT12_llPT13_lli.num_vgpr, 46
	.set _ZN12_GLOBAL__N_127rocblas_gemm_batched_kernelIfLi16ELi16ELi32ELi32ELi8ELi32ELi8ELi8ELi32ELc78ELc84EKPK16rocblas_bfloat16S4_KPS1_EEvlllT_PT11_llS9_llS7_PT12_llPT13_lli.num_agpr, 0
	.set _ZN12_GLOBAL__N_127rocblas_gemm_batched_kernelIfLi16ELi16ELi32ELi32ELi8ELi32ELi8ELi8ELi32ELc78ELc84EKPK16rocblas_bfloat16S4_KPS1_EEvlllT_PT11_llS9_llS7_PT12_llPT13_lli.numbered_sgpr, 36
	.set _ZN12_GLOBAL__N_127rocblas_gemm_batched_kernelIfLi16ELi16ELi32ELi32ELi8ELi32ELi8ELi8ELi32ELc78ELc84EKPK16rocblas_bfloat16S4_KPS1_EEvlllT_PT11_llS9_llS7_PT12_llPT13_lli.num_named_barrier, 0
	.set _ZN12_GLOBAL__N_127rocblas_gemm_batched_kernelIfLi16ELi16ELi32ELi32ELi8ELi32ELi8ELi8ELi32ELc78ELc84EKPK16rocblas_bfloat16S4_KPS1_EEvlllT_PT11_llS9_llS7_PT12_llPT13_lli.private_seg_size, 0
	.set _ZN12_GLOBAL__N_127rocblas_gemm_batched_kernelIfLi16ELi16ELi32ELi32ELi8ELi32ELi8ELi8ELi32ELc78ELc84EKPK16rocblas_bfloat16S4_KPS1_EEvlllT_PT11_llS9_llS7_PT12_llPT13_lli.uses_vcc, 1
	.set _ZN12_GLOBAL__N_127rocblas_gemm_batched_kernelIfLi16ELi16ELi32ELi32ELi8ELi32ELi8ELi8ELi32ELc78ELc84EKPK16rocblas_bfloat16S4_KPS1_EEvlllT_PT11_llS9_llS7_PT12_llPT13_lli.uses_flat_scratch, 0
	.set _ZN12_GLOBAL__N_127rocblas_gemm_batched_kernelIfLi16ELi16ELi32ELi32ELi8ELi32ELi8ELi8ELi32ELc78ELc84EKPK16rocblas_bfloat16S4_KPS1_EEvlllT_PT11_llS9_llS7_PT12_llPT13_lli.has_dyn_sized_stack, 0
	.set _ZN12_GLOBAL__N_127rocblas_gemm_batched_kernelIfLi16ELi16ELi32ELi32ELi8ELi32ELi8ELi8ELi32ELc78ELc84EKPK16rocblas_bfloat16S4_KPS1_EEvlllT_PT11_llS9_llS7_PT12_llPT13_lli.has_recursion, 0
	.set _ZN12_GLOBAL__N_127rocblas_gemm_batched_kernelIfLi16ELi16ELi32ELi32ELi8ELi32ELi8ELi8ELi32ELc78ELc84EKPK16rocblas_bfloat16S4_KPS1_EEvlllT_PT11_llS9_llS7_PT12_llPT13_lli.has_indirect_call, 0
	.section	.AMDGPU.csdata,"",@progbits
; Kernel info:
; codeLenInByte = 2388
; TotalNumSgprs: 38
; NumVgprs: 46
; ScratchSize: 0
; MemoryBound: 0
; FloatMode: 240
; IeeeMode: 1
; LDSByteSize: 2048 bytes/workgroup (compile time only)
; SGPRBlocks: 0
; VGPRBlocks: 5
; NumSGPRsForWavesPerEU: 38
; NumVGPRsForWavesPerEU: 46
; Occupancy: 16
; WaveLimiterHint : 1
; COMPUTE_PGM_RSRC2:SCRATCH_EN: 0
; COMPUTE_PGM_RSRC2:USER_SGPR: 6
; COMPUTE_PGM_RSRC2:TRAP_HANDLER: 0
; COMPUTE_PGM_RSRC2:TGID_X_EN: 1
; COMPUTE_PGM_RSRC2:TGID_Y_EN: 1
; COMPUTE_PGM_RSRC2:TGID_Z_EN: 1
; COMPUTE_PGM_RSRC2:TIDIG_COMP_CNT: 1
	.section	.text._ZN12_GLOBAL__N_127rocblas_gemm_batched_kernelIfLi16ELi16ELi32ELi32ELi8ELi32ELi8ELi8ELi32ELc84ELc84EKPK16rocblas_bfloat16S4_KPS1_EEvlllT_PT11_llS9_llS7_PT12_llPT13_lli,"axG",@progbits,_ZN12_GLOBAL__N_127rocblas_gemm_batched_kernelIfLi16ELi16ELi32ELi32ELi8ELi32ELi8ELi8ELi32ELc84ELc84EKPK16rocblas_bfloat16S4_KPS1_EEvlllT_PT11_llS9_llS7_PT12_llPT13_lli,comdat
	.globl	_ZN12_GLOBAL__N_127rocblas_gemm_batched_kernelIfLi16ELi16ELi32ELi32ELi8ELi32ELi8ELi8ELi32ELc84ELc84EKPK16rocblas_bfloat16S4_KPS1_EEvlllT_PT11_llS9_llS7_PT12_llPT13_lli ; -- Begin function _ZN12_GLOBAL__N_127rocblas_gemm_batched_kernelIfLi16ELi16ELi32ELi32ELi8ELi32ELi8ELi8ELi32ELc84ELc84EKPK16rocblas_bfloat16S4_KPS1_EEvlllT_PT11_llS9_llS7_PT12_llPT13_lli
	.p2align	8
	.type	_ZN12_GLOBAL__N_127rocblas_gemm_batched_kernelIfLi16ELi16ELi32ELi32ELi8ELi32ELi8ELi8ELi32ELc84ELc84EKPK16rocblas_bfloat16S4_KPS1_EEvlllT_PT11_llS9_llS7_PT12_llPT13_lli,@function
_ZN12_GLOBAL__N_127rocblas_gemm_batched_kernelIfLi16ELi16ELi32ELi32ELi8ELi32ELi8ELi8ELi32ELc84ELc84EKPK16rocblas_bfloat16S4_KPS1_EEvlllT_PT11_llS9_llS7_PT12_llPT13_lli: ; @_ZN12_GLOBAL__N_127rocblas_gemm_batched_kernelIfLi16ELi16ELi32ELi32ELi8ELi32ELi8ELi8ELi32ELc84ELc84EKPK16rocblas_bfloat16S4_KPS1_EEvlllT_PT11_llS9_llS7_PT12_llPT13_lli
; %bb.0:
	s_clause 0x1
	s_load_dwordx8 s[12:19], s[4:5], 0x58
	s_load_dwordx2 s[28:29], s[4:5], 0x10
	s_mov_b32 s9, 0
	s_load_dwordx4 s[0:3], s[4:5], 0x78
	s_lshl_b64 s[34:35], s[8:9], 3
	s_mov_b32 s10, s7
	v_mov_b32_e32 v9, 0
	v_mov_b32_e32 v8, 0
	;; [unrolled: 1-line block ×4, first 2 shown]
	s_waitcnt lgkmcnt(0)
	s_add_u32 s8, s12, s34
	s_addc_u32 s9, s13, s35
	s_add_u32 s18, s18, s34
	s_addc_u32 s19, s19, s35
	s_load_dwordx2 s[12:13], s[8:9], 0x0
	s_load_dwordx2 s[18:19], s[18:19], 0x0
	v_cmp_lt_i64_e64 s8, s[28:29], 1
	s_ashr_i32 s7, s6, 31
	s_ashr_i32 s11, s10, 31
	s_lshl_b64 s[6:7], s[6:7], 5
	s_lshl_b64 s[30:31], s[10:11], 5
	s_and_b32 vcc_lo, exec_lo, s8
	s_cbranch_vccnz .LBB152_3
; %bb.1:
	s_clause 0x1
	s_load_dwordx8 s[20:27], s[4:5], 0x20
	s_load_dwordx4 s[8:11], s[4:5], 0x40
	v_lshl_add_u32 v2, v1, 4, v0
	v_and_b32_e32 v7, 7, v0
	v_mov_b32_e32 v6, 0
	v_lshlrev_b32_e32 v10, 2, v0
	v_lshrrev_b32_e32 v8, 3, v2
	v_and_b32_e32 v9, 31, v2
	v_lshrrev_b32_e32 v11, 5, v2
	v_lshlrev_b32_e32 v12, 2, v7
	v_add_co_u32 v2, s33, v8, s30
	v_add_co_ci_u32_e64 v3, null, 0, s31, s33
	v_add_co_u32 v4, s33, s6, v9
	v_add_co_ci_u32_e64 v5, null, s7, 0, s33
	s_waitcnt lgkmcnt(0)
	s_add_u32 s20, s20, s34
	v_mul_lo_u32 v13, s23, v4
	v_mad_u64_u32 v[2:3], null, s8, v7, v[2:3]
	v_mul_lo_u32 v14, s22, v5
	v_mad_u64_u32 v[4:5], null, s22, v4, 0
	s_addc_u32 s21, s21, s35
	s_add_u32 s22, s26, s34
	s_addc_u32 s23, s27, s35
	s_load_dwordx2 s[20:21], s[20:21], 0x0
	s_load_dwordx2 s[22:23], s[22:23], 0x0
	v_lshl_or_b32 v12, v8, 5, v12
	v_add3_u32 v5, v5, v14, v13
	v_mad_u64_u32 v[7:8], null, s9, v7, v[3:4]
	s_lshl_b64 s[24:25], s[24:25], 1
	v_lshlrev_b32_e32 v8, 1, v11
	v_lshlrev_b64 v[4:5], 1, v[4:5]
	s_lshl_b64 s[10:11], s[10:11], 1
	v_lshlrev_b32_e32 v9, 2, v9
	v_add_nc_u32_e32 v12, 0x400, v12
	v_mov_b32_e32 v3, v7
	v_lshl_add_u32 v13, v1, 5, 0x400
	v_add_co_u32 v4, vcc_lo, v4, s24
	v_add_co_ci_u32_e64 v5, null, s25, v5, vcc_lo
	v_lshl_or_b32 v11, v11, 7, v9
	v_add_co_u32 v7, vcc_lo, v4, v8
	v_add_co_ci_u32_e64 v8, null, 0, v5, vcc_lo
	v_lshlrev_b64 v[4:5], 1, v[2:3]
	s_waitcnt lgkmcnt(0)
	v_add_co_u32 v2, vcc_lo, s20, v7
	s_add_u32 s10, s22, s10
	v_add_co_ci_u32_e64 v3, null, s21, v8, vcc_lo
	s_addc_u32 s11, s23, s11
	v_add_co_u32 v4, vcc_lo, s10, v4
	v_add_co_ci_u32_e64 v5, null, s11, v5, vcc_lo
	v_mov_b32_e32 v7, 0
	v_mov_b32_e32 v8, 0
	;; [unrolled: 1-line block ×3, first 2 shown]
	s_lshl_b64 s[8:9], s[8:9], 4
	s_mov_b64 s[10:11], 0
.LBB152_2:                              ; =>This Inner Loop Header: Depth=1
	flat_load_ushort v14, v[2:3]
	flat_load_ushort v15, v[4:5]
	s_add_u32 s10, s10, 8
	s_addc_u32 s11, s11, 0
	v_add_co_u32 v2, vcc_lo, v2, 16
	v_cmp_lt_i64_e64 s20, s[10:11], s[28:29]
	v_add_co_ci_u32_e64 v3, null, 0, v3, vcc_lo
	v_add_co_u32 v4, vcc_lo, v4, s8
	v_add_co_ci_u32_e64 v5, null, s9, v5, vcc_lo
	s_and_b32 vcc_lo, exec_lo, s20
	s_waitcnt vmcnt(1) lgkmcnt(1)
	v_lshlrev_b32_e32 v14, 16, v14
	s_waitcnt vmcnt(0) lgkmcnt(0)
	v_lshlrev_b32_e32 v15, 16, v15
	ds_write_b32 v11, v14
	ds_write_b32 v12, v15
	s_waitcnt lgkmcnt(0)
	s_barrier
	buffer_gl0_inv
	ds_read_b128 v[14:17], v13
	ds_read2_b32 v[30:31], v10 offset1:16
	ds_read_b128 v[18:21], v13 offset:512
	ds_read2_b32 v[32:33], v10 offset0:32 offset1:48
	ds_read2_b32 v[34:35], v10 offset0:64 offset1:80
	ds_read_b128 v[22:25], v13 offset:16
	ds_read2_b32 v[36:37], v10 offset0:96 offset1:112
	ds_read2_b32 v[38:39], v10 offset0:128 offset1:144
	;; [unrolled: 3-line block ×3, first 2 shown]
	ds_read2_b32 v[44:45], v10 offset0:224 offset1:240
	s_waitcnt lgkmcnt(0)
	s_barrier
	buffer_gl0_inv
	v_fmac_f32_e32 v9, v30, v14
	v_fmac_f32_e32 v8, v31, v14
	v_fmac_f32_e32 v7, v30, v18
	v_fmac_f32_e32 v6, v31, v18
	v_fmac_f32_e32 v9, v32, v15
	v_fmac_f32_e32 v8, v33, v15
	v_fmac_f32_e32 v7, v32, v19
	v_fmac_f32_e32 v6, v33, v19
	v_fmac_f32_e32 v9, v34, v16
	v_fmac_f32_e32 v8, v35, v16
	v_fmac_f32_e32 v7, v34, v20
	v_fmac_f32_e32 v6, v35, v20
	v_fmac_f32_e32 v9, v36, v17
	v_fmac_f32_e32 v8, v37, v17
	v_fmac_f32_e32 v7, v36, v21
	v_fmac_f32_e32 v6, v37, v21
	v_fmac_f32_e32 v9, v38, v22
	v_fmac_f32_e32 v8, v39, v22
	v_fmac_f32_e32 v7, v38, v26
	v_fmac_f32_e32 v6, v39, v26
	v_fmac_f32_e32 v9, v40, v23
	v_fmac_f32_e32 v8, v41, v23
	v_fmac_f32_e32 v7, v40, v27
	v_fmac_f32_e32 v6, v41, v27
	v_fmac_f32_e32 v9, v42, v24
	v_fmac_f32_e32 v8, v43, v24
	v_fmac_f32_e32 v7, v42, v28
	v_fmac_f32_e32 v6, v43, v28
	v_fmac_f32_e32 v9, v44, v25
	v_fmac_f32_e32 v8, v45, v25
	v_fmac_f32_e32 v7, v44, v29
	v_fmac_f32_e32 v6, v45, v29
	s_cbranch_vccnz .LBB152_2
.LBB152_3:
	s_clause 0x1
	s_load_dword s8, s[4:5], 0x50
	s_load_dword s4, s[4:5], 0x18
	v_add_co_u32 v10, s5, s30, v1
	v_add_co_ci_u32_e64 v11, null, s31, 0, s5
	v_add_co_u32 v0, s6, s6, v0
	s_lshl_b64 s[2:3], s[2:3], 1
	v_add_co_ci_u32_e64 v1, null, s7, 0, s6
	s_waitcnt lgkmcnt(0)
	s_add_u32 s2, s18, s2
	s_addc_u32 s3, s19, s3
	v_cmp_neq_f32_e64 s5, s8, 0
	s_and_b32 vcc_lo, exec_lo, s5
	s_cbranch_vccnz .LBB152_52
; %bb.4:
	v_mul_f32_e32 v2, s4, v9
	s_mov_b32 s5, exec_lo
                                        ; implicit-def: $vgpr14
	v_and_b32_e32 v3, 0x7f800000, v2
	v_cmpx_ne_u32_e32 0x7f800000, v3
	s_xor_b32 s5, exec_lo, s5
; %bb.5:
	v_bfe_u32 v3, v2, 16, 1
	v_add3_u32 v14, v2, v3, 0x7fff
                                        ; implicit-def: $vgpr2
; %bb.6:
	s_andn2_saveexec_b32 s5, s5
; %bb.7:
	v_mov_b32_e32 v3, 0
	v_or_b32_e32 v4, 0x10000, v2
	v_cmp_eq_u32_sdwa vcc_lo, v2, v3 src0_sel:WORD_0 src1_sel:DWORD
	v_cndmask_b32_e32 v14, v4, v2, vcc_lo
; %bb.8:
	s_or_b32 exec_lo, exec_lo, s5
	v_mul_lo_u32 v4, v11, s0
	v_mul_lo_u32 v5, v10, s1
	v_mad_u64_u32 v[2:3], null, v10, s0, 0
	v_mul_f32_e32 v15, s4, v8
	v_and_b32_e32 v16, 0x7f800000, v15
	v_add3_u32 v3, v3, v5, v4
	v_lshlrev_b64 v[4:5], 1, v[2:3]
	v_lshlrev_b64 v[2:3], 1, v[0:1]
	v_add_co_u32 v12, vcc_lo, s2, v4
	v_add_co_ci_u32_e64 v13, null, s3, v5, vcc_lo
	v_add_co_u32 v4, vcc_lo, v12, v2
	v_add_co_ci_u32_e64 v5, null, v13, v3, vcc_lo
	v_cmp_ne_u32_e32 vcc_lo, 0x7f800000, v16
                                        ; implicit-def: $vgpr16
	flat_store_short_d16_hi v[4:5], v14
	s_and_saveexec_b32 s5, vcc_lo
	s_xor_b32 s5, exec_lo, s5
; %bb.9:
	v_bfe_u32 v14, v15, 16, 1
	v_add3_u32 v16, v15, v14, 0x7fff
                                        ; implicit-def: $vgpr15
; %bb.10:
	s_andn2_saveexec_b32 s5, s5
; %bb.11:
	v_mov_b32_e32 v14, 0
	v_or_b32_e32 v16, 0x10000, v15
	v_cmp_eq_u32_sdwa vcc_lo, v15, v14 src0_sel:WORD_0 src1_sel:DWORD
	v_cndmask_b32_e32 v16, v16, v15, vcc_lo
; %bb.12:
	s_or_b32 exec_lo, exec_lo, s5
	v_mul_f32_e32 v14, s4, v7
	s_mov_b32 s5, exec_lo
	flat_store_short_d16_hi v[4:5], v16 offset:32
                                        ; implicit-def: $vgpr4
	v_and_b32_e32 v15, 0x7f800000, v14
	v_cmpx_ne_u32_e32 0x7f800000, v15
	s_xor_b32 s5, exec_lo, s5
; %bb.13:
	v_bfe_u32 v4, v14, 16, 1
	v_add3_u32 v4, v14, v4, 0x7fff
                                        ; implicit-def: $vgpr14
; %bb.14:
	s_andn2_saveexec_b32 s5, s5
; %bb.15:
	v_mov_b32_e32 v4, 0
	v_or_b32_e32 v5, 0x10000, v14
	v_cmp_eq_u32_sdwa vcc_lo, v14, v4 src0_sel:WORD_0 src1_sel:DWORD
	v_cndmask_b32_e32 v4, v5, v14, vcc_lo
; %bb.16:
	s_or_b32 exec_lo, exec_lo, s5
	s_lshl_b64 s[6:7], s[0:1], 5
	v_mul_f32_e32 v5, s4, v6
	v_add_co_u32 v12, vcc_lo, v12, s6
	v_add_co_ci_u32_e64 v13, null, s7, v13, vcc_lo
	v_and_b32_e32 v14, 0x7f800000, v5
	v_add_co_u32 v2, vcc_lo, v12, v2
	v_add_co_ci_u32_e64 v3, null, v13, v3, vcc_lo
	s_mov_b32 s5, exec_lo
	flat_store_short_d16_hi v[2:3], v4
                                        ; implicit-def: $vgpr4
	v_cmpx_ne_u32_e32 0x7f800000, v14
	s_xor_b32 s5, exec_lo, s5
; %bb.17:
	v_bfe_u32 v4, v5, 16, 1
	v_add3_u32 v4, v5, v4, 0x7fff
                                        ; implicit-def: $vgpr5
; %bb.18:
	s_andn2_saveexec_b32 s5, s5
; %bb.19:
	v_mov_b32_e32 v4, 0
	v_or_b32_e32 v12, 0x10000, v5
	v_cmp_eq_u32_sdwa vcc_lo, v5, v4 src0_sel:WORD_0 src1_sel:DWORD
	v_cndmask_b32_e32 v4, v12, v5, vcc_lo
; %bb.20:
	s_or_b32 exec_lo, exec_lo, s5
	flat_store_short_d16_hi v[2:3], v4 offset:32
	s_branch .LBB152_53
.LBB152_21:
	v_mul_lo_u32 v4, v11, s14
	v_mul_lo_u32 v5, v10, s15
	v_mad_u64_u32 v[2:3], null, v10, s14, 0
	s_lshl_b64 s[6:7], s[16:17], 1
	v_lshlrev_b64 v[0:1], 1, v[0:1]
	s_add_u32 s5, s12, s6
	s_addc_u32 s6, s13, s7
	v_add3_u32 v3, v3, v5, v4
	v_lshlrev_b64 v[2:3], 1, v[2:3]
	v_add_co_u32 v12, vcc_lo, s5, v2
	v_add_co_ci_u32_e64 v13, null, s6, v3, vcc_lo
	v_add_co_u32 v2, vcc_lo, v12, v0
	v_add_co_ci_u32_e64 v3, null, v13, v1, vcc_lo
	flat_load_ushort v4, v[2:3]
	s_waitcnt vmcnt(0) lgkmcnt(0)
	v_lshlrev_b32_e32 v4, 16, v4
	v_mul_f32_e32 v4, s8, v4
	v_and_b32_e32 v5, 0x7f800000, v4
	v_cmp_ne_u32_e32 vcc_lo, 0x7f800000, v5
                                        ; implicit-def: $vgpr5
	s_and_saveexec_b32 s5, vcc_lo
	s_xor_b32 s5, exec_lo, s5
; %bb.22:
	v_bfe_u32 v5, v4, 16, 1
	v_add3_u32 v5, v4, v5, 0x7fff
                                        ; implicit-def: $vgpr4
; %bb.23:
	s_andn2_saveexec_b32 s5, s5
; %bb.24:
	v_mov_b32_e32 v5, 0
	v_or_b32_e32 v14, 0x10000, v4
	v_cmp_eq_u32_sdwa vcc_lo, v4, v5 src0_sel:WORD_0 src1_sel:DWORD
	v_cndmask_b32_e32 v5, v14, v4, vcc_lo
; %bb.25:
	s_or_b32 exec_lo, exec_lo, s5
	v_and_b32_e32 v4, 0xffff0000, v5
	s_mov_b32 s5, exec_lo
                                        ; implicit-def: $vgpr14
	v_fmac_f32_e32 v4, s4, v9
	v_and_b32_e32 v5, 0x7f800000, v4
	v_cmpx_ne_u32_e32 0x7f800000, v5
	s_xor_b32 s5, exec_lo, s5
; %bb.26:
	v_bfe_u32 v5, v4, 16, 1
	v_add3_u32 v14, v4, v5, 0x7fff
                                        ; implicit-def: $vgpr4
; %bb.27:
	s_andn2_saveexec_b32 s5, s5
; %bb.28:
	v_mov_b32_e32 v5, 0
	v_or_b32_e32 v9, 0x10000, v4
	v_cmp_eq_u32_sdwa vcc_lo, v4, v5 src0_sel:WORD_0 src1_sel:DWORD
	v_cndmask_b32_e32 v14, v9, v4, vcc_lo
; %bb.29:
	s_or_b32 exec_lo, exec_lo, s5
	v_mul_lo_u32 v9, v11, s0
	v_mul_lo_u32 v11, v10, s1
	v_mad_u64_u32 v[4:5], null, v10, s0, 0
	v_add3_u32 v5, v5, v11, v9
	v_lshlrev_b64 v[4:5], 1, v[4:5]
	v_add_co_u32 v9, vcc_lo, s2, v4
	v_add_co_ci_u32_e64 v10, null, s3, v5, vcc_lo
	v_add_co_u32 v4, vcc_lo, v9, v0
	v_add_co_ci_u32_e64 v5, null, v10, v1, vcc_lo
	flat_store_short_d16_hi v[4:5], v14
	flat_load_ushort v2, v[2:3] offset:32
	s_waitcnt vmcnt(0) lgkmcnt(0)
	v_lshlrev_b32_e32 v2, 16, v2
	v_mul_f32_e32 v2, s8, v2
	v_and_b32_e32 v3, 0x7f800000, v2
	v_cmp_ne_u32_e32 vcc_lo, 0x7f800000, v3
                                        ; implicit-def: $vgpr3
	s_and_saveexec_b32 s2, vcc_lo
	s_xor_b32 s2, exec_lo, s2
; %bb.30:
	v_bfe_u32 v3, v2, 16, 1
	v_add3_u32 v3, v2, v3, 0x7fff
                                        ; implicit-def: $vgpr2
; %bb.31:
	s_andn2_saveexec_b32 s2, s2
; %bb.32:
	v_mov_b32_e32 v3, 0
	v_or_b32_e32 v11, 0x10000, v2
	v_cmp_eq_u32_sdwa vcc_lo, v2, v3 src0_sel:WORD_0 src1_sel:DWORD
	v_cndmask_b32_e32 v3, v11, v2, vcc_lo
; %bb.33:
	s_or_b32 exec_lo, exec_lo, s2
	v_and_b32_e32 v2, 0xffff0000, v3
	s_mov_b32 s2, exec_lo
	v_fmac_f32_e32 v2, s4, v8
                                        ; implicit-def: $vgpr8
	v_and_b32_e32 v3, 0x7f800000, v2
	v_cmpx_ne_u32_e32 0x7f800000, v3
	s_xor_b32 s2, exec_lo, s2
; %bb.34:
	v_bfe_u32 v3, v2, 16, 1
	v_add3_u32 v8, v2, v3, 0x7fff
                                        ; implicit-def: $vgpr2
; %bb.35:
	s_andn2_saveexec_b32 s2, s2
; %bb.36:
	v_mov_b32_e32 v3, 0
	v_or_b32_e32 v8, 0x10000, v2
	v_cmp_eq_u32_sdwa vcc_lo, v2, v3 src0_sel:WORD_0 src1_sel:DWORD
	v_cndmask_b32_e32 v8, v8, v2, vcc_lo
; %bb.37:
	s_or_b32 exec_lo, exec_lo, s2
	s_lshl_b64 s[2:3], s[14:15], 5
	flat_store_short_d16_hi v[4:5], v8 offset:32
	v_add_co_u32 v2, vcc_lo, v12, s2
	v_add_co_ci_u32_e64 v3, null, s3, v13, vcc_lo
	v_add_co_u32 v2, vcc_lo, v2, v0
	v_add_co_ci_u32_e64 v3, null, v3, v1, vcc_lo
	flat_load_ushort v4, v[2:3]
	s_waitcnt vmcnt(0) lgkmcnt(0)
	v_lshlrev_b32_e32 v4, 16, v4
	v_mul_f32_e32 v4, s8, v4
	v_and_b32_e32 v5, 0x7f800000, v4
	v_cmp_ne_u32_e32 vcc_lo, 0x7f800000, v5
                                        ; implicit-def: $vgpr5
	s_and_saveexec_b32 s2, vcc_lo
	s_xor_b32 s2, exec_lo, s2
; %bb.38:
	v_bfe_u32 v5, v4, 16, 1
	v_add3_u32 v5, v4, v5, 0x7fff
                                        ; implicit-def: $vgpr4
; %bb.39:
	s_andn2_saveexec_b32 s2, s2
; %bb.40:
	v_mov_b32_e32 v5, 0
	v_or_b32_e32 v8, 0x10000, v4
	v_cmp_eq_u32_sdwa vcc_lo, v4, v5 src0_sel:WORD_0 src1_sel:DWORD
	v_cndmask_b32_e32 v5, v8, v4, vcc_lo
; %bb.41:
	s_or_b32 exec_lo, exec_lo, s2
	v_and_b32_e32 v5, 0xffff0000, v5
	v_fmac_f32_e32 v5, s4, v7
	v_and_b32_e32 v4, 0x7f800000, v5
	v_cmp_ne_u32_e32 vcc_lo, 0x7f800000, v4
                                        ; implicit-def: $vgpr4
	s_and_saveexec_b32 s2, vcc_lo
	s_xor_b32 s2, exec_lo, s2
; %bb.42:
	v_bfe_u32 v4, v5, 16, 1
	v_add3_u32 v4, v5, v4, 0x7fff
                                        ; implicit-def: $vgpr5
; %bb.43:
	s_andn2_saveexec_b32 s2, s2
; %bb.44:
	v_mov_b32_e32 v4, 0
	v_or_b32_e32 v7, 0x10000, v5
	v_cmp_eq_u32_sdwa vcc_lo, v5, v4 src0_sel:WORD_0 src1_sel:DWORD
	v_cndmask_b32_e32 v4, v7, v5, vcc_lo
; %bb.45:
	s_or_b32 exec_lo, exec_lo, s2
	s_lshl_b64 s[0:1], s[0:1], 5
	v_add_co_u32 v5, vcc_lo, v9, s0
	v_add_co_ci_u32_e64 v7, null, s1, v10, vcc_lo
	v_add_co_u32 v0, vcc_lo, v5, v0
	v_add_co_ci_u32_e64 v1, null, v7, v1, vcc_lo
	flat_store_short_d16_hi v[0:1], v4
	flat_load_ushort v2, v[2:3] offset:32
	s_waitcnt vmcnt(0) lgkmcnt(0)
	v_lshlrev_b32_e32 v2, 16, v2
	v_mul_f32_e32 v2, s8, v2
	v_and_b32_e32 v3, 0x7f800000, v2
	v_cmp_ne_u32_e32 vcc_lo, 0x7f800000, v3
                                        ; implicit-def: $vgpr3
	s_and_saveexec_b32 s0, vcc_lo
	s_xor_b32 s0, exec_lo, s0
; %bb.46:
	v_bfe_u32 v3, v2, 16, 1
	v_add3_u32 v3, v2, v3, 0x7fff
                                        ; implicit-def: $vgpr2
; %bb.47:
	s_andn2_saveexec_b32 s0, s0
; %bb.48:
	v_mov_b32_e32 v3, 0
	v_or_b32_e32 v4, 0x10000, v2
	v_cmp_eq_u32_sdwa vcc_lo, v2, v3 src0_sel:WORD_0 src1_sel:DWORD
	v_cndmask_b32_e32 v3, v4, v2, vcc_lo
; %bb.49:
	s_or_b32 exec_lo, exec_lo, s0
	v_and_b32_e32 v2, 0xffff0000, v3
	v_fmac_f32_e32 v2, s4, v6
	v_and_b32_e32 v3, 0x7f800000, v2
	v_cmp_ne_u32_e32 vcc_lo, 0x7f800000, v3
                                        ; implicit-def: $vgpr3
	s_and_saveexec_b32 s0, vcc_lo
	s_xor_b32 s0, exec_lo, s0
	s_cbranch_execnz .LBB152_54
; %bb.50:
	s_andn2_saveexec_b32 s0, s0
	s_cbranch_execnz .LBB152_55
.LBB152_51:
	s_or_b32 exec_lo, exec_lo, s0
	flat_store_short_d16_hi v[0:1], v3 offset:32
	s_endpgm
.LBB152_52:
	s_cbranch_execnz .LBB152_21
.LBB152_53:
	s_endpgm
.LBB152_54:
	v_bfe_u32 v3, v2, 16, 1
	v_add3_u32 v3, v2, v3, 0x7fff
                                        ; implicit-def: $vgpr2
	s_andn2_saveexec_b32 s0, s0
	s_cbranch_execz .LBB152_51
.LBB152_55:
	v_mov_b32_e32 v3, 0
	v_or_b32_e32 v4, 0x10000, v2
	v_cmp_eq_u32_sdwa vcc_lo, v2, v3 src0_sel:WORD_0 src1_sel:DWORD
	v_cndmask_b32_e32 v3, v4, v2, vcc_lo
	s_or_b32 exec_lo, exec_lo, s0
	flat_store_short_d16_hi v[0:1], v3 offset:32
	s_endpgm
	.section	.rodata,"a",@progbits
	.p2align	6, 0x0
	.amdhsa_kernel _ZN12_GLOBAL__N_127rocblas_gemm_batched_kernelIfLi16ELi16ELi32ELi32ELi8ELi32ELi8ELi8ELi32ELc84ELc84EKPK16rocblas_bfloat16S4_KPS1_EEvlllT_PT11_llS9_llS7_PT12_llPT13_lli
		.amdhsa_group_segment_fixed_size 2048
		.amdhsa_private_segment_fixed_size 0
		.amdhsa_kernarg_size 140
		.amdhsa_user_sgpr_count 6
		.amdhsa_user_sgpr_private_segment_buffer 1
		.amdhsa_user_sgpr_dispatch_ptr 0
		.amdhsa_user_sgpr_queue_ptr 0
		.amdhsa_user_sgpr_kernarg_segment_ptr 1
		.amdhsa_user_sgpr_dispatch_id 0
		.amdhsa_user_sgpr_flat_scratch_init 0
		.amdhsa_user_sgpr_private_segment_size 0
		.amdhsa_wavefront_size32 1
		.amdhsa_uses_dynamic_stack 0
		.amdhsa_system_sgpr_private_segment_wavefront_offset 0
		.amdhsa_system_sgpr_workgroup_id_x 1
		.amdhsa_system_sgpr_workgroup_id_y 1
		.amdhsa_system_sgpr_workgroup_id_z 1
		.amdhsa_system_sgpr_workgroup_info 0
		.amdhsa_system_vgpr_workitem_id 1
		.amdhsa_next_free_vgpr 46
		.amdhsa_next_free_sgpr 36
		.amdhsa_reserve_vcc 1
		.amdhsa_reserve_flat_scratch 0
		.amdhsa_float_round_mode_32 0
		.amdhsa_float_round_mode_16_64 0
		.amdhsa_float_denorm_mode_32 3
		.amdhsa_float_denorm_mode_16_64 3
		.amdhsa_dx10_clamp 1
		.amdhsa_ieee_mode 1
		.amdhsa_fp16_overflow 0
		.amdhsa_workgroup_processor_mode 1
		.amdhsa_memory_ordered 1
		.amdhsa_forward_progress 1
		.amdhsa_shared_vgpr_count 0
		.amdhsa_exception_fp_ieee_invalid_op 0
		.amdhsa_exception_fp_denorm_src 0
		.amdhsa_exception_fp_ieee_div_zero 0
		.amdhsa_exception_fp_ieee_overflow 0
		.amdhsa_exception_fp_ieee_underflow 0
		.amdhsa_exception_fp_ieee_inexact 0
		.amdhsa_exception_int_div_zero 0
	.end_amdhsa_kernel
	.section	.text._ZN12_GLOBAL__N_127rocblas_gemm_batched_kernelIfLi16ELi16ELi32ELi32ELi8ELi32ELi8ELi8ELi32ELc84ELc84EKPK16rocblas_bfloat16S4_KPS1_EEvlllT_PT11_llS9_llS7_PT12_llPT13_lli,"axG",@progbits,_ZN12_GLOBAL__N_127rocblas_gemm_batched_kernelIfLi16ELi16ELi32ELi32ELi8ELi32ELi8ELi8ELi32ELc84ELc84EKPK16rocblas_bfloat16S4_KPS1_EEvlllT_PT11_llS9_llS7_PT12_llPT13_lli,comdat
.Lfunc_end152:
	.size	_ZN12_GLOBAL__N_127rocblas_gemm_batched_kernelIfLi16ELi16ELi32ELi32ELi8ELi32ELi8ELi8ELi32ELc84ELc84EKPK16rocblas_bfloat16S4_KPS1_EEvlllT_PT11_llS9_llS7_PT12_llPT13_lli, .Lfunc_end152-_ZN12_GLOBAL__N_127rocblas_gemm_batched_kernelIfLi16ELi16ELi32ELi32ELi8ELi32ELi8ELi8ELi32ELc84ELc84EKPK16rocblas_bfloat16S4_KPS1_EEvlllT_PT11_llS9_llS7_PT12_llPT13_lli
                                        ; -- End function
	.set _ZN12_GLOBAL__N_127rocblas_gemm_batched_kernelIfLi16ELi16ELi32ELi32ELi8ELi32ELi8ELi8ELi32ELc84ELc84EKPK16rocblas_bfloat16S4_KPS1_EEvlllT_PT11_llS9_llS7_PT12_llPT13_lli.num_vgpr, 46
	.set _ZN12_GLOBAL__N_127rocblas_gemm_batched_kernelIfLi16ELi16ELi32ELi32ELi8ELi32ELi8ELi8ELi32ELc84ELc84EKPK16rocblas_bfloat16S4_KPS1_EEvlllT_PT11_llS9_llS7_PT12_llPT13_lli.num_agpr, 0
	.set _ZN12_GLOBAL__N_127rocblas_gemm_batched_kernelIfLi16ELi16ELi32ELi32ELi8ELi32ELi8ELi8ELi32ELc84ELc84EKPK16rocblas_bfloat16S4_KPS1_EEvlllT_PT11_llS9_llS7_PT12_llPT13_lli.numbered_sgpr, 36
	.set _ZN12_GLOBAL__N_127rocblas_gemm_batched_kernelIfLi16ELi16ELi32ELi32ELi8ELi32ELi8ELi8ELi32ELc84ELc84EKPK16rocblas_bfloat16S4_KPS1_EEvlllT_PT11_llS9_llS7_PT12_llPT13_lli.num_named_barrier, 0
	.set _ZN12_GLOBAL__N_127rocblas_gemm_batched_kernelIfLi16ELi16ELi32ELi32ELi8ELi32ELi8ELi8ELi32ELc84ELc84EKPK16rocblas_bfloat16S4_KPS1_EEvlllT_PT11_llS9_llS7_PT12_llPT13_lli.private_seg_size, 0
	.set _ZN12_GLOBAL__N_127rocblas_gemm_batched_kernelIfLi16ELi16ELi32ELi32ELi8ELi32ELi8ELi8ELi32ELc84ELc84EKPK16rocblas_bfloat16S4_KPS1_EEvlllT_PT11_llS9_llS7_PT12_llPT13_lli.uses_vcc, 1
	.set _ZN12_GLOBAL__N_127rocblas_gemm_batched_kernelIfLi16ELi16ELi32ELi32ELi8ELi32ELi8ELi8ELi32ELc84ELc84EKPK16rocblas_bfloat16S4_KPS1_EEvlllT_PT11_llS9_llS7_PT12_llPT13_lli.uses_flat_scratch, 0
	.set _ZN12_GLOBAL__N_127rocblas_gemm_batched_kernelIfLi16ELi16ELi32ELi32ELi8ELi32ELi8ELi8ELi32ELc84ELc84EKPK16rocblas_bfloat16S4_KPS1_EEvlllT_PT11_llS9_llS7_PT12_llPT13_lli.has_dyn_sized_stack, 0
	.set _ZN12_GLOBAL__N_127rocblas_gemm_batched_kernelIfLi16ELi16ELi32ELi32ELi8ELi32ELi8ELi8ELi32ELc84ELc84EKPK16rocblas_bfloat16S4_KPS1_EEvlllT_PT11_llS9_llS7_PT12_llPT13_lli.has_recursion, 0
	.set _ZN12_GLOBAL__N_127rocblas_gemm_batched_kernelIfLi16ELi16ELi32ELi32ELi8ELi32ELi8ELi8ELi32ELc84ELc84EKPK16rocblas_bfloat16S4_KPS1_EEvlllT_PT11_llS9_llS7_PT12_llPT13_lli.has_indirect_call, 0
	.section	.AMDGPU.csdata,"",@progbits
; Kernel info:
; codeLenInByte = 2428
; TotalNumSgprs: 38
; NumVgprs: 46
; ScratchSize: 0
; MemoryBound: 0
; FloatMode: 240
; IeeeMode: 1
; LDSByteSize: 2048 bytes/workgroup (compile time only)
; SGPRBlocks: 0
; VGPRBlocks: 5
; NumSGPRsForWavesPerEU: 38
; NumVGPRsForWavesPerEU: 46
; Occupancy: 16
; WaveLimiterHint : 1
; COMPUTE_PGM_RSRC2:SCRATCH_EN: 0
; COMPUTE_PGM_RSRC2:USER_SGPR: 6
; COMPUTE_PGM_RSRC2:TRAP_HANDLER: 0
; COMPUTE_PGM_RSRC2:TGID_X_EN: 1
; COMPUTE_PGM_RSRC2:TGID_Y_EN: 1
; COMPUTE_PGM_RSRC2:TGID_Z_EN: 1
; COMPUTE_PGM_RSRC2:TIDIG_COMP_CNT: 1
	.section	.text._ZN12_GLOBAL__N_127rocblas_gemm_batched_kernelIfLi16ELi16ELi32ELi32ELi8ELi32ELi8ELi8ELi32ELc67ELc67EKPK16rocblas_bfloat16S4_KPS1_EEvlllT_PT11_llS9_llS7_PT12_llPT13_lli,"axG",@progbits,_ZN12_GLOBAL__N_127rocblas_gemm_batched_kernelIfLi16ELi16ELi32ELi32ELi8ELi32ELi8ELi8ELi32ELc67ELc67EKPK16rocblas_bfloat16S4_KPS1_EEvlllT_PT11_llS9_llS7_PT12_llPT13_lli,comdat
	.globl	_ZN12_GLOBAL__N_127rocblas_gemm_batched_kernelIfLi16ELi16ELi32ELi32ELi8ELi32ELi8ELi8ELi32ELc67ELc67EKPK16rocblas_bfloat16S4_KPS1_EEvlllT_PT11_llS9_llS7_PT12_llPT13_lli ; -- Begin function _ZN12_GLOBAL__N_127rocblas_gemm_batched_kernelIfLi16ELi16ELi32ELi32ELi8ELi32ELi8ELi8ELi32ELc67ELc67EKPK16rocblas_bfloat16S4_KPS1_EEvlllT_PT11_llS9_llS7_PT12_llPT13_lli
	.p2align	8
	.type	_ZN12_GLOBAL__N_127rocblas_gemm_batched_kernelIfLi16ELi16ELi32ELi32ELi8ELi32ELi8ELi8ELi32ELc67ELc67EKPK16rocblas_bfloat16S4_KPS1_EEvlllT_PT11_llS9_llS7_PT12_llPT13_lli,@function
_ZN12_GLOBAL__N_127rocblas_gemm_batched_kernelIfLi16ELi16ELi32ELi32ELi8ELi32ELi8ELi8ELi32ELc67ELc67EKPK16rocblas_bfloat16S4_KPS1_EEvlllT_PT11_llS9_llS7_PT12_llPT13_lli: ; @_ZN12_GLOBAL__N_127rocblas_gemm_batched_kernelIfLi16ELi16ELi32ELi32ELi8ELi32ELi8ELi8ELi32ELc67ELc67EKPK16rocblas_bfloat16S4_KPS1_EEvlllT_PT11_llS9_llS7_PT12_llPT13_lli
; %bb.0:
	s_clause 0x1
	s_load_dwordx8 s[12:19], s[4:5], 0x58
	s_load_dwordx2 s[28:29], s[4:5], 0x10
	s_mov_b32 s9, 0
	s_load_dwordx4 s[0:3], s[4:5], 0x78
	s_lshl_b64 s[34:35], s[8:9], 3
	s_mov_b32 s10, s7
	v_mov_b32_e32 v9, 0
	v_mov_b32_e32 v8, 0
	v_mov_b32_e32 v7, 0
	v_mov_b32_e32 v6, 0
	s_waitcnt lgkmcnt(0)
	s_add_u32 s8, s12, s34
	s_addc_u32 s9, s13, s35
	s_add_u32 s18, s18, s34
	s_addc_u32 s19, s19, s35
	s_load_dwordx2 s[12:13], s[8:9], 0x0
	s_load_dwordx2 s[18:19], s[18:19], 0x0
	v_cmp_lt_i64_e64 s8, s[28:29], 1
	s_ashr_i32 s7, s6, 31
	s_ashr_i32 s11, s10, 31
	s_lshl_b64 s[6:7], s[6:7], 5
	s_lshl_b64 s[30:31], s[10:11], 5
	s_and_b32 vcc_lo, exec_lo, s8
	s_cbranch_vccnz .LBB153_3
; %bb.1:
	s_clause 0x1
	s_load_dwordx8 s[20:27], s[4:5], 0x20
	s_load_dwordx4 s[8:11], s[4:5], 0x40
	v_lshl_add_u32 v2, v1, 4, v0
	v_and_b32_e32 v7, 7, v0
	v_mov_b32_e32 v6, 0
	v_lshlrev_b32_e32 v10, 2, v0
	v_lshrrev_b32_e32 v8, 3, v2
	v_and_b32_e32 v9, 31, v2
	v_lshrrev_b32_e32 v11, 5, v2
	v_lshlrev_b32_e32 v12, 2, v7
	v_add_co_u32 v2, s33, v8, s30
	v_add_co_ci_u32_e64 v3, null, 0, s31, s33
	v_add_co_u32 v4, s33, s6, v9
	v_add_co_ci_u32_e64 v5, null, s7, 0, s33
	s_waitcnt lgkmcnt(0)
	s_add_u32 s20, s20, s34
	v_mul_lo_u32 v13, s23, v4
	v_mad_u64_u32 v[2:3], null, s8, v7, v[2:3]
	v_mul_lo_u32 v14, s22, v5
	v_mad_u64_u32 v[4:5], null, s22, v4, 0
	s_addc_u32 s21, s21, s35
	s_add_u32 s22, s26, s34
	s_addc_u32 s23, s27, s35
	s_load_dwordx2 s[20:21], s[20:21], 0x0
	s_load_dwordx2 s[22:23], s[22:23], 0x0
	v_lshl_or_b32 v12, v8, 5, v12
	v_add3_u32 v5, v5, v14, v13
	v_mad_u64_u32 v[7:8], null, s9, v7, v[3:4]
	s_lshl_b64 s[24:25], s[24:25], 1
	v_lshlrev_b32_e32 v8, 1, v11
	v_lshlrev_b64 v[4:5], 1, v[4:5]
	s_lshl_b64 s[10:11], s[10:11], 1
	v_lshlrev_b32_e32 v9, 2, v9
	v_add_nc_u32_e32 v12, 0x400, v12
	v_mov_b32_e32 v3, v7
	v_lshl_add_u32 v13, v1, 5, 0x400
	v_add_co_u32 v4, vcc_lo, v4, s24
	v_add_co_ci_u32_e64 v5, null, s25, v5, vcc_lo
	v_lshl_or_b32 v11, v11, 7, v9
	v_add_co_u32 v7, vcc_lo, v4, v8
	v_add_co_ci_u32_e64 v8, null, 0, v5, vcc_lo
	v_lshlrev_b64 v[4:5], 1, v[2:3]
	s_waitcnt lgkmcnt(0)
	v_add_co_u32 v2, vcc_lo, s20, v7
	s_add_u32 s10, s22, s10
	v_add_co_ci_u32_e64 v3, null, s21, v8, vcc_lo
	s_addc_u32 s11, s23, s11
	v_add_co_u32 v4, vcc_lo, s10, v4
	v_add_co_ci_u32_e64 v5, null, s11, v5, vcc_lo
	v_mov_b32_e32 v7, 0
	v_mov_b32_e32 v8, 0
	v_mov_b32_e32 v9, 0
	s_lshl_b64 s[8:9], s[8:9], 4
	s_mov_b64 s[10:11], 0
.LBB153_2:                              ; =>This Inner Loop Header: Depth=1
	flat_load_ushort v14, v[2:3]
	flat_load_ushort v15, v[4:5]
	s_add_u32 s10, s10, 8
	s_addc_u32 s11, s11, 0
	v_add_co_u32 v2, vcc_lo, v2, 16
	v_cmp_lt_i64_e64 s20, s[10:11], s[28:29]
	v_add_co_ci_u32_e64 v3, null, 0, v3, vcc_lo
	v_add_co_u32 v4, vcc_lo, v4, s8
	v_add_co_ci_u32_e64 v5, null, s9, v5, vcc_lo
	s_and_b32 vcc_lo, exec_lo, s20
	s_waitcnt vmcnt(1) lgkmcnt(1)
	v_lshlrev_b32_e32 v14, 16, v14
	s_waitcnt vmcnt(0) lgkmcnt(0)
	v_lshlrev_b32_e32 v15, 16, v15
	ds_write_b32 v11, v14
	ds_write_b32 v12, v15
	s_waitcnt lgkmcnt(0)
	s_barrier
	buffer_gl0_inv
	ds_read_b128 v[14:17], v13
	ds_read2_b32 v[30:31], v10 offset1:16
	ds_read_b128 v[18:21], v13 offset:512
	ds_read2_b32 v[32:33], v10 offset0:32 offset1:48
	ds_read2_b32 v[34:35], v10 offset0:64 offset1:80
	ds_read_b128 v[22:25], v13 offset:16
	ds_read2_b32 v[36:37], v10 offset0:96 offset1:112
	ds_read2_b32 v[38:39], v10 offset0:128 offset1:144
	ds_read_b128 v[26:29], v13 offset:528
	ds_read2_b32 v[40:41], v10 offset0:160 offset1:176
	ds_read2_b32 v[42:43], v10 offset0:192 offset1:208
	ds_read2_b32 v[44:45], v10 offset0:224 offset1:240
	s_waitcnt lgkmcnt(0)
	s_barrier
	buffer_gl0_inv
	v_fmac_f32_e32 v9, v30, v14
	v_fmac_f32_e32 v8, v31, v14
	;; [unrolled: 1-line block ×32, first 2 shown]
	s_cbranch_vccnz .LBB153_2
.LBB153_3:
	s_clause 0x1
	s_load_dword s8, s[4:5], 0x50
	s_load_dword s4, s[4:5], 0x18
	v_add_co_u32 v10, s5, s30, v1
	v_add_co_ci_u32_e64 v11, null, s31, 0, s5
	v_add_co_u32 v0, s6, s6, v0
	s_lshl_b64 s[2:3], s[2:3], 1
	v_add_co_ci_u32_e64 v1, null, s7, 0, s6
	s_waitcnt lgkmcnt(0)
	s_add_u32 s2, s18, s2
	s_addc_u32 s3, s19, s3
	v_cmp_neq_f32_e64 s5, s8, 0
	s_and_b32 vcc_lo, exec_lo, s5
	s_cbranch_vccnz .LBB153_52
; %bb.4:
	v_mul_f32_e32 v2, s4, v9
	s_mov_b32 s5, exec_lo
                                        ; implicit-def: $vgpr14
	v_and_b32_e32 v3, 0x7f800000, v2
	v_cmpx_ne_u32_e32 0x7f800000, v3
	s_xor_b32 s5, exec_lo, s5
; %bb.5:
	v_bfe_u32 v3, v2, 16, 1
	v_add3_u32 v14, v2, v3, 0x7fff
                                        ; implicit-def: $vgpr2
; %bb.6:
	s_andn2_saveexec_b32 s5, s5
; %bb.7:
	v_mov_b32_e32 v3, 0
	v_or_b32_e32 v4, 0x10000, v2
	v_cmp_eq_u32_sdwa vcc_lo, v2, v3 src0_sel:WORD_0 src1_sel:DWORD
	v_cndmask_b32_e32 v14, v4, v2, vcc_lo
; %bb.8:
	s_or_b32 exec_lo, exec_lo, s5
	v_mul_lo_u32 v4, v11, s0
	v_mul_lo_u32 v5, v10, s1
	v_mad_u64_u32 v[2:3], null, v10, s0, 0
	v_mul_f32_e32 v15, s4, v8
	v_and_b32_e32 v16, 0x7f800000, v15
	v_add3_u32 v3, v3, v5, v4
	v_lshlrev_b64 v[4:5], 1, v[2:3]
	v_lshlrev_b64 v[2:3], 1, v[0:1]
	v_add_co_u32 v12, vcc_lo, s2, v4
	v_add_co_ci_u32_e64 v13, null, s3, v5, vcc_lo
	v_add_co_u32 v4, vcc_lo, v12, v2
	v_add_co_ci_u32_e64 v5, null, v13, v3, vcc_lo
	v_cmp_ne_u32_e32 vcc_lo, 0x7f800000, v16
                                        ; implicit-def: $vgpr16
	flat_store_short_d16_hi v[4:5], v14
	s_and_saveexec_b32 s5, vcc_lo
	s_xor_b32 s5, exec_lo, s5
; %bb.9:
	v_bfe_u32 v14, v15, 16, 1
	v_add3_u32 v16, v15, v14, 0x7fff
                                        ; implicit-def: $vgpr15
; %bb.10:
	s_andn2_saveexec_b32 s5, s5
; %bb.11:
	v_mov_b32_e32 v14, 0
	v_or_b32_e32 v16, 0x10000, v15
	v_cmp_eq_u32_sdwa vcc_lo, v15, v14 src0_sel:WORD_0 src1_sel:DWORD
	v_cndmask_b32_e32 v16, v16, v15, vcc_lo
; %bb.12:
	s_or_b32 exec_lo, exec_lo, s5
	v_mul_f32_e32 v14, s4, v7
	s_mov_b32 s5, exec_lo
	flat_store_short_d16_hi v[4:5], v16 offset:32
                                        ; implicit-def: $vgpr4
	v_and_b32_e32 v15, 0x7f800000, v14
	v_cmpx_ne_u32_e32 0x7f800000, v15
	s_xor_b32 s5, exec_lo, s5
; %bb.13:
	v_bfe_u32 v4, v14, 16, 1
	v_add3_u32 v4, v14, v4, 0x7fff
                                        ; implicit-def: $vgpr14
; %bb.14:
	s_andn2_saveexec_b32 s5, s5
; %bb.15:
	v_mov_b32_e32 v4, 0
	v_or_b32_e32 v5, 0x10000, v14
	v_cmp_eq_u32_sdwa vcc_lo, v14, v4 src0_sel:WORD_0 src1_sel:DWORD
	v_cndmask_b32_e32 v4, v5, v14, vcc_lo
; %bb.16:
	s_or_b32 exec_lo, exec_lo, s5
	s_lshl_b64 s[6:7], s[0:1], 5
	v_mul_f32_e32 v5, s4, v6
	v_add_co_u32 v12, vcc_lo, v12, s6
	v_add_co_ci_u32_e64 v13, null, s7, v13, vcc_lo
	v_and_b32_e32 v14, 0x7f800000, v5
	v_add_co_u32 v2, vcc_lo, v12, v2
	v_add_co_ci_u32_e64 v3, null, v13, v3, vcc_lo
	s_mov_b32 s5, exec_lo
	flat_store_short_d16_hi v[2:3], v4
                                        ; implicit-def: $vgpr4
	v_cmpx_ne_u32_e32 0x7f800000, v14
	s_xor_b32 s5, exec_lo, s5
; %bb.17:
	v_bfe_u32 v4, v5, 16, 1
	v_add3_u32 v4, v5, v4, 0x7fff
                                        ; implicit-def: $vgpr5
; %bb.18:
	s_andn2_saveexec_b32 s5, s5
; %bb.19:
	v_mov_b32_e32 v4, 0
	v_or_b32_e32 v12, 0x10000, v5
	v_cmp_eq_u32_sdwa vcc_lo, v5, v4 src0_sel:WORD_0 src1_sel:DWORD
	v_cndmask_b32_e32 v4, v12, v5, vcc_lo
; %bb.20:
	s_or_b32 exec_lo, exec_lo, s5
	flat_store_short_d16_hi v[2:3], v4 offset:32
	s_branch .LBB153_53
.LBB153_21:
	v_mul_lo_u32 v4, v11, s14
	v_mul_lo_u32 v5, v10, s15
	v_mad_u64_u32 v[2:3], null, v10, s14, 0
	s_lshl_b64 s[6:7], s[16:17], 1
	v_lshlrev_b64 v[0:1], 1, v[0:1]
	s_add_u32 s5, s12, s6
	s_addc_u32 s6, s13, s7
	v_add3_u32 v3, v3, v5, v4
	v_lshlrev_b64 v[2:3], 1, v[2:3]
	v_add_co_u32 v12, vcc_lo, s5, v2
	v_add_co_ci_u32_e64 v13, null, s6, v3, vcc_lo
	v_add_co_u32 v2, vcc_lo, v12, v0
	v_add_co_ci_u32_e64 v3, null, v13, v1, vcc_lo
	flat_load_ushort v4, v[2:3]
	s_waitcnt vmcnt(0) lgkmcnt(0)
	v_lshlrev_b32_e32 v4, 16, v4
	v_mul_f32_e32 v4, s8, v4
	v_and_b32_e32 v5, 0x7f800000, v4
	v_cmp_ne_u32_e32 vcc_lo, 0x7f800000, v5
                                        ; implicit-def: $vgpr5
	s_and_saveexec_b32 s5, vcc_lo
	s_xor_b32 s5, exec_lo, s5
; %bb.22:
	v_bfe_u32 v5, v4, 16, 1
	v_add3_u32 v5, v4, v5, 0x7fff
                                        ; implicit-def: $vgpr4
; %bb.23:
	s_andn2_saveexec_b32 s5, s5
; %bb.24:
	v_mov_b32_e32 v5, 0
	v_or_b32_e32 v14, 0x10000, v4
	v_cmp_eq_u32_sdwa vcc_lo, v4, v5 src0_sel:WORD_0 src1_sel:DWORD
	v_cndmask_b32_e32 v5, v14, v4, vcc_lo
; %bb.25:
	s_or_b32 exec_lo, exec_lo, s5
	v_and_b32_e32 v4, 0xffff0000, v5
	s_mov_b32 s5, exec_lo
                                        ; implicit-def: $vgpr14
	v_fmac_f32_e32 v4, s4, v9
	v_and_b32_e32 v5, 0x7f800000, v4
	v_cmpx_ne_u32_e32 0x7f800000, v5
	s_xor_b32 s5, exec_lo, s5
; %bb.26:
	v_bfe_u32 v5, v4, 16, 1
	v_add3_u32 v14, v4, v5, 0x7fff
                                        ; implicit-def: $vgpr4
; %bb.27:
	s_andn2_saveexec_b32 s5, s5
; %bb.28:
	v_mov_b32_e32 v5, 0
	v_or_b32_e32 v9, 0x10000, v4
	v_cmp_eq_u32_sdwa vcc_lo, v4, v5 src0_sel:WORD_0 src1_sel:DWORD
	v_cndmask_b32_e32 v14, v9, v4, vcc_lo
; %bb.29:
	s_or_b32 exec_lo, exec_lo, s5
	v_mul_lo_u32 v9, v11, s0
	v_mul_lo_u32 v11, v10, s1
	v_mad_u64_u32 v[4:5], null, v10, s0, 0
	v_add3_u32 v5, v5, v11, v9
	v_lshlrev_b64 v[4:5], 1, v[4:5]
	v_add_co_u32 v9, vcc_lo, s2, v4
	v_add_co_ci_u32_e64 v10, null, s3, v5, vcc_lo
	v_add_co_u32 v4, vcc_lo, v9, v0
	v_add_co_ci_u32_e64 v5, null, v10, v1, vcc_lo
	flat_store_short_d16_hi v[4:5], v14
	flat_load_ushort v2, v[2:3] offset:32
	s_waitcnt vmcnt(0) lgkmcnt(0)
	v_lshlrev_b32_e32 v2, 16, v2
	v_mul_f32_e32 v2, s8, v2
	v_and_b32_e32 v3, 0x7f800000, v2
	v_cmp_ne_u32_e32 vcc_lo, 0x7f800000, v3
                                        ; implicit-def: $vgpr3
	s_and_saveexec_b32 s2, vcc_lo
	s_xor_b32 s2, exec_lo, s2
; %bb.30:
	v_bfe_u32 v3, v2, 16, 1
	v_add3_u32 v3, v2, v3, 0x7fff
                                        ; implicit-def: $vgpr2
; %bb.31:
	s_andn2_saveexec_b32 s2, s2
; %bb.32:
	v_mov_b32_e32 v3, 0
	v_or_b32_e32 v11, 0x10000, v2
	v_cmp_eq_u32_sdwa vcc_lo, v2, v3 src0_sel:WORD_0 src1_sel:DWORD
	v_cndmask_b32_e32 v3, v11, v2, vcc_lo
; %bb.33:
	s_or_b32 exec_lo, exec_lo, s2
	v_and_b32_e32 v2, 0xffff0000, v3
	s_mov_b32 s2, exec_lo
	v_fmac_f32_e32 v2, s4, v8
                                        ; implicit-def: $vgpr8
	v_and_b32_e32 v3, 0x7f800000, v2
	v_cmpx_ne_u32_e32 0x7f800000, v3
	s_xor_b32 s2, exec_lo, s2
; %bb.34:
	v_bfe_u32 v3, v2, 16, 1
	v_add3_u32 v8, v2, v3, 0x7fff
                                        ; implicit-def: $vgpr2
; %bb.35:
	s_andn2_saveexec_b32 s2, s2
; %bb.36:
	v_mov_b32_e32 v3, 0
	v_or_b32_e32 v8, 0x10000, v2
	v_cmp_eq_u32_sdwa vcc_lo, v2, v3 src0_sel:WORD_0 src1_sel:DWORD
	v_cndmask_b32_e32 v8, v8, v2, vcc_lo
; %bb.37:
	s_or_b32 exec_lo, exec_lo, s2
	s_lshl_b64 s[2:3], s[14:15], 5
	flat_store_short_d16_hi v[4:5], v8 offset:32
	v_add_co_u32 v2, vcc_lo, v12, s2
	v_add_co_ci_u32_e64 v3, null, s3, v13, vcc_lo
	v_add_co_u32 v2, vcc_lo, v2, v0
	v_add_co_ci_u32_e64 v3, null, v3, v1, vcc_lo
	flat_load_ushort v4, v[2:3]
	s_waitcnt vmcnt(0) lgkmcnt(0)
	v_lshlrev_b32_e32 v4, 16, v4
	v_mul_f32_e32 v4, s8, v4
	v_and_b32_e32 v5, 0x7f800000, v4
	v_cmp_ne_u32_e32 vcc_lo, 0x7f800000, v5
                                        ; implicit-def: $vgpr5
	s_and_saveexec_b32 s2, vcc_lo
	s_xor_b32 s2, exec_lo, s2
; %bb.38:
	v_bfe_u32 v5, v4, 16, 1
	v_add3_u32 v5, v4, v5, 0x7fff
                                        ; implicit-def: $vgpr4
; %bb.39:
	s_andn2_saveexec_b32 s2, s2
; %bb.40:
	v_mov_b32_e32 v5, 0
	v_or_b32_e32 v8, 0x10000, v4
	v_cmp_eq_u32_sdwa vcc_lo, v4, v5 src0_sel:WORD_0 src1_sel:DWORD
	v_cndmask_b32_e32 v5, v8, v4, vcc_lo
; %bb.41:
	s_or_b32 exec_lo, exec_lo, s2
	v_and_b32_e32 v5, 0xffff0000, v5
	v_fmac_f32_e32 v5, s4, v7
	v_and_b32_e32 v4, 0x7f800000, v5
	v_cmp_ne_u32_e32 vcc_lo, 0x7f800000, v4
                                        ; implicit-def: $vgpr4
	s_and_saveexec_b32 s2, vcc_lo
	s_xor_b32 s2, exec_lo, s2
; %bb.42:
	v_bfe_u32 v4, v5, 16, 1
	v_add3_u32 v4, v5, v4, 0x7fff
                                        ; implicit-def: $vgpr5
; %bb.43:
	s_andn2_saveexec_b32 s2, s2
; %bb.44:
	v_mov_b32_e32 v4, 0
	v_or_b32_e32 v7, 0x10000, v5
	v_cmp_eq_u32_sdwa vcc_lo, v5, v4 src0_sel:WORD_0 src1_sel:DWORD
	v_cndmask_b32_e32 v4, v7, v5, vcc_lo
; %bb.45:
	s_or_b32 exec_lo, exec_lo, s2
	s_lshl_b64 s[0:1], s[0:1], 5
	v_add_co_u32 v5, vcc_lo, v9, s0
	v_add_co_ci_u32_e64 v7, null, s1, v10, vcc_lo
	v_add_co_u32 v0, vcc_lo, v5, v0
	v_add_co_ci_u32_e64 v1, null, v7, v1, vcc_lo
	flat_store_short_d16_hi v[0:1], v4
	flat_load_ushort v2, v[2:3] offset:32
	s_waitcnt vmcnt(0) lgkmcnt(0)
	v_lshlrev_b32_e32 v2, 16, v2
	v_mul_f32_e32 v2, s8, v2
	v_and_b32_e32 v3, 0x7f800000, v2
	v_cmp_ne_u32_e32 vcc_lo, 0x7f800000, v3
                                        ; implicit-def: $vgpr3
	s_and_saveexec_b32 s0, vcc_lo
	s_xor_b32 s0, exec_lo, s0
; %bb.46:
	v_bfe_u32 v3, v2, 16, 1
	v_add3_u32 v3, v2, v3, 0x7fff
                                        ; implicit-def: $vgpr2
; %bb.47:
	s_andn2_saveexec_b32 s0, s0
; %bb.48:
	v_mov_b32_e32 v3, 0
	v_or_b32_e32 v4, 0x10000, v2
	v_cmp_eq_u32_sdwa vcc_lo, v2, v3 src0_sel:WORD_0 src1_sel:DWORD
	v_cndmask_b32_e32 v3, v4, v2, vcc_lo
; %bb.49:
	s_or_b32 exec_lo, exec_lo, s0
	v_and_b32_e32 v2, 0xffff0000, v3
	v_fmac_f32_e32 v2, s4, v6
	v_and_b32_e32 v3, 0x7f800000, v2
	v_cmp_ne_u32_e32 vcc_lo, 0x7f800000, v3
                                        ; implicit-def: $vgpr3
	s_and_saveexec_b32 s0, vcc_lo
	s_xor_b32 s0, exec_lo, s0
	s_cbranch_execnz .LBB153_54
; %bb.50:
	s_andn2_saveexec_b32 s0, s0
	s_cbranch_execnz .LBB153_55
.LBB153_51:
	s_or_b32 exec_lo, exec_lo, s0
	flat_store_short_d16_hi v[0:1], v3 offset:32
	s_endpgm
.LBB153_52:
	s_cbranch_execnz .LBB153_21
.LBB153_53:
	s_endpgm
.LBB153_54:
	v_bfe_u32 v3, v2, 16, 1
	v_add3_u32 v3, v2, v3, 0x7fff
                                        ; implicit-def: $vgpr2
	s_andn2_saveexec_b32 s0, s0
	s_cbranch_execz .LBB153_51
.LBB153_55:
	v_mov_b32_e32 v3, 0
	v_or_b32_e32 v4, 0x10000, v2
	v_cmp_eq_u32_sdwa vcc_lo, v2, v3 src0_sel:WORD_0 src1_sel:DWORD
	v_cndmask_b32_e32 v3, v4, v2, vcc_lo
	s_or_b32 exec_lo, exec_lo, s0
	flat_store_short_d16_hi v[0:1], v3 offset:32
	s_endpgm
	.section	.rodata,"a",@progbits
	.p2align	6, 0x0
	.amdhsa_kernel _ZN12_GLOBAL__N_127rocblas_gemm_batched_kernelIfLi16ELi16ELi32ELi32ELi8ELi32ELi8ELi8ELi32ELc67ELc67EKPK16rocblas_bfloat16S4_KPS1_EEvlllT_PT11_llS9_llS7_PT12_llPT13_lli
		.amdhsa_group_segment_fixed_size 2048
		.amdhsa_private_segment_fixed_size 0
		.amdhsa_kernarg_size 140
		.amdhsa_user_sgpr_count 6
		.amdhsa_user_sgpr_private_segment_buffer 1
		.amdhsa_user_sgpr_dispatch_ptr 0
		.amdhsa_user_sgpr_queue_ptr 0
		.amdhsa_user_sgpr_kernarg_segment_ptr 1
		.amdhsa_user_sgpr_dispatch_id 0
		.amdhsa_user_sgpr_flat_scratch_init 0
		.amdhsa_user_sgpr_private_segment_size 0
		.amdhsa_wavefront_size32 1
		.amdhsa_uses_dynamic_stack 0
		.amdhsa_system_sgpr_private_segment_wavefront_offset 0
		.amdhsa_system_sgpr_workgroup_id_x 1
		.amdhsa_system_sgpr_workgroup_id_y 1
		.amdhsa_system_sgpr_workgroup_id_z 1
		.amdhsa_system_sgpr_workgroup_info 0
		.amdhsa_system_vgpr_workitem_id 1
		.amdhsa_next_free_vgpr 46
		.amdhsa_next_free_sgpr 36
		.amdhsa_reserve_vcc 1
		.amdhsa_reserve_flat_scratch 0
		.amdhsa_float_round_mode_32 0
		.amdhsa_float_round_mode_16_64 0
		.amdhsa_float_denorm_mode_32 3
		.amdhsa_float_denorm_mode_16_64 3
		.amdhsa_dx10_clamp 1
		.amdhsa_ieee_mode 1
		.amdhsa_fp16_overflow 0
		.amdhsa_workgroup_processor_mode 1
		.amdhsa_memory_ordered 1
		.amdhsa_forward_progress 1
		.amdhsa_shared_vgpr_count 0
		.amdhsa_exception_fp_ieee_invalid_op 0
		.amdhsa_exception_fp_denorm_src 0
		.amdhsa_exception_fp_ieee_div_zero 0
		.amdhsa_exception_fp_ieee_overflow 0
		.amdhsa_exception_fp_ieee_underflow 0
		.amdhsa_exception_fp_ieee_inexact 0
		.amdhsa_exception_int_div_zero 0
	.end_amdhsa_kernel
	.section	.text._ZN12_GLOBAL__N_127rocblas_gemm_batched_kernelIfLi16ELi16ELi32ELi32ELi8ELi32ELi8ELi8ELi32ELc67ELc67EKPK16rocblas_bfloat16S4_KPS1_EEvlllT_PT11_llS9_llS7_PT12_llPT13_lli,"axG",@progbits,_ZN12_GLOBAL__N_127rocblas_gemm_batched_kernelIfLi16ELi16ELi32ELi32ELi8ELi32ELi8ELi8ELi32ELc67ELc67EKPK16rocblas_bfloat16S4_KPS1_EEvlllT_PT11_llS9_llS7_PT12_llPT13_lli,comdat
.Lfunc_end153:
	.size	_ZN12_GLOBAL__N_127rocblas_gemm_batched_kernelIfLi16ELi16ELi32ELi32ELi8ELi32ELi8ELi8ELi32ELc67ELc67EKPK16rocblas_bfloat16S4_KPS1_EEvlllT_PT11_llS9_llS7_PT12_llPT13_lli, .Lfunc_end153-_ZN12_GLOBAL__N_127rocblas_gemm_batched_kernelIfLi16ELi16ELi32ELi32ELi8ELi32ELi8ELi8ELi32ELc67ELc67EKPK16rocblas_bfloat16S4_KPS1_EEvlllT_PT11_llS9_llS7_PT12_llPT13_lli
                                        ; -- End function
	.set _ZN12_GLOBAL__N_127rocblas_gemm_batched_kernelIfLi16ELi16ELi32ELi32ELi8ELi32ELi8ELi8ELi32ELc67ELc67EKPK16rocblas_bfloat16S4_KPS1_EEvlllT_PT11_llS9_llS7_PT12_llPT13_lli.num_vgpr, 46
	.set _ZN12_GLOBAL__N_127rocblas_gemm_batched_kernelIfLi16ELi16ELi32ELi32ELi8ELi32ELi8ELi8ELi32ELc67ELc67EKPK16rocblas_bfloat16S4_KPS1_EEvlllT_PT11_llS9_llS7_PT12_llPT13_lli.num_agpr, 0
	.set _ZN12_GLOBAL__N_127rocblas_gemm_batched_kernelIfLi16ELi16ELi32ELi32ELi8ELi32ELi8ELi8ELi32ELc67ELc67EKPK16rocblas_bfloat16S4_KPS1_EEvlllT_PT11_llS9_llS7_PT12_llPT13_lli.numbered_sgpr, 36
	.set _ZN12_GLOBAL__N_127rocblas_gemm_batched_kernelIfLi16ELi16ELi32ELi32ELi8ELi32ELi8ELi8ELi32ELc67ELc67EKPK16rocblas_bfloat16S4_KPS1_EEvlllT_PT11_llS9_llS7_PT12_llPT13_lli.num_named_barrier, 0
	.set _ZN12_GLOBAL__N_127rocblas_gemm_batched_kernelIfLi16ELi16ELi32ELi32ELi8ELi32ELi8ELi8ELi32ELc67ELc67EKPK16rocblas_bfloat16S4_KPS1_EEvlllT_PT11_llS9_llS7_PT12_llPT13_lli.private_seg_size, 0
	.set _ZN12_GLOBAL__N_127rocblas_gemm_batched_kernelIfLi16ELi16ELi32ELi32ELi8ELi32ELi8ELi8ELi32ELc67ELc67EKPK16rocblas_bfloat16S4_KPS1_EEvlllT_PT11_llS9_llS7_PT12_llPT13_lli.uses_vcc, 1
	.set _ZN12_GLOBAL__N_127rocblas_gemm_batched_kernelIfLi16ELi16ELi32ELi32ELi8ELi32ELi8ELi8ELi32ELc67ELc67EKPK16rocblas_bfloat16S4_KPS1_EEvlllT_PT11_llS9_llS7_PT12_llPT13_lli.uses_flat_scratch, 0
	.set _ZN12_GLOBAL__N_127rocblas_gemm_batched_kernelIfLi16ELi16ELi32ELi32ELi8ELi32ELi8ELi8ELi32ELc67ELc67EKPK16rocblas_bfloat16S4_KPS1_EEvlllT_PT11_llS9_llS7_PT12_llPT13_lli.has_dyn_sized_stack, 0
	.set _ZN12_GLOBAL__N_127rocblas_gemm_batched_kernelIfLi16ELi16ELi32ELi32ELi8ELi32ELi8ELi8ELi32ELc67ELc67EKPK16rocblas_bfloat16S4_KPS1_EEvlllT_PT11_llS9_llS7_PT12_llPT13_lli.has_recursion, 0
	.set _ZN12_GLOBAL__N_127rocblas_gemm_batched_kernelIfLi16ELi16ELi32ELi32ELi8ELi32ELi8ELi8ELi32ELc67ELc67EKPK16rocblas_bfloat16S4_KPS1_EEvlllT_PT11_llS9_llS7_PT12_llPT13_lli.has_indirect_call, 0
	.section	.AMDGPU.csdata,"",@progbits
; Kernel info:
; codeLenInByte = 2428
; TotalNumSgprs: 38
; NumVgprs: 46
; ScratchSize: 0
; MemoryBound: 0
; FloatMode: 240
; IeeeMode: 1
; LDSByteSize: 2048 bytes/workgroup (compile time only)
; SGPRBlocks: 0
; VGPRBlocks: 5
; NumSGPRsForWavesPerEU: 38
; NumVGPRsForWavesPerEU: 46
; Occupancy: 16
; WaveLimiterHint : 1
; COMPUTE_PGM_RSRC2:SCRATCH_EN: 0
; COMPUTE_PGM_RSRC2:USER_SGPR: 6
; COMPUTE_PGM_RSRC2:TRAP_HANDLER: 0
; COMPUTE_PGM_RSRC2:TGID_X_EN: 1
; COMPUTE_PGM_RSRC2:TGID_Y_EN: 1
; COMPUTE_PGM_RSRC2:TGID_Z_EN: 1
; COMPUTE_PGM_RSRC2:TIDIG_COMP_CNT: 1
	.section	.text._ZN12_GLOBAL__N_127rocblas_gemm_batched_kernelIfLi16ELi16ELi32ELi32ELi8ELi32ELi8ELi8ELi32ELc67ELc78EKPK16rocblas_bfloat16S4_KPS1_EEvlllT_PT11_llS9_llS7_PT12_llPT13_lli,"axG",@progbits,_ZN12_GLOBAL__N_127rocblas_gemm_batched_kernelIfLi16ELi16ELi32ELi32ELi8ELi32ELi8ELi8ELi32ELc67ELc78EKPK16rocblas_bfloat16S4_KPS1_EEvlllT_PT11_llS9_llS7_PT12_llPT13_lli,comdat
	.globl	_ZN12_GLOBAL__N_127rocblas_gemm_batched_kernelIfLi16ELi16ELi32ELi32ELi8ELi32ELi8ELi8ELi32ELc67ELc78EKPK16rocblas_bfloat16S4_KPS1_EEvlllT_PT11_llS9_llS7_PT12_llPT13_lli ; -- Begin function _ZN12_GLOBAL__N_127rocblas_gemm_batched_kernelIfLi16ELi16ELi32ELi32ELi8ELi32ELi8ELi8ELi32ELc67ELc78EKPK16rocblas_bfloat16S4_KPS1_EEvlllT_PT11_llS9_llS7_PT12_llPT13_lli
	.p2align	8
	.type	_ZN12_GLOBAL__N_127rocblas_gemm_batched_kernelIfLi16ELi16ELi32ELi32ELi8ELi32ELi8ELi8ELi32ELc67ELc78EKPK16rocblas_bfloat16S4_KPS1_EEvlllT_PT11_llS9_llS7_PT12_llPT13_lli,@function
_ZN12_GLOBAL__N_127rocblas_gemm_batched_kernelIfLi16ELi16ELi32ELi32ELi8ELi32ELi8ELi8ELi32ELc67ELc78EKPK16rocblas_bfloat16S4_KPS1_EEvlllT_PT11_llS9_llS7_PT12_llPT13_lli: ; @_ZN12_GLOBAL__N_127rocblas_gemm_batched_kernelIfLi16ELi16ELi32ELi32ELi8ELi32ELi8ELi8ELi32ELc67ELc78EKPK16rocblas_bfloat16S4_KPS1_EEvlllT_PT11_llS9_llS7_PT12_llPT13_lli
; %bb.0:
	s_clause 0x1
	s_load_dwordx8 s[12:19], s[4:5], 0x58
	s_load_dwordx2 s[28:29], s[4:5], 0x10
	s_mov_b32 s9, 0
	s_load_dwordx4 s[0:3], s[4:5], 0x78
	s_lshl_b64 s[34:35], s[8:9], 3
	s_mov_b32 s10, s7
	v_mov_b32_e32 v9, 0
	v_mov_b32_e32 v8, 0
	;; [unrolled: 1-line block ×4, first 2 shown]
	s_waitcnt lgkmcnt(0)
	s_add_u32 s8, s12, s34
	s_addc_u32 s9, s13, s35
	s_add_u32 s18, s18, s34
	s_addc_u32 s19, s19, s35
	s_load_dwordx2 s[12:13], s[8:9], 0x0
	s_load_dwordx2 s[18:19], s[18:19], 0x0
	v_cmp_lt_i64_e64 s8, s[28:29], 1
	s_ashr_i32 s7, s6, 31
	s_ashr_i32 s11, s10, 31
	s_lshl_b64 s[6:7], s[6:7], 5
	s_lshl_b64 s[30:31], s[10:11], 5
	s_and_b32 vcc_lo, exec_lo, s8
	s_cbranch_vccnz .LBB154_3
; %bb.1:
	s_clause 0x1
	s_load_dwordx8 s[20:27], s[4:5], 0x20
	s_load_dwordx4 s[8:11], s[4:5], 0x40
	v_lshl_add_u32 v2, v1, 4, v0
	v_and_b32_e32 v7, 7, v0
	v_and_b32_e32 v6, 31, v2
	v_lshrrev_b32_e32 v8, 3, v2
	v_lshrrev_b32_e32 v9, 5, v2
	v_lshlrev_b32_e32 v10, 2, v7
	v_lshlrev_b32_e32 v7, 1, v7
	v_add_co_u32 v2, s33, s6, v6
	v_add_co_ci_u32_e64 v3, null, s7, 0, s33
	v_add_co_u32 v4, s33, v8, s30
	v_add_co_ci_u32_e64 v5, null, 0, s31, s33
	s_waitcnt lgkmcnt(0)
	v_mul_lo_u32 v11, s23, v2
	v_mul_lo_u32 v12, s22, v3
	v_mad_u64_u32 v[2:3], null, s22, v2, 0
	v_mul_lo_u32 v13, s9, v4
	v_mul_lo_u32 v14, s8, v5
	v_mad_u64_u32 v[4:5], null, s8, v4, 0
	s_add_u32 s20, s20, s34
	s_addc_u32 s21, s21, s35
	s_add_u32 s26, s26, s34
	v_add3_u32 v3, v3, v12, v11
	s_load_dwordx2 s[20:21], s[20:21], 0x0
	s_addc_u32 s27, s27, s35
	v_add3_u32 v5, v5, v14, v13
	s_load_dwordx2 s[8:9], s[26:27], 0x0
	v_lshlrev_b64 v[2:3], 1, v[2:3]
	v_lshl_or_b32 v8, v8, 5, v10
	s_lshl_b64 s[22:23], s[24:25], 1
	v_lshlrev_b64 v[4:5], 1, v[4:5]
	s_lshl_b64 s[10:11], s[10:11], 1
	v_lshlrev_b32_e32 v15, 2, v6
	v_add_nc_u32_e32 v11, 0x400, v8
	v_add_co_u32 v2, vcc_lo, v2, s22
	v_lshlrev_b32_e32 v8, 1, v9
	v_add_co_ci_u32_e64 v3, null, s23, v3, vcc_lo
	v_add_co_u32 v4, vcc_lo, v4, s10
	v_add_co_ci_u32_e64 v5, null, s11, v5, vcc_lo
	v_add_co_u32 v2, vcc_lo, v2, v8
	;; [unrolled: 2-line block ×3, first 2 shown]
	v_add_co_ci_u32_e64 v5, null, 0, v5, vcc_lo
	s_waitcnt lgkmcnt(0)
	v_add_co_u32 v2, vcc_lo, s20, v2
	v_add_co_ci_u32_e64 v3, null, s21, v3, vcc_lo
	v_add_co_u32 v4, vcc_lo, s8, v4
	v_mov_b32_e32 v6, 0
	v_lshl_or_b32 v10, v9, 7, v15
	v_lshlrev_b32_e32 v12, 2, v0
	v_lshl_add_u32 v13, v1, 5, 0x400
	v_add_co_ci_u32_e64 v5, null, s9, v5, vcc_lo
	v_mov_b32_e32 v7, 0
	v_mov_b32_e32 v8, 0
	;; [unrolled: 1-line block ×3, first 2 shown]
	s_mov_b64 s[8:9], 0
.LBB154_2:                              ; =>This Inner Loop Header: Depth=1
	flat_load_ushort v14, v[2:3]
	flat_load_ushort v15, v[4:5]
	s_add_u32 s8, s8, 8
	s_addc_u32 s9, s9, 0
	v_add_co_u32 v2, vcc_lo, v2, 16
	v_cmp_lt_i64_e64 s10, s[8:9], s[28:29]
	v_add_co_ci_u32_e64 v3, null, 0, v3, vcc_lo
	v_add_co_u32 v4, vcc_lo, v4, 16
	v_add_co_ci_u32_e64 v5, null, 0, v5, vcc_lo
	s_and_b32 vcc_lo, exec_lo, s10
	s_waitcnt vmcnt(1) lgkmcnt(1)
	v_lshlrev_b32_e32 v14, 16, v14
	s_waitcnt vmcnt(0) lgkmcnt(0)
	v_lshlrev_b32_e32 v15, 16, v15
	ds_write_b32 v10, v14
	ds_write_b32 v11, v15
	s_waitcnt lgkmcnt(0)
	s_barrier
	buffer_gl0_inv
	ds_read_b128 v[14:17], v13
	ds_read2_b32 v[30:31], v12 offset1:16
	ds_read_b128 v[18:21], v13 offset:512
	ds_read2_b32 v[32:33], v12 offset0:32 offset1:48
	ds_read2_b32 v[34:35], v12 offset0:64 offset1:80
	ds_read_b128 v[22:25], v13 offset:16
	ds_read2_b32 v[36:37], v12 offset0:96 offset1:112
	ds_read2_b32 v[38:39], v12 offset0:128 offset1:144
	;; [unrolled: 3-line block ×3, first 2 shown]
	ds_read2_b32 v[44:45], v12 offset0:224 offset1:240
	s_waitcnt lgkmcnt(0)
	s_barrier
	buffer_gl0_inv
	v_fmac_f32_e32 v9, v30, v14
	v_fmac_f32_e32 v8, v31, v14
	;; [unrolled: 1-line block ×32, first 2 shown]
	s_cbranch_vccnz .LBB154_2
.LBB154_3:
	s_clause 0x1
	s_load_dword s8, s[4:5], 0x50
	s_load_dword s4, s[4:5], 0x18
	v_add_co_u32 v10, s5, s30, v1
	v_add_co_ci_u32_e64 v11, null, s31, 0, s5
	v_add_co_u32 v0, s6, s6, v0
	s_lshl_b64 s[2:3], s[2:3], 1
	v_add_co_ci_u32_e64 v1, null, s7, 0, s6
	s_waitcnt lgkmcnt(0)
	s_add_u32 s2, s18, s2
	s_addc_u32 s3, s19, s3
	v_cmp_neq_f32_e64 s5, s8, 0
	s_and_b32 vcc_lo, exec_lo, s5
	s_cbranch_vccnz .LBB154_52
; %bb.4:
	v_mul_f32_e32 v2, s4, v9
	s_mov_b32 s5, exec_lo
                                        ; implicit-def: $vgpr14
	v_and_b32_e32 v3, 0x7f800000, v2
	v_cmpx_ne_u32_e32 0x7f800000, v3
	s_xor_b32 s5, exec_lo, s5
; %bb.5:
	v_bfe_u32 v3, v2, 16, 1
	v_add3_u32 v14, v2, v3, 0x7fff
                                        ; implicit-def: $vgpr2
; %bb.6:
	s_andn2_saveexec_b32 s5, s5
; %bb.7:
	v_mov_b32_e32 v3, 0
	v_or_b32_e32 v4, 0x10000, v2
	v_cmp_eq_u32_sdwa vcc_lo, v2, v3 src0_sel:WORD_0 src1_sel:DWORD
	v_cndmask_b32_e32 v14, v4, v2, vcc_lo
; %bb.8:
	s_or_b32 exec_lo, exec_lo, s5
	v_mul_lo_u32 v4, v11, s0
	v_mul_lo_u32 v5, v10, s1
	v_mad_u64_u32 v[2:3], null, v10, s0, 0
	v_mul_f32_e32 v15, s4, v8
	v_and_b32_e32 v16, 0x7f800000, v15
	v_add3_u32 v3, v3, v5, v4
	v_lshlrev_b64 v[4:5], 1, v[2:3]
	v_lshlrev_b64 v[2:3], 1, v[0:1]
	v_add_co_u32 v12, vcc_lo, s2, v4
	v_add_co_ci_u32_e64 v13, null, s3, v5, vcc_lo
	v_add_co_u32 v4, vcc_lo, v12, v2
	v_add_co_ci_u32_e64 v5, null, v13, v3, vcc_lo
	v_cmp_ne_u32_e32 vcc_lo, 0x7f800000, v16
                                        ; implicit-def: $vgpr16
	flat_store_short_d16_hi v[4:5], v14
	s_and_saveexec_b32 s5, vcc_lo
	s_xor_b32 s5, exec_lo, s5
; %bb.9:
	v_bfe_u32 v14, v15, 16, 1
	v_add3_u32 v16, v15, v14, 0x7fff
                                        ; implicit-def: $vgpr15
; %bb.10:
	s_andn2_saveexec_b32 s5, s5
; %bb.11:
	v_mov_b32_e32 v14, 0
	v_or_b32_e32 v16, 0x10000, v15
	v_cmp_eq_u32_sdwa vcc_lo, v15, v14 src0_sel:WORD_0 src1_sel:DWORD
	v_cndmask_b32_e32 v16, v16, v15, vcc_lo
; %bb.12:
	s_or_b32 exec_lo, exec_lo, s5
	v_mul_f32_e32 v14, s4, v7
	s_mov_b32 s5, exec_lo
	flat_store_short_d16_hi v[4:5], v16 offset:32
                                        ; implicit-def: $vgpr4
	v_and_b32_e32 v15, 0x7f800000, v14
	v_cmpx_ne_u32_e32 0x7f800000, v15
	s_xor_b32 s5, exec_lo, s5
; %bb.13:
	v_bfe_u32 v4, v14, 16, 1
	v_add3_u32 v4, v14, v4, 0x7fff
                                        ; implicit-def: $vgpr14
; %bb.14:
	s_andn2_saveexec_b32 s5, s5
; %bb.15:
	v_mov_b32_e32 v4, 0
	v_or_b32_e32 v5, 0x10000, v14
	v_cmp_eq_u32_sdwa vcc_lo, v14, v4 src0_sel:WORD_0 src1_sel:DWORD
	v_cndmask_b32_e32 v4, v5, v14, vcc_lo
; %bb.16:
	s_or_b32 exec_lo, exec_lo, s5
	s_lshl_b64 s[6:7], s[0:1], 5
	v_mul_f32_e32 v5, s4, v6
	v_add_co_u32 v12, vcc_lo, v12, s6
	v_add_co_ci_u32_e64 v13, null, s7, v13, vcc_lo
	v_and_b32_e32 v14, 0x7f800000, v5
	v_add_co_u32 v2, vcc_lo, v12, v2
	v_add_co_ci_u32_e64 v3, null, v13, v3, vcc_lo
	s_mov_b32 s5, exec_lo
	flat_store_short_d16_hi v[2:3], v4
                                        ; implicit-def: $vgpr4
	v_cmpx_ne_u32_e32 0x7f800000, v14
	s_xor_b32 s5, exec_lo, s5
; %bb.17:
	v_bfe_u32 v4, v5, 16, 1
	v_add3_u32 v4, v5, v4, 0x7fff
                                        ; implicit-def: $vgpr5
; %bb.18:
	s_andn2_saveexec_b32 s5, s5
; %bb.19:
	v_mov_b32_e32 v4, 0
	v_or_b32_e32 v12, 0x10000, v5
	v_cmp_eq_u32_sdwa vcc_lo, v5, v4 src0_sel:WORD_0 src1_sel:DWORD
	v_cndmask_b32_e32 v4, v12, v5, vcc_lo
; %bb.20:
	s_or_b32 exec_lo, exec_lo, s5
	flat_store_short_d16_hi v[2:3], v4 offset:32
	s_branch .LBB154_53
.LBB154_21:
	v_mul_lo_u32 v4, v11, s14
	v_mul_lo_u32 v5, v10, s15
	v_mad_u64_u32 v[2:3], null, v10, s14, 0
	s_lshl_b64 s[6:7], s[16:17], 1
	v_lshlrev_b64 v[0:1], 1, v[0:1]
	s_add_u32 s5, s12, s6
	s_addc_u32 s6, s13, s7
	v_add3_u32 v3, v3, v5, v4
	v_lshlrev_b64 v[2:3], 1, v[2:3]
	v_add_co_u32 v12, vcc_lo, s5, v2
	v_add_co_ci_u32_e64 v13, null, s6, v3, vcc_lo
	v_add_co_u32 v2, vcc_lo, v12, v0
	v_add_co_ci_u32_e64 v3, null, v13, v1, vcc_lo
	flat_load_ushort v4, v[2:3]
	s_waitcnt vmcnt(0) lgkmcnt(0)
	v_lshlrev_b32_e32 v4, 16, v4
	v_mul_f32_e32 v4, s8, v4
	v_and_b32_e32 v5, 0x7f800000, v4
	v_cmp_ne_u32_e32 vcc_lo, 0x7f800000, v5
                                        ; implicit-def: $vgpr5
	s_and_saveexec_b32 s5, vcc_lo
	s_xor_b32 s5, exec_lo, s5
; %bb.22:
	v_bfe_u32 v5, v4, 16, 1
	v_add3_u32 v5, v4, v5, 0x7fff
                                        ; implicit-def: $vgpr4
; %bb.23:
	s_andn2_saveexec_b32 s5, s5
; %bb.24:
	v_mov_b32_e32 v5, 0
	v_or_b32_e32 v14, 0x10000, v4
	v_cmp_eq_u32_sdwa vcc_lo, v4, v5 src0_sel:WORD_0 src1_sel:DWORD
	v_cndmask_b32_e32 v5, v14, v4, vcc_lo
; %bb.25:
	s_or_b32 exec_lo, exec_lo, s5
	v_and_b32_e32 v4, 0xffff0000, v5
	s_mov_b32 s5, exec_lo
                                        ; implicit-def: $vgpr14
	v_fmac_f32_e32 v4, s4, v9
	v_and_b32_e32 v5, 0x7f800000, v4
	v_cmpx_ne_u32_e32 0x7f800000, v5
	s_xor_b32 s5, exec_lo, s5
; %bb.26:
	v_bfe_u32 v5, v4, 16, 1
	v_add3_u32 v14, v4, v5, 0x7fff
                                        ; implicit-def: $vgpr4
; %bb.27:
	s_andn2_saveexec_b32 s5, s5
; %bb.28:
	v_mov_b32_e32 v5, 0
	v_or_b32_e32 v9, 0x10000, v4
	v_cmp_eq_u32_sdwa vcc_lo, v4, v5 src0_sel:WORD_0 src1_sel:DWORD
	v_cndmask_b32_e32 v14, v9, v4, vcc_lo
; %bb.29:
	s_or_b32 exec_lo, exec_lo, s5
	v_mul_lo_u32 v9, v11, s0
	v_mul_lo_u32 v11, v10, s1
	v_mad_u64_u32 v[4:5], null, v10, s0, 0
	v_add3_u32 v5, v5, v11, v9
	v_lshlrev_b64 v[4:5], 1, v[4:5]
	v_add_co_u32 v9, vcc_lo, s2, v4
	v_add_co_ci_u32_e64 v10, null, s3, v5, vcc_lo
	v_add_co_u32 v4, vcc_lo, v9, v0
	v_add_co_ci_u32_e64 v5, null, v10, v1, vcc_lo
	flat_store_short_d16_hi v[4:5], v14
	flat_load_ushort v2, v[2:3] offset:32
	s_waitcnt vmcnt(0) lgkmcnt(0)
	v_lshlrev_b32_e32 v2, 16, v2
	v_mul_f32_e32 v2, s8, v2
	v_and_b32_e32 v3, 0x7f800000, v2
	v_cmp_ne_u32_e32 vcc_lo, 0x7f800000, v3
                                        ; implicit-def: $vgpr3
	s_and_saveexec_b32 s2, vcc_lo
	s_xor_b32 s2, exec_lo, s2
; %bb.30:
	v_bfe_u32 v3, v2, 16, 1
	v_add3_u32 v3, v2, v3, 0x7fff
                                        ; implicit-def: $vgpr2
; %bb.31:
	s_andn2_saveexec_b32 s2, s2
; %bb.32:
	v_mov_b32_e32 v3, 0
	v_or_b32_e32 v11, 0x10000, v2
	v_cmp_eq_u32_sdwa vcc_lo, v2, v3 src0_sel:WORD_0 src1_sel:DWORD
	v_cndmask_b32_e32 v3, v11, v2, vcc_lo
; %bb.33:
	s_or_b32 exec_lo, exec_lo, s2
	v_and_b32_e32 v2, 0xffff0000, v3
	s_mov_b32 s2, exec_lo
	v_fmac_f32_e32 v2, s4, v8
                                        ; implicit-def: $vgpr8
	v_and_b32_e32 v3, 0x7f800000, v2
	v_cmpx_ne_u32_e32 0x7f800000, v3
	s_xor_b32 s2, exec_lo, s2
; %bb.34:
	v_bfe_u32 v3, v2, 16, 1
	v_add3_u32 v8, v2, v3, 0x7fff
                                        ; implicit-def: $vgpr2
; %bb.35:
	s_andn2_saveexec_b32 s2, s2
; %bb.36:
	v_mov_b32_e32 v3, 0
	v_or_b32_e32 v8, 0x10000, v2
	v_cmp_eq_u32_sdwa vcc_lo, v2, v3 src0_sel:WORD_0 src1_sel:DWORD
	v_cndmask_b32_e32 v8, v8, v2, vcc_lo
; %bb.37:
	s_or_b32 exec_lo, exec_lo, s2
	s_lshl_b64 s[2:3], s[14:15], 5
	flat_store_short_d16_hi v[4:5], v8 offset:32
	v_add_co_u32 v2, vcc_lo, v12, s2
	v_add_co_ci_u32_e64 v3, null, s3, v13, vcc_lo
	v_add_co_u32 v2, vcc_lo, v2, v0
	v_add_co_ci_u32_e64 v3, null, v3, v1, vcc_lo
	flat_load_ushort v4, v[2:3]
	s_waitcnt vmcnt(0) lgkmcnt(0)
	v_lshlrev_b32_e32 v4, 16, v4
	v_mul_f32_e32 v4, s8, v4
	v_and_b32_e32 v5, 0x7f800000, v4
	v_cmp_ne_u32_e32 vcc_lo, 0x7f800000, v5
                                        ; implicit-def: $vgpr5
	s_and_saveexec_b32 s2, vcc_lo
	s_xor_b32 s2, exec_lo, s2
; %bb.38:
	v_bfe_u32 v5, v4, 16, 1
	v_add3_u32 v5, v4, v5, 0x7fff
                                        ; implicit-def: $vgpr4
; %bb.39:
	s_andn2_saveexec_b32 s2, s2
; %bb.40:
	v_mov_b32_e32 v5, 0
	v_or_b32_e32 v8, 0x10000, v4
	v_cmp_eq_u32_sdwa vcc_lo, v4, v5 src0_sel:WORD_0 src1_sel:DWORD
	v_cndmask_b32_e32 v5, v8, v4, vcc_lo
; %bb.41:
	s_or_b32 exec_lo, exec_lo, s2
	v_and_b32_e32 v5, 0xffff0000, v5
	v_fmac_f32_e32 v5, s4, v7
	v_and_b32_e32 v4, 0x7f800000, v5
	v_cmp_ne_u32_e32 vcc_lo, 0x7f800000, v4
                                        ; implicit-def: $vgpr4
	s_and_saveexec_b32 s2, vcc_lo
	s_xor_b32 s2, exec_lo, s2
; %bb.42:
	v_bfe_u32 v4, v5, 16, 1
	v_add3_u32 v4, v5, v4, 0x7fff
                                        ; implicit-def: $vgpr5
; %bb.43:
	s_andn2_saveexec_b32 s2, s2
; %bb.44:
	v_mov_b32_e32 v4, 0
	v_or_b32_e32 v7, 0x10000, v5
	v_cmp_eq_u32_sdwa vcc_lo, v5, v4 src0_sel:WORD_0 src1_sel:DWORD
	v_cndmask_b32_e32 v4, v7, v5, vcc_lo
; %bb.45:
	s_or_b32 exec_lo, exec_lo, s2
	s_lshl_b64 s[0:1], s[0:1], 5
	v_add_co_u32 v5, vcc_lo, v9, s0
	v_add_co_ci_u32_e64 v7, null, s1, v10, vcc_lo
	v_add_co_u32 v0, vcc_lo, v5, v0
	v_add_co_ci_u32_e64 v1, null, v7, v1, vcc_lo
	flat_store_short_d16_hi v[0:1], v4
	flat_load_ushort v2, v[2:3] offset:32
	s_waitcnt vmcnt(0) lgkmcnt(0)
	v_lshlrev_b32_e32 v2, 16, v2
	v_mul_f32_e32 v2, s8, v2
	v_and_b32_e32 v3, 0x7f800000, v2
	v_cmp_ne_u32_e32 vcc_lo, 0x7f800000, v3
                                        ; implicit-def: $vgpr3
	s_and_saveexec_b32 s0, vcc_lo
	s_xor_b32 s0, exec_lo, s0
; %bb.46:
	v_bfe_u32 v3, v2, 16, 1
	v_add3_u32 v3, v2, v3, 0x7fff
                                        ; implicit-def: $vgpr2
; %bb.47:
	s_andn2_saveexec_b32 s0, s0
; %bb.48:
	v_mov_b32_e32 v3, 0
	v_or_b32_e32 v4, 0x10000, v2
	v_cmp_eq_u32_sdwa vcc_lo, v2, v3 src0_sel:WORD_0 src1_sel:DWORD
	v_cndmask_b32_e32 v3, v4, v2, vcc_lo
; %bb.49:
	s_or_b32 exec_lo, exec_lo, s0
	v_and_b32_e32 v2, 0xffff0000, v3
	v_fmac_f32_e32 v2, s4, v6
	v_and_b32_e32 v3, 0x7f800000, v2
	v_cmp_ne_u32_e32 vcc_lo, 0x7f800000, v3
                                        ; implicit-def: $vgpr3
	s_and_saveexec_b32 s0, vcc_lo
	s_xor_b32 s0, exec_lo, s0
	s_cbranch_execnz .LBB154_54
; %bb.50:
	s_andn2_saveexec_b32 s0, s0
	s_cbranch_execnz .LBB154_55
.LBB154_51:
	s_or_b32 exec_lo, exec_lo, s0
	flat_store_short_d16_hi v[0:1], v3 offset:32
	s_endpgm
.LBB154_52:
	s_cbranch_execnz .LBB154_21
.LBB154_53:
	s_endpgm
.LBB154_54:
	v_bfe_u32 v3, v2, 16, 1
	v_add3_u32 v3, v2, v3, 0x7fff
                                        ; implicit-def: $vgpr2
	s_andn2_saveexec_b32 s0, s0
	s_cbranch_execz .LBB154_51
.LBB154_55:
	v_mov_b32_e32 v3, 0
	v_or_b32_e32 v4, 0x10000, v2
	v_cmp_eq_u32_sdwa vcc_lo, v2, v3 src0_sel:WORD_0 src1_sel:DWORD
	v_cndmask_b32_e32 v3, v4, v2, vcc_lo
	s_or_b32 exec_lo, exec_lo, s0
	flat_store_short_d16_hi v[0:1], v3 offset:32
	s_endpgm
	.section	.rodata,"a",@progbits
	.p2align	6, 0x0
	.amdhsa_kernel _ZN12_GLOBAL__N_127rocblas_gemm_batched_kernelIfLi16ELi16ELi32ELi32ELi8ELi32ELi8ELi8ELi32ELc67ELc78EKPK16rocblas_bfloat16S4_KPS1_EEvlllT_PT11_llS9_llS7_PT12_llPT13_lli
		.amdhsa_group_segment_fixed_size 2048
		.amdhsa_private_segment_fixed_size 0
		.amdhsa_kernarg_size 140
		.amdhsa_user_sgpr_count 6
		.amdhsa_user_sgpr_private_segment_buffer 1
		.amdhsa_user_sgpr_dispatch_ptr 0
		.amdhsa_user_sgpr_queue_ptr 0
		.amdhsa_user_sgpr_kernarg_segment_ptr 1
		.amdhsa_user_sgpr_dispatch_id 0
		.amdhsa_user_sgpr_flat_scratch_init 0
		.amdhsa_user_sgpr_private_segment_size 0
		.amdhsa_wavefront_size32 1
		.amdhsa_uses_dynamic_stack 0
		.amdhsa_system_sgpr_private_segment_wavefront_offset 0
		.amdhsa_system_sgpr_workgroup_id_x 1
		.amdhsa_system_sgpr_workgroup_id_y 1
		.amdhsa_system_sgpr_workgroup_id_z 1
		.amdhsa_system_sgpr_workgroup_info 0
		.amdhsa_system_vgpr_workitem_id 1
		.amdhsa_next_free_vgpr 46
		.amdhsa_next_free_sgpr 36
		.amdhsa_reserve_vcc 1
		.amdhsa_reserve_flat_scratch 0
		.amdhsa_float_round_mode_32 0
		.amdhsa_float_round_mode_16_64 0
		.amdhsa_float_denorm_mode_32 3
		.amdhsa_float_denorm_mode_16_64 3
		.amdhsa_dx10_clamp 1
		.amdhsa_ieee_mode 1
		.amdhsa_fp16_overflow 0
		.amdhsa_workgroup_processor_mode 1
		.amdhsa_memory_ordered 1
		.amdhsa_forward_progress 1
		.amdhsa_shared_vgpr_count 0
		.amdhsa_exception_fp_ieee_invalid_op 0
		.amdhsa_exception_fp_denorm_src 0
		.amdhsa_exception_fp_ieee_div_zero 0
		.amdhsa_exception_fp_ieee_overflow 0
		.amdhsa_exception_fp_ieee_underflow 0
		.amdhsa_exception_fp_ieee_inexact 0
		.amdhsa_exception_int_div_zero 0
	.end_amdhsa_kernel
	.section	.text._ZN12_GLOBAL__N_127rocblas_gemm_batched_kernelIfLi16ELi16ELi32ELi32ELi8ELi32ELi8ELi8ELi32ELc67ELc78EKPK16rocblas_bfloat16S4_KPS1_EEvlllT_PT11_llS9_llS7_PT12_llPT13_lli,"axG",@progbits,_ZN12_GLOBAL__N_127rocblas_gemm_batched_kernelIfLi16ELi16ELi32ELi32ELi8ELi32ELi8ELi8ELi32ELc67ELc78EKPK16rocblas_bfloat16S4_KPS1_EEvlllT_PT11_llS9_llS7_PT12_llPT13_lli,comdat
.Lfunc_end154:
	.size	_ZN12_GLOBAL__N_127rocblas_gemm_batched_kernelIfLi16ELi16ELi32ELi32ELi8ELi32ELi8ELi8ELi32ELc67ELc78EKPK16rocblas_bfloat16S4_KPS1_EEvlllT_PT11_llS9_llS7_PT12_llPT13_lli, .Lfunc_end154-_ZN12_GLOBAL__N_127rocblas_gemm_batched_kernelIfLi16ELi16ELi32ELi32ELi8ELi32ELi8ELi8ELi32ELc67ELc78EKPK16rocblas_bfloat16S4_KPS1_EEvlllT_PT11_llS9_llS7_PT12_llPT13_lli
                                        ; -- End function
	.set _ZN12_GLOBAL__N_127rocblas_gemm_batched_kernelIfLi16ELi16ELi32ELi32ELi8ELi32ELi8ELi8ELi32ELc67ELc78EKPK16rocblas_bfloat16S4_KPS1_EEvlllT_PT11_llS9_llS7_PT12_llPT13_lli.num_vgpr, 46
	.set _ZN12_GLOBAL__N_127rocblas_gemm_batched_kernelIfLi16ELi16ELi32ELi32ELi8ELi32ELi8ELi8ELi32ELc67ELc78EKPK16rocblas_bfloat16S4_KPS1_EEvlllT_PT11_llS9_llS7_PT12_llPT13_lli.num_agpr, 0
	.set _ZN12_GLOBAL__N_127rocblas_gemm_batched_kernelIfLi16ELi16ELi32ELi32ELi8ELi32ELi8ELi8ELi32ELc67ELc78EKPK16rocblas_bfloat16S4_KPS1_EEvlllT_PT11_llS9_llS7_PT12_llPT13_lli.numbered_sgpr, 36
	.set _ZN12_GLOBAL__N_127rocblas_gemm_batched_kernelIfLi16ELi16ELi32ELi32ELi8ELi32ELi8ELi8ELi32ELc67ELc78EKPK16rocblas_bfloat16S4_KPS1_EEvlllT_PT11_llS9_llS7_PT12_llPT13_lli.num_named_barrier, 0
	.set _ZN12_GLOBAL__N_127rocblas_gemm_batched_kernelIfLi16ELi16ELi32ELi32ELi8ELi32ELi8ELi8ELi32ELc67ELc78EKPK16rocblas_bfloat16S4_KPS1_EEvlllT_PT11_llS9_llS7_PT12_llPT13_lli.private_seg_size, 0
	.set _ZN12_GLOBAL__N_127rocblas_gemm_batched_kernelIfLi16ELi16ELi32ELi32ELi8ELi32ELi8ELi8ELi32ELc67ELc78EKPK16rocblas_bfloat16S4_KPS1_EEvlllT_PT11_llS9_llS7_PT12_llPT13_lli.uses_vcc, 1
	.set _ZN12_GLOBAL__N_127rocblas_gemm_batched_kernelIfLi16ELi16ELi32ELi32ELi8ELi32ELi8ELi8ELi32ELc67ELc78EKPK16rocblas_bfloat16S4_KPS1_EEvlllT_PT11_llS9_llS7_PT12_llPT13_lli.uses_flat_scratch, 0
	.set _ZN12_GLOBAL__N_127rocblas_gemm_batched_kernelIfLi16ELi16ELi32ELi32ELi8ELi32ELi8ELi8ELi32ELc67ELc78EKPK16rocblas_bfloat16S4_KPS1_EEvlllT_PT11_llS9_llS7_PT12_llPT13_lli.has_dyn_sized_stack, 0
	.set _ZN12_GLOBAL__N_127rocblas_gemm_batched_kernelIfLi16ELi16ELi32ELi32ELi8ELi32ELi8ELi8ELi32ELc67ELc78EKPK16rocblas_bfloat16S4_KPS1_EEvlllT_PT11_llS9_llS7_PT12_llPT13_lli.has_recursion, 0
	.set _ZN12_GLOBAL__N_127rocblas_gemm_batched_kernelIfLi16ELi16ELi32ELi32ELi8ELi32ELi8ELi8ELi32ELc67ELc78EKPK16rocblas_bfloat16S4_KPS1_EEvlllT_PT11_llS9_llS7_PT12_llPT13_lli.has_indirect_call, 0
	.section	.AMDGPU.csdata,"",@progbits
; Kernel info:
; codeLenInByte = 2464
; TotalNumSgprs: 38
; NumVgprs: 46
; ScratchSize: 0
; MemoryBound: 0
; FloatMode: 240
; IeeeMode: 1
; LDSByteSize: 2048 bytes/workgroup (compile time only)
; SGPRBlocks: 0
; VGPRBlocks: 5
; NumSGPRsForWavesPerEU: 38
; NumVGPRsForWavesPerEU: 46
; Occupancy: 16
; WaveLimiterHint : 1
; COMPUTE_PGM_RSRC2:SCRATCH_EN: 0
; COMPUTE_PGM_RSRC2:USER_SGPR: 6
; COMPUTE_PGM_RSRC2:TRAP_HANDLER: 0
; COMPUTE_PGM_RSRC2:TGID_X_EN: 1
; COMPUTE_PGM_RSRC2:TGID_Y_EN: 1
; COMPUTE_PGM_RSRC2:TGID_Z_EN: 1
; COMPUTE_PGM_RSRC2:TIDIG_COMP_CNT: 1
	.section	.text._ZN12_GLOBAL__N_127rocblas_gemm_batched_kernelIfLi16ELi16ELi32ELi32ELi8ELi32ELi8ELi8ELi32ELc67ELc84EKPK16rocblas_bfloat16S4_KPS1_EEvlllT_PT11_llS9_llS7_PT12_llPT13_lli,"axG",@progbits,_ZN12_GLOBAL__N_127rocblas_gemm_batched_kernelIfLi16ELi16ELi32ELi32ELi8ELi32ELi8ELi8ELi32ELc67ELc84EKPK16rocblas_bfloat16S4_KPS1_EEvlllT_PT11_llS9_llS7_PT12_llPT13_lli,comdat
	.globl	_ZN12_GLOBAL__N_127rocblas_gemm_batched_kernelIfLi16ELi16ELi32ELi32ELi8ELi32ELi8ELi8ELi32ELc67ELc84EKPK16rocblas_bfloat16S4_KPS1_EEvlllT_PT11_llS9_llS7_PT12_llPT13_lli ; -- Begin function _ZN12_GLOBAL__N_127rocblas_gemm_batched_kernelIfLi16ELi16ELi32ELi32ELi8ELi32ELi8ELi8ELi32ELc67ELc84EKPK16rocblas_bfloat16S4_KPS1_EEvlllT_PT11_llS9_llS7_PT12_llPT13_lli
	.p2align	8
	.type	_ZN12_GLOBAL__N_127rocblas_gemm_batched_kernelIfLi16ELi16ELi32ELi32ELi8ELi32ELi8ELi8ELi32ELc67ELc84EKPK16rocblas_bfloat16S4_KPS1_EEvlllT_PT11_llS9_llS7_PT12_llPT13_lli,@function
_ZN12_GLOBAL__N_127rocblas_gemm_batched_kernelIfLi16ELi16ELi32ELi32ELi8ELi32ELi8ELi8ELi32ELc67ELc84EKPK16rocblas_bfloat16S4_KPS1_EEvlllT_PT11_llS9_llS7_PT12_llPT13_lli: ; @_ZN12_GLOBAL__N_127rocblas_gemm_batched_kernelIfLi16ELi16ELi32ELi32ELi8ELi32ELi8ELi8ELi32ELc67ELc84EKPK16rocblas_bfloat16S4_KPS1_EEvlllT_PT11_llS9_llS7_PT12_llPT13_lli
; %bb.0:
	s_clause 0x1
	s_load_dwordx8 s[12:19], s[4:5], 0x58
	s_load_dwordx2 s[28:29], s[4:5], 0x10
	s_mov_b32 s9, 0
	s_load_dwordx4 s[0:3], s[4:5], 0x78
	s_lshl_b64 s[34:35], s[8:9], 3
	s_mov_b32 s10, s7
	v_mov_b32_e32 v9, 0
	v_mov_b32_e32 v8, 0
	;; [unrolled: 1-line block ×4, first 2 shown]
	s_waitcnt lgkmcnt(0)
	s_add_u32 s8, s12, s34
	s_addc_u32 s9, s13, s35
	s_add_u32 s18, s18, s34
	s_addc_u32 s19, s19, s35
	s_load_dwordx2 s[12:13], s[8:9], 0x0
	s_load_dwordx2 s[18:19], s[18:19], 0x0
	v_cmp_lt_i64_e64 s8, s[28:29], 1
	s_ashr_i32 s7, s6, 31
	s_ashr_i32 s11, s10, 31
	s_lshl_b64 s[6:7], s[6:7], 5
	s_lshl_b64 s[30:31], s[10:11], 5
	s_and_b32 vcc_lo, exec_lo, s8
	s_cbranch_vccnz .LBB155_3
; %bb.1:
	s_clause 0x1
	s_load_dwordx8 s[20:27], s[4:5], 0x20
	s_load_dwordx4 s[8:11], s[4:5], 0x40
	v_lshl_add_u32 v2, v1, 4, v0
	v_and_b32_e32 v7, 7, v0
	v_mov_b32_e32 v6, 0
	v_lshlrev_b32_e32 v10, 2, v0
	v_lshrrev_b32_e32 v8, 3, v2
	v_and_b32_e32 v9, 31, v2
	v_lshrrev_b32_e32 v11, 5, v2
	v_lshlrev_b32_e32 v12, 2, v7
	v_add_co_u32 v2, s33, v8, s30
	v_add_co_ci_u32_e64 v3, null, 0, s31, s33
	v_add_co_u32 v4, s33, s6, v9
	v_add_co_ci_u32_e64 v5, null, s7, 0, s33
	s_waitcnt lgkmcnt(0)
	s_add_u32 s20, s20, s34
	v_mul_lo_u32 v13, s23, v4
	v_mad_u64_u32 v[2:3], null, s8, v7, v[2:3]
	v_mul_lo_u32 v14, s22, v5
	v_mad_u64_u32 v[4:5], null, s22, v4, 0
	s_addc_u32 s21, s21, s35
	s_add_u32 s22, s26, s34
	s_addc_u32 s23, s27, s35
	s_load_dwordx2 s[20:21], s[20:21], 0x0
	s_load_dwordx2 s[22:23], s[22:23], 0x0
	v_lshl_or_b32 v12, v8, 5, v12
	v_add3_u32 v5, v5, v14, v13
	v_mad_u64_u32 v[7:8], null, s9, v7, v[3:4]
	s_lshl_b64 s[24:25], s[24:25], 1
	v_lshlrev_b32_e32 v8, 1, v11
	v_lshlrev_b64 v[4:5], 1, v[4:5]
	s_lshl_b64 s[10:11], s[10:11], 1
	v_lshlrev_b32_e32 v9, 2, v9
	v_add_nc_u32_e32 v12, 0x400, v12
	v_mov_b32_e32 v3, v7
	v_lshl_add_u32 v13, v1, 5, 0x400
	v_add_co_u32 v4, vcc_lo, v4, s24
	v_add_co_ci_u32_e64 v5, null, s25, v5, vcc_lo
	v_lshl_or_b32 v11, v11, 7, v9
	v_add_co_u32 v7, vcc_lo, v4, v8
	v_add_co_ci_u32_e64 v8, null, 0, v5, vcc_lo
	v_lshlrev_b64 v[4:5], 1, v[2:3]
	s_waitcnt lgkmcnt(0)
	v_add_co_u32 v2, vcc_lo, s20, v7
	s_add_u32 s10, s22, s10
	v_add_co_ci_u32_e64 v3, null, s21, v8, vcc_lo
	s_addc_u32 s11, s23, s11
	v_add_co_u32 v4, vcc_lo, s10, v4
	v_add_co_ci_u32_e64 v5, null, s11, v5, vcc_lo
	v_mov_b32_e32 v7, 0
	v_mov_b32_e32 v8, 0
	;; [unrolled: 1-line block ×3, first 2 shown]
	s_lshl_b64 s[8:9], s[8:9], 4
	s_mov_b64 s[10:11], 0
.LBB155_2:                              ; =>This Inner Loop Header: Depth=1
	flat_load_ushort v14, v[2:3]
	flat_load_ushort v15, v[4:5]
	s_add_u32 s10, s10, 8
	s_addc_u32 s11, s11, 0
	v_add_co_u32 v2, vcc_lo, v2, 16
	v_cmp_lt_i64_e64 s20, s[10:11], s[28:29]
	v_add_co_ci_u32_e64 v3, null, 0, v3, vcc_lo
	v_add_co_u32 v4, vcc_lo, v4, s8
	v_add_co_ci_u32_e64 v5, null, s9, v5, vcc_lo
	s_and_b32 vcc_lo, exec_lo, s20
	s_waitcnt vmcnt(1) lgkmcnt(1)
	v_lshlrev_b32_e32 v14, 16, v14
	s_waitcnt vmcnt(0) lgkmcnt(0)
	v_lshlrev_b32_e32 v15, 16, v15
	ds_write_b32 v11, v14
	ds_write_b32 v12, v15
	s_waitcnt lgkmcnt(0)
	s_barrier
	buffer_gl0_inv
	ds_read_b128 v[14:17], v13
	ds_read2_b32 v[30:31], v10 offset1:16
	ds_read_b128 v[18:21], v13 offset:512
	ds_read2_b32 v[32:33], v10 offset0:32 offset1:48
	ds_read2_b32 v[34:35], v10 offset0:64 offset1:80
	ds_read_b128 v[22:25], v13 offset:16
	ds_read2_b32 v[36:37], v10 offset0:96 offset1:112
	ds_read2_b32 v[38:39], v10 offset0:128 offset1:144
	;; [unrolled: 3-line block ×3, first 2 shown]
	ds_read2_b32 v[44:45], v10 offset0:224 offset1:240
	s_waitcnt lgkmcnt(0)
	s_barrier
	buffer_gl0_inv
	v_fmac_f32_e32 v9, v30, v14
	v_fmac_f32_e32 v8, v31, v14
	;; [unrolled: 1-line block ×32, first 2 shown]
	s_cbranch_vccnz .LBB155_2
.LBB155_3:
	s_clause 0x1
	s_load_dword s8, s[4:5], 0x50
	s_load_dword s4, s[4:5], 0x18
	v_add_co_u32 v10, s5, s30, v1
	v_add_co_ci_u32_e64 v11, null, s31, 0, s5
	v_add_co_u32 v0, s6, s6, v0
	s_lshl_b64 s[2:3], s[2:3], 1
	v_add_co_ci_u32_e64 v1, null, s7, 0, s6
	s_waitcnt lgkmcnt(0)
	s_add_u32 s2, s18, s2
	s_addc_u32 s3, s19, s3
	v_cmp_neq_f32_e64 s5, s8, 0
	s_and_b32 vcc_lo, exec_lo, s5
	s_cbranch_vccnz .LBB155_52
; %bb.4:
	v_mul_f32_e32 v2, s4, v9
	s_mov_b32 s5, exec_lo
                                        ; implicit-def: $vgpr14
	v_and_b32_e32 v3, 0x7f800000, v2
	v_cmpx_ne_u32_e32 0x7f800000, v3
	s_xor_b32 s5, exec_lo, s5
; %bb.5:
	v_bfe_u32 v3, v2, 16, 1
	v_add3_u32 v14, v2, v3, 0x7fff
                                        ; implicit-def: $vgpr2
; %bb.6:
	s_andn2_saveexec_b32 s5, s5
; %bb.7:
	v_mov_b32_e32 v3, 0
	v_or_b32_e32 v4, 0x10000, v2
	v_cmp_eq_u32_sdwa vcc_lo, v2, v3 src0_sel:WORD_0 src1_sel:DWORD
	v_cndmask_b32_e32 v14, v4, v2, vcc_lo
; %bb.8:
	s_or_b32 exec_lo, exec_lo, s5
	v_mul_lo_u32 v4, v11, s0
	v_mul_lo_u32 v5, v10, s1
	v_mad_u64_u32 v[2:3], null, v10, s0, 0
	v_mul_f32_e32 v15, s4, v8
	v_and_b32_e32 v16, 0x7f800000, v15
	v_add3_u32 v3, v3, v5, v4
	v_lshlrev_b64 v[4:5], 1, v[2:3]
	v_lshlrev_b64 v[2:3], 1, v[0:1]
	v_add_co_u32 v12, vcc_lo, s2, v4
	v_add_co_ci_u32_e64 v13, null, s3, v5, vcc_lo
	v_add_co_u32 v4, vcc_lo, v12, v2
	v_add_co_ci_u32_e64 v5, null, v13, v3, vcc_lo
	v_cmp_ne_u32_e32 vcc_lo, 0x7f800000, v16
                                        ; implicit-def: $vgpr16
	flat_store_short_d16_hi v[4:5], v14
	s_and_saveexec_b32 s5, vcc_lo
	s_xor_b32 s5, exec_lo, s5
; %bb.9:
	v_bfe_u32 v14, v15, 16, 1
	v_add3_u32 v16, v15, v14, 0x7fff
                                        ; implicit-def: $vgpr15
; %bb.10:
	s_andn2_saveexec_b32 s5, s5
; %bb.11:
	v_mov_b32_e32 v14, 0
	v_or_b32_e32 v16, 0x10000, v15
	v_cmp_eq_u32_sdwa vcc_lo, v15, v14 src0_sel:WORD_0 src1_sel:DWORD
	v_cndmask_b32_e32 v16, v16, v15, vcc_lo
; %bb.12:
	s_or_b32 exec_lo, exec_lo, s5
	v_mul_f32_e32 v14, s4, v7
	s_mov_b32 s5, exec_lo
	flat_store_short_d16_hi v[4:5], v16 offset:32
                                        ; implicit-def: $vgpr4
	v_and_b32_e32 v15, 0x7f800000, v14
	v_cmpx_ne_u32_e32 0x7f800000, v15
	s_xor_b32 s5, exec_lo, s5
; %bb.13:
	v_bfe_u32 v4, v14, 16, 1
	v_add3_u32 v4, v14, v4, 0x7fff
                                        ; implicit-def: $vgpr14
; %bb.14:
	s_andn2_saveexec_b32 s5, s5
; %bb.15:
	v_mov_b32_e32 v4, 0
	v_or_b32_e32 v5, 0x10000, v14
	v_cmp_eq_u32_sdwa vcc_lo, v14, v4 src0_sel:WORD_0 src1_sel:DWORD
	v_cndmask_b32_e32 v4, v5, v14, vcc_lo
; %bb.16:
	s_or_b32 exec_lo, exec_lo, s5
	s_lshl_b64 s[6:7], s[0:1], 5
	v_mul_f32_e32 v5, s4, v6
	v_add_co_u32 v12, vcc_lo, v12, s6
	v_add_co_ci_u32_e64 v13, null, s7, v13, vcc_lo
	v_and_b32_e32 v14, 0x7f800000, v5
	v_add_co_u32 v2, vcc_lo, v12, v2
	v_add_co_ci_u32_e64 v3, null, v13, v3, vcc_lo
	s_mov_b32 s5, exec_lo
	flat_store_short_d16_hi v[2:3], v4
                                        ; implicit-def: $vgpr4
	v_cmpx_ne_u32_e32 0x7f800000, v14
	s_xor_b32 s5, exec_lo, s5
; %bb.17:
	v_bfe_u32 v4, v5, 16, 1
	v_add3_u32 v4, v5, v4, 0x7fff
                                        ; implicit-def: $vgpr5
; %bb.18:
	s_andn2_saveexec_b32 s5, s5
; %bb.19:
	v_mov_b32_e32 v4, 0
	v_or_b32_e32 v12, 0x10000, v5
	v_cmp_eq_u32_sdwa vcc_lo, v5, v4 src0_sel:WORD_0 src1_sel:DWORD
	v_cndmask_b32_e32 v4, v12, v5, vcc_lo
; %bb.20:
	s_or_b32 exec_lo, exec_lo, s5
	flat_store_short_d16_hi v[2:3], v4 offset:32
	s_branch .LBB155_53
.LBB155_21:
	v_mul_lo_u32 v4, v11, s14
	v_mul_lo_u32 v5, v10, s15
	v_mad_u64_u32 v[2:3], null, v10, s14, 0
	s_lshl_b64 s[6:7], s[16:17], 1
	v_lshlrev_b64 v[0:1], 1, v[0:1]
	s_add_u32 s5, s12, s6
	s_addc_u32 s6, s13, s7
	v_add3_u32 v3, v3, v5, v4
	v_lshlrev_b64 v[2:3], 1, v[2:3]
	v_add_co_u32 v12, vcc_lo, s5, v2
	v_add_co_ci_u32_e64 v13, null, s6, v3, vcc_lo
	v_add_co_u32 v2, vcc_lo, v12, v0
	v_add_co_ci_u32_e64 v3, null, v13, v1, vcc_lo
	flat_load_ushort v4, v[2:3]
	s_waitcnt vmcnt(0) lgkmcnt(0)
	v_lshlrev_b32_e32 v4, 16, v4
	v_mul_f32_e32 v4, s8, v4
	v_and_b32_e32 v5, 0x7f800000, v4
	v_cmp_ne_u32_e32 vcc_lo, 0x7f800000, v5
                                        ; implicit-def: $vgpr5
	s_and_saveexec_b32 s5, vcc_lo
	s_xor_b32 s5, exec_lo, s5
; %bb.22:
	v_bfe_u32 v5, v4, 16, 1
	v_add3_u32 v5, v4, v5, 0x7fff
                                        ; implicit-def: $vgpr4
; %bb.23:
	s_andn2_saveexec_b32 s5, s5
; %bb.24:
	v_mov_b32_e32 v5, 0
	v_or_b32_e32 v14, 0x10000, v4
	v_cmp_eq_u32_sdwa vcc_lo, v4, v5 src0_sel:WORD_0 src1_sel:DWORD
	v_cndmask_b32_e32 v5, v14, v4, vcc_lo
; %bb.25:
	s_or_b32 exec_lo, exec_lo, s5
	v_and_b32_e32 v4, 0xffff0000, v5
	s_mov_b32 s5, exec_lo
                                        ; implicit-def: $vgpr14
	v_fmac_f32_e32 v4, s4, v9
	v_and_b32_e32 v5, 0x7f800000, v4
	v_cmpx_ne_u32_e32 0x7f800000, v5
	s_xor_b32 s5, exec_lo, s5
; %bb.26:
	v_bfe_u32 v5, v4, 16, 1
	v_add3_u32 v14, v4, v5, 0x7fff
                                        ; implicit-def: $vgpr4
; %bb.27:
	s_andn2_saveexec_b32 s5, s5
; %bb.28:
	v_mov_b32_e32 v5, 0
	v_or_b32_e32 v9, 0x10000, v4
	v_cmp_eq_u32_sdwa vcc_lo, v4, v5 src0_sel:WORD_0 src1_sel:DWORD
	v_cndmask_b32_e32 v14, v9, v4, vcc_lo
; %bb.29:
	s_or_b32 exec_lo, exec_lo, s5
	v_mul_lo_u32 v9, v11, s0
	v_mul_lo_u32 v11, v10, s1
	v_mad_u64_u32 v[4:5], null, v10, s0, 0
	v_add3_u32 v5, v5, v11, v9
	v_lshlrev_b64 v[4:5], 1, v[4:5]
	v_add_co_u32 v9, vcc_lo, s2, v4
	v_add_co_ci_u32_e64 v10, null, s3, v5, vcc_lo
	v_add_co_u32 v4, vcc_lo, v9, v0
	v_add_co_ci_u32_e64 v5, null, v10, v1, vcc_lo
	flat_store_short_d16_hi v[4:5], v14
	flat_load_ushort v2, v[2:3] offset:32
	s_waitcnt vmcnt(0) lgkmcnt(0)
	v_lshlrev_b32_e32 v2, 16, v2
	v_mul_f32_e32 v2, s8, v2
	v_and_b32_e32 v3, 0x7f800000, v2
	v_cmp_ne_u32_e32 vcc_lo, 0x7f800000, v3
                                        ; implicit-def: $vgpr3
	s_and_saveexec_b32 s2, vcc_lo
	s_xor_b32 s2, exec_lo, s2
; %bb.30:
	v_bfe_u32 v3, v2, 16, 1
	v_add3_u32 v3, v2, v3, 0x7fff
                                        ; implicit-def: $vgpr2
; %bb.31:
	s_andn2_saveexec_b32 s2, s2
; %bb.32:
	v_mov_b32_e32 v3, 0
	v_or_b32_e32 v11, 0x10000, v2
	v_cmp_eq_u32_sdwa vcc_lo, v2, v3 src0_sel:WORD_0 src1_sel:DWORD
	v_cndmask_b32_e32 v3, v11, v2, vcc_lo
; %bb.33:
	s_or_b32 exec_lo, exec_lo, s2
	v_and_b32_e32 v2, 0xffff0000, v3
	s_mov_b32 s2, exec_lo
	v_fmac_f32_e32 v2, s4, v8
                                        ; implicit-def: $vgpr8
	v_and_b32_e32 v3, 0x7f800000, v2
	v_cmpx_ne_u32_e32 0x7f800000, v3
	s_xor_b32 s2, exec_lo, s2
; %bb.34:
	v_bfe_u32 v3, v2, 16, 1
	v_add3_u32 v8, v2, v3, 0x7fff
                                        ; implicit-def: $vgpr2
; %bb.35:
	s_andn2_saveexec_b32 s2, s2
; %bb.36:
	v_mov_b32_e32 v3, 0
	v_or_b32_e32 v8, 0x10000, v2
	v_cmp_eq_u32_sdwa vcc_lo, v2, v3 src0_sel:WORD_0 src1_sel:DWORD
	v_cndmask_b32_e32 v8, v8, v2, vcc_lo
; %bb.37:
	s_or_b32 exec_lo, exec_lo, s2
	s_lshl_b64 s[2:3], s[14:15], 5
	flat_store_short_d16_hi v[4:5], v8 offset:32
	v_add_co_u32 v2, vcc_lo, v12, s2
	v_add_co_ci_u32_e64 v3, null, s3, v13, vcc_lo
	v_add_co_u32 v2, vcc_lo, v2, v0
	v_add_co_ci_u32_e64 v3, null, v3, v1, vcc_lo
	flat_load_ushort v4, v[2:3]
	s_waitcnt vmcnt(0) lgkmcnt(0)
	v_lshlrev_b32_e32 v4, 16, v4
	v_mul_f32_e32 v4, s8, v4
	v_and_b32_e32 v5, 0x7f800000, v4
	v_cmp_ne_u32_e32 vcc_lo, 0x7f800000, v5
                                        ; implicit-def: $vgpr5
	s_and_saveexec_b32 s2, vcc_lo
	s_xor_b32 s2, exec_lo, s2
; %bb.38:
	v_bfe_u32 v5, v4, 16, 1
	v_add3_u32 v5, v4, v5, 0x7fff
                                        ; implicit-def: $vgpr4
; %bb.39:
	s_andn2_saveexec_b32 s2, s2
; %bb.40:
	v_mov_b32_e32 v5, 0
	v_or_b32_e32 v8, 0x10000, v4
	v_cmp_eq_u32_sdwa vcc_lo, v4, v5 src0_sel:WORD_0 src1_sel:DWORD
	v_cndmask_b32_e32 v5, v8, v4, vcc_lo
; %bb.41:
	s_or_b32 exec_lo, exec_lo, s2
	v_and_b32_e32 v5, 0xffff0000, v5
	v_fmac_f32_e32 v5, s4, v7
	v_and_b32_e32 v4, 0x7f800000, v5
	v_cmp_ne_u32_e32 vcc_lo, 0x7f800000, v4
                                        ; implicit-def: $vgpr4
	s_and_saveexec_b32 s2, vcc_lo
	s_xor_b32 s2, exec_lo, s2
; %bb.42:
	v_bfe_u32 v4, v5, 16, 1
	v_add3_u32 v4, v5, v4, 0x7fff
                                        ; implicit-def: $vgpr5
; %bb.43:
	s_andn2_saveexec_b32 s2, s2
; %bb.44:
	v_mov_b32_e32 v4, 0
	v_or_b32_e32 v7, 0x10000, v5
	v_cmp_eq_u32_sdwa vcc_lo, v5, v4 src0_sel:WORD_0 src1_sel:DWORD
	v_cndmask_b32_e32 v4, v7, v5, vcc_lo
; %bb.45:
	s_or_b32 exec_lo, exec_lo, s2
	s_lshl_b64 s[0:1], s[0:1], 5
	v_add_co_u32 v5, vcc_lo, v9, s0
	v_add_co_ci_u32_e64 v7, null, s1, v10, vcc_lo
	v_add_co_u32 v0, vcc_lo, v5, v0
	v_add_co_ci_u32_e64 v1, null, v7, v1, vcc_lo
	flat_store_short_d16_hi v[0:1], v4
	flat_load_ushort v2, v[2:3] offset:32
	s_waitcnt vmcnt(0) lgkmcnt(0)
	v_lshlrev_b32_e32 v2, 16, v2
	v_mul_f32_e32 v2, s8, v2
	v_and_b32_e32 v3, 0x7f800000, v2
	v_cmp_ne_u32_e32 vcc_lo, 0x7f800000, v3
                                        ; implicit-def: $vgpr3
	s_and_saveexec_b32 s0, vcc_lo
	s_xor_b32 s0, exec_lo, s0
; %bb.46:
	v_bfe_u32 v3, v2, 16, 1
	v_add3_u32 v3, v2, v3, 0x7fff
                                        ; implicit-def: $vgpr2
; %bb.47:
	s_andn2_saveexec_b32 s0, s0
; %bb.48:
	v_mov_b32_e32 v3, 0
	v_or_b32_e32 v4, 0x10000, v2
	v_cmp_eq_u32_sdwa vcc_lo, v2, v3 src0_sel:WORD_0 src1_sel:DWORD
	v_cndmask_b32_e32 v3, v4, v2, vcc_lo
; %bb.49:
	s_or_b32 exec_lo, exec_lo, s0
	v_and_b32_e32 v2, 0xffff0000, v3
	v_fmac_f32_e32 v2, s4, v6
	v_and_b32_e32 v3, 0x7f800000, v2
	v_cmp_ne_u32_e32 vcc_lo, 0x7f800000, v3
                                        ; implicit-def: $vgpr3
	s_and_saveexec_b32 s0, vcc_lo
	s_xor_b32 s0, exec_lo, s0
	s_cbranch_execnz .LBB155_54
; %bb.50:
	s_andn2_saveexec_b32 s0, s0
	s_cbranch_execnz .LBB155_55
.LBB155_51:
	s_or_b32 exec_lo, exec_lo, s0
	flat_store_short_d16_hi v[0:1], v3 offset:32
	s_endpgm
.LBB155_52:
	s_cbranch_execnz .LBB155_21
.LBB155_53:
	s_endpgm
.LBB155_54:
	v_bfe_u32 v3, v2, 16, 1
	v_add3_u32 v3, v2, v3, 0x7fff
                                        ; implicit-def: $vgpr2
	s_andn2_saveexec_b32 s0, s0
	s_cbranch_execz .LBB155_51
.LBB155_55:
	v_mov_b32_e32 v3, 0
	v_or_b32_e32 v4, 0x10000, v2
	v_cmp_eq_u32_sdwa vcc_lo, v2, v3 src0_sel:WORD_0 src1_sel:DWORD
	v_cndmask_b32_e32 v3, v4, v2, vcc_lo
	s_or_b32 exec_lo, exec_lo, s0
	flat_store_short_d16_hi v[0:1], v3 offset:32
	s_endpgm
	.section	.rodata,"a",@progbits
	.p2align	6, 0x0
	.amdhsa_kernel _ZN12_GLOBAL__N_127rocblas_gemm_batched_kernelIfLi16ELi16ELi32ELi32ELi8ELi32ELi8ELi8ELi32ELc67ELc84EKPK16rocblas_bfloat16S4_KPS1_EEvlllT_PT11_llS9_llS7_PT12_llPT13_lli
		.amdhsa_group_segment_fixed_size 2048
		.amdhsa_private_segment_fixed_size 0
		.amdhsa_kernarg_size 140
		.amdhsa_user_sgpr_count 6
		.amdhsa_user_sgpr_private_segment_buffer 1
		.amdhsa_user_sgpr_dispatch_ptr 0
		.amdhsa_user_sgpr_queue_ptr 0
		.amdhsa_user_sgpr_kernarg_segment_ptr 1
		.amdhsa_user_sgpr_dispatch_id 0
		.amdhsa_user_sgpr_flat_scratch_init 0
		.amdhsa_user_sgpr_private_segment_size 0
		.amdhsa_wavefront_size32 1
		.amdhsa_uses_dynamic_stack 0
		.amdhsa_system_sgpr_private_segment_wavefront_offset 0
		.amdhsa_system_sgpr_workgroup_id_x 1
		.amdhsa_system_sgpr_workgroup_id_y 1
		.amdhsa_system_sgpr_workgroup_id_z 1
		.amdhsa_system_sgpr_workgroup_info 0
		.amdhsa_system_vgpr_workitem_id 1
		.amdhsa_next_free_vgpr 46
		.amdhsa_next_free_sgpr 36
		.amdhsa_reserve_vcc 1
		.amdhsa_reserve_flat_scratch 0
		.amdhsa_float_round_mode_32 0
		.amdhsa_float_round_mode_16_64 0
		.amdhsa_float_denorm_mode_32 3
		.amdhsa_float_denorm_mode_16_64 3
		.amdhsa_dx10_clamp 1
		.amdhsa_ieee_mode 1
		.amdhsa_fp16_overflow 0
		.amdhsa_workgroup_processor_mode 1
		.amdhsa_memory_ordered 1
		.amdhsa_forward_progress 1
		.amdhsa_shared_vgpr_count 0
		.amdhsa_exception_fp_ieee_invalid_op 0
		.amdhsa_exception_fp_denorm_src 0
		.amdhsa_exception_fp_ieee_div_zero 0
		.amdhsa_exception_fp_ieee_overflow 0
		.amdhsa_exception_fp_ieee_underflow 0
		.amdhsa_exception_fp_ieee_inexact 0
		.amdhsa_exception_int_div_zero 0
	.end_amdhsa_kernel
	.section	.text._ZN12_GLOBAL__N_127rocblas_gemm_batched_kernelIfLi16ELi16ELi32ELi32ELi8ELi32ELi8ELi8ELi32ELc67ELc84EKPK16rocblas_bfloat16S4_KPS1_EEvlllT_PT11_llS9_llS7_PT12_llPT13_lli,"axG",@progbits,_ZN12_GLOBAL__N_127rocblas_gemm_batched_kernelIfLi16ELi16ELi32ELi32ELi8ELi32ELi8ELi8ELi32ELc67ELc84EKPK16rocblas_bfloat16S4_KPS1_EEvlllT_PT11_llS9_llS7_PT12_llPT13_lli,comdat
.Lfunc_end155:
	.size	_ZN12_GLOBAL__N_127rocblas_gemm_batched_kernelIfLi16ELi16ELi32ELi32ELi8ELi32ELi8ELi8ELi32ELc67ELc84EKPK16rocblas_bfloat16S4_KPS1_EEvlllT_PT11_llS9_llS7_PT12_llPT13_lli, .Lfunc_end155-_ZN12_GLOBAL__N_127rocblas_gemm_batched_kernelIfLi16ELi16ELi32ELi32ELi8ELi32ELi8ELi8ELi32ELc67ELc84EKPK16rocblas_bfloat16S4_KPS1_EEvlllT_PT11_llS9_llS7_PT12_llPT13_lli
                                        ; -- End function
	.set _ZN12_GLOBAL__N_127rocblas_gemm_batched_kernelIfLi16ELi16ELi32ELi32ELi8ELi32ELi8ELi8ELi32ELc67ELc84EKPK16rocblas_bfloat16S4_KPS1_EEvlllT_PT11_llS9_llS7_PT12_llPT13_lli.num_vgpr, 46
	.set _ZN12_GLOBAL__N_127rocblas_gemm_batched_kernelIfLi16ELi16ELi32ELi32ELi8ELi32ELi8ELi8ELi32ELc67ELc84EKPK16rocblas_bfloat16S4_KPS1_EEvlllT_PT11_llS9_llS7_PT12_llPT13_lli.num_agpr, 0
	.set _ZN12_GLOBAL__N_127rocblas_gemm_batched_kernelIfLi16ELi16ELi32ELi32ELi8ELi32ELi8ELi8ELi32ELc67ELc84EKPK16rocblas_bfloat16S4_KPS1_EEvlllT_PT11_llS9_llS7_PT12_llPT13_lli.numbered_sgpr, 36
	.set _ZN12_GLOBAL__N_127rocblas_gemm_batched_kernelIfLi16ELi16ELi32ELi32ELi8ELi32ELi8ELi8ELi32ELc67ELc84EKPK16rocblas_bfloat16S4_KPS1_EEvlllT_PT11_llS9_llS7_PT12_llPT13_lli.num_named_barrier, 0
	.set _ZN12_GLOBAL__N_127rocblas_gemm_batched_kernelIfLi16ELi16ELi32ELi32ELi8ELi32ELi8ELi8ELi32ELc67ELc84EKPK16rocblas_bfloat16S4_KPS1_EEvlllT_PT11_llS9_llS7_PT12_llPT13_lli.private_seg_size, 0
	.set _ZN12_GLOBAL__N_127rocblas_gemm_batched_kernelIfLi16ELi16ELi32ELi32ELi8ELi32ELi8ELi8ELi32ELc67ELc84EKPK16rocblas_bfloat16S4_KPS1_EEvlllT_PT11_llS9_llS7_PT12_llPT13_lli.uses_vcc, 1
	.set _ZN12_GLOBAL__N_127rocblas_gemm_batched_kernelIfLi16ELi16ELi32ELi32ELi8ELi32ELi8ELi8ELi32ELc67ELc84EKPK16rocblas_bfloat16S4_KPS1_EEvlllT_PT11_llS9_llS7_PT12_llPT13_lli.uses_flat_scratch, 0
	.set _ZN12_GLOBAL__N_127rocblas_gemm_batched_kernelIfLi16ELi16ELi32ELi32ELi8ELi32ELi8ELi8ELi32ELc67ELc84EKPK16rocblas_bfloat16S4_KPS1_EEvlllT_PT11_llS9_llS7_PT12_llPT13_lli.has_dyn_sized_stack, 0
	.set _ZN12_GLOBAL__N_127rocblas_gemm_batched_kernelIfLi16ELi16ELi32ELi32ELi8ELi32ELi8ELi8ELi32ELc67ELc84EKPK16rocblas_bfloat16S4_KPS1_EEvlllT_PT11_llS9_llS7_PT12_llPT13_lli.has_recursion, 0
	.set _ZN12_GLOBAL__N_127rocblas_gemm_batched_kernelIfLi16ELi16ELi32ELi32ELi8ELi32ELi8ELi8ELi32ELc67ELc84EKPK16rocblas_bfloat16S4_KPS1_EEvlllT_PT11_llS9_llS7_PT12_llPT13_lli.has_indirect_call, 0
	.section	.AMDGPU.csdata,"",@progbits
; Kernel info:
; codeLenInByte = 2428
; TotalNumSgprs: 38
; NumVgprs: 46
; ScratchSize: 0
; MemoryBound: 0
; FloatMode: 240
; IeeeMode: 1
; LDSByteSize: 2048 bytes/workgroup (compile time only)
; SGPRBlocks: 0
; VGPRBlocks: 5
; NumSGPRsForWavesPerEU: 38
; NumVGPRsForWavesPerEU: 46
; Occupancy: 16
; WaveLimiterHint : 1
; COMPUTE_PGM_RSRC2:SCRATCH_EN: 0
; COMPUTE_PGM_RSRC2:USER_SGPR: 6
; COMPUTE_PGM_RSRC2:TRAP_HANDLER: 0
; COMPUTE_PGM_RSRC2:TGID_X_EN: 1
; COMPUTE_PGM_RSRC2:TGID_Y_EN: 1
; COMPUTE_PGM_RSRC2:TGID_Z_EN: 1
; COMPUTE_PGM_RSRC2:TIDIG_COMP_CNT: 1
	.section	.text._ZN12_GLOBAL__N_127rocblas_gemm_batched_kernelIfLi16ELi16ELi32ELi32ELi8ELi32ELi8ELi8ELi32ELc78ELc67EKPK16rocblas_bfloat16S4_KPS1_EEvlllT_PT11_llS9_llS7_PT12_llPT13_lli,"axG",@progbits,_ZN12_GLOBAL__N_127rocblas_gemm_batched_kernelIfLi16ELi16ELi32ELi32ELi8ELi32ELi8ELi8ELi32ELc78ELc67EKPK16rocblas_bfloat16S4_KPS1_EEvlllT_PT11_llS9_llS7_PT12_llPT13_lli,comdat
	.globl	_ZN12_GLOBAL__N_127rocblas_gemm_batched_kernelIfLi16ELi16ELi32ELi32ELi8ELi32ELi8ELi8ELi32ELc78ELc67EKPK16rocblas_bfloat16S4_KPS1_EEvlllT_PT11_llS9_llS7_PT12_llPT13_lli ; -- Begin function _ZN12_GLOBAL__N_127rocblas_gemm_batched_kernelIfLi16ELi16ELi32ELi32ELi8ELi32ELi8ELi8ELi32ELc78ELc67EKPK16rocblas_bfloat16S4_KPS1_EEvlllT_PT11_llS9_llS7_PT12_llPT13_lli
	.p2align	8
	.type	_ZN12_GLOBAL__N_127rocblas_gemm_batched_kernelIfLi16ELi16ELi32ELi32ELi8ELi32ELi8ELi8ELi32ELc78ELc67EKPK16rocblas_bfloat16S4_KPS1_EEvlllT_PT11_llS9_llS7_PT12_llPT13_lli,@function
_ZN12_GLOBAL__N_127rocblas_gemm_batched_kernelIfLi16ELi16ELi32ELi32ELi8ELi32ELi8ELi8ELi32ELc78ELc67EKPK16rocblas_bfloat16S4_KPS1_EEvlllT_PT11_llS9_llS7_PT12_llPT13_lli: ; @_ZN12_GLOBAL__N_127rocblas_gemm_batched_kernelIfLi16ELi16ELi32ELi32ELi8ELi32ELi8ELi8ELi32ELc78ELc67EKPK16rocblas_bfloat16S4_KPS1_EEvlllT_PT11_llS9_llS7_PT12_llPT13_lli
; %bb.0:
	s_clause 0x1
	s_load_dwordx8 s[12:19], s[4:5], 0x58
	s_load_dwordx2 s[28:29], s[4:5], 0x10
	s_mov_b32 s9, 0
	s_load_dwordx4 s[0:3], s[4:5], 0x78
	s_lshl_b64 s[34:35], s[8:9], 3
	s_mov_b32 s10, s7
	v_mov_b32_e32 v9, 0
	v_mov_b32_e32 v8, 0
	;; [unrolled: 1-line block ×4, first 2 shown]
	s_waitcnt lgkmcnt(0)
	s_add_u32 s8, s12, s34
	s_addc_u32 s9, s13, s35
	s_add_u32 s18, s18, s34
	s_addc_u32 s19, s19, s35
	s_load_dwordx2 s[12:13], s[8:9], 0x0
	s_load_dwordx2 s[18:19], s[18:19], 0x0
	v_cmp_lt_i64_e64 s8, s[28:29], 1
	s_ashr_i32 s7, s6, 31
	s_ashr_i32 s11, s10, 31
	s_lshl_b64 s[6:7], s[6:7], 5
	s_lshl_b64 s[30:31], s[10:11], 5
	s_and_b32 vcc_lo, exec_lo, s8
	s_cbranch_vccnz .LBB156_3
; %bb.1:
	s_clause 0x1
	s_load_dwordx8 s[20:27], s[4:5], 0x20
	s_load_dwordx4 s[8:11], s[4:5], 0x40
	v_lshl_add_u32 v2, v1, 4, v0
	v_and_b32_e32 v9, 7, v0
	v_mov_b32_e32 v6, 0
	v_lshlrev_b32_e32 v10, 2, v0
	v_lshl_add_u32 v11, v1, 5, 0x400
	v_lshrrev_b32_e32 v7, 3, v2
	v_and_b32_e32 v14, 31, v2
	v_lshrrev_b32_e32 v12, 5, v2
	v_lshlrev_b32_e32 v8, 2, v9
	v_add_co_u32 v2, s33, v7, s30
	v_add_co_ci_u32_e64 v3, null, 0, s31, s33
	v_lshl_or_b32 v15, v7, 5, v8
	v_lshlrev_b32_e32 v13, 2, v14
	s_waitcnt lgkmcnt(0)
	v_mad_u64_u32 v[4:5], null, s22, v12, s[6:7]
	s_add_u32 s20, s20, s34
	v_mad_u64_u32 v[2:3], null, s8, v9, v[2:3]
	s_addc_u32 s21, s21, s35
	s_add_u32 s26, s26, s34
	s_load_dwordx2 s[20:21], s[20:21], 0x0
	s_addc_u32 s27, s27, s35
	v_mad_u64_u32 v[7:8], null, s23, v12, v[5:6]
	s_load_dwordx2 s[26:27], s[26:27], 0x0
	v_mad_u64_u32 v[8:9], null, s9, v9, v[3:4]
	v_add_co_u32 v4, vcc_lo, v4, v14
	s_lshl_b64 s[24:25], s[24:25], 1
	v_add_co_ci_u32_e64 v5, null, 0, v7, vcc_lo
	v_lshl_or_b32 v12, v12, 7, v13
	v_mov_b32_e32 v3, v8
	v_add_nc_u32_e32 v13, 0x400, v15
	v_lshlrev_b64 v[4:5], 1, v[4:5]
	v_mov_b32_e32 v9, 0
	v_lshlrev_b64 v[7:8], 1, v[2:3]
	s_waitcnt lgkmcnt(0)
	s_add_u32 s24, s20, s24
	s_addc_u32 s25, s21, s25
	s_lshl_b64 s[10:11], s[10:11], 1
	s_lshl_b64 s[20:21], s[22:23], 4
	s_add_u32 s10, s26, s10
	v_add_co_u32 v2, vcc_lo, s24, v4
	s_addc_u32 s11, s27, s11
	v_add_co_ci_u32_e64 v3, null, s25, v5, vcc_lo
	v_add_co_u32 v4, vcc_lo, s10, v7
	v_add_co_ci_u32_e64 v5, null, s11, v8, vcc_lo
	v_mov_b32_e32 v7, 0
	v_mov_b32_e32 v8, 0
	s_lshl_b64 s[8:9], s[8:9], 4
	s_mov_b64 s[10:11], 0
.LBB156_2:                              ; =>This Inner Loop Header: Depth=1
	flat_load_ushort v14, v[2:3]
	flat_load_ushort v15, v[4:5]
	s_add_u32 s10, s10, 8
	s_addc_u32 s11, s11, 0
	v_add_co_u32 v2, vcc_lo, v2, s20
	v_cmp_lt_i64_e64 s22, s[10:11], s[28:29]
	v_add_co_ci_u32_e64 v3, null, s21, v3, vcc_lo
	v_add_co_u32 v4, vcc_lo, v4, s8
	v_add_co_ci_u32_e64 v5, null, s9, v5, vcc_lo
	s_and_b32 vcc_lo, exec_lo, s22
	s_waitcnt vmcnt(1) lgkmcnt(1)
	v_lshlrev_b32_e32 v14, 16, v14
	s_waitcnt vmcnt(0) lgkmcnt(0)
	v_lshlrev_b32_e32 v15, 16, v15
	ds_write_b32 v12, v14
	ds_write_b32 v13, v15
	s_waitcnt lgkmcnt(0)
	s_barrier
	buffer_gl0_inv
	ds_read_b128 v[14:17], v11
	ds_read2_b32 v[30:31], v10 offset1:16
	ds_read_b128 v[18:21], v11 offset:512
	ds_read2_b32 v[32:33], v10 offset0:32 offset1:48
	ds_read2_b32 v[34:35], v10 offset0:64 offset1:80
	ds_read_b128 v[22:25], v11 offset:16
	ds_read2_b32 v[36:37], v10 offset0:96 offset1:112
	ds_read2_b32 v[38:39], v10 offset0:128 offset1:144
	;; [unrolled: 3-line block ×3, first 2 shown]
	ds_read2_b32 v[44:45], v10 offset0:224 offset1:240
	s_waitcnt lgkmcnt(0)
	s_barrier
	buffer_gl0_inv
	v_fmac_f32_e32 v9, v30, v14
	v_fmac_f32_e32 v8, v31, v14
	;; [unrolled: 1-line block ×32, first 2 shown]
	s_cbranch_vccnz .LBB156_2
.LBB156_3:
	s_clause 0x1
	s_load_dword s8, s[4:5], 0x50
	s_load_dword s4, s[4:5], 0x18
	v_add_co_u32 v10, s5, s30, v1
	v_add_co_ci_u32_e64 v11, null, s31, 0, s5
	v_add_co_u32 v0, s6, s6, v0
	s_lshl_b64 s[2:3], s[2:3], 1
	v_add_co_ci_u32_e64 v1, null, s7, 0, s6
	s_waitcnt lgkmcnt(0)
	s_add_u32 s2, s18, s2
	s_addc_u32 s3, s19, s3
	v_cmp_neq_f32_e64 s5, s8, 0
	s_and_b32 vcc_lo, exec_lo, s5
	s_cbranch_vccnz .LBB156_52
; %bb.4:
	v_mul_f32_e32 v2, s4, v9
	s_mov_b32 s5, exec_lo
                                        ; implicit-def: $vgpr14
	v_and_b32_e32 v3, 0x7f800000, v2
	v_cmpx_ne_u32_e32 0x7f800000, v3
	s_xor_b32 s5, exec_lo, s5
; %bb.5:
	v_bfe_u32 v3, v2, 16, 1
	v_add3_u32 v14, v2, v3, 0x7fff
                                        ; implicit-def: $vgpr2
; %bb.6:
	s_andn2_saveexec_b32 s5, s5
; %bb.7:
	v_mov_b32_e32 v3, 0
	v_or_b32_e32 v4, 0x10000, v2
	v_cmp_eq_u32_sdwa vcc_lo, v2, v3 src0_sel:WORD_0 src1_sel:DWORD
	v_cndmask_b32_e32 v14, v4, v2, vcc_lo
; %bb.8:
	s_or_b32 exec_lo, exec_lo, s5
	v_mul_lo_u32 v4, v11, s0
	v_mul_lo_u32 v5, v10, s1
	v_mad_u64_u32 v[2:3], null, v10, s0, 0
	v_mul_f32_e32 v15, s4, v8
	v_and_b32_e32 v16, 0x7f800000, v15
	v_add3_u32 v3, v3, v5, v4
	v_lshlrev_b64 v[4:5], 1, v[2:3]
	v_lshlrev_b64 v[2:3], 1, v[0:1]
	v_add_co_u32 v12, vcc_lo, s2, v4
	v_add_co_ci_u32_e64 v13, null, s3, v5, vcc_lo
	v_add_co_u32 v4, vcc_lo, v12, v2
	v_add_co_ci_u32_e64 v5, null, v13, v3, vcc_lo
	v_cmp_ne_u32_e32 vcc_lo, 0x7f800000, v16
                                        ; implicit-def: $vgpr16
	flat_store_short_d16_hi v[4:5], v14
	s_and_saveexec_b32 s5, vcc_lo
	s_xor_b32 s5, exec_lo, s5
; %bb.9:
	v_bfe_u32 v14, v15, 16, 1
	v_add3_u32 v16, v15, v14, 0x7fff
                                        ; implicit-def: $vgpr15
; %bb.10:
	s_andn2_saveexec_b32 s5, s5
; %bb.11:
	v_mov_b32_e32 v14, 0
	v_or_b32_e32 v16, 0x10000, v15
	v_cmp_eq_u32_sdwa vcc_lo, v15, v14 src0_sel:WORD_0 src1_sel:DWORD
	v_cndmask_b32_e32 v16, v16, v15, vcc_lo
; %bb.12:
	s_or_b32 exec_lo, exec_lo, s5
	v_mul_f32_e32 v14, s4, v7
	s_mov_b32 s5, exec_lo
	flat_store_short_d16_hi v[4:5], v16 offset:32
                                        ; implicit-def: $vgpr4
	v_and_b32_e32 v15, 0x7f800000, v14
	v_cmpx_ne_u32_e32 0x7f800000, v15
	s_xor_b32 s5, exec_lo, s5
; %bb.13:
	v_bfe_u32 v4, v14, 16, 1
	v_add3_u32 v4, v14, v4, 0x7fff
                                        ; implicit-def: $vgpr14
; %bb.14:
	s_andn2_saveexec_b32 s5, s5
; %bb.15:
	v_mov_b32_e32 v4, 0
	v_or_b32_e32 v5, 0x10000, v14
	v_cmp_eq_u32_sdwa vcc_lo, v14, v4 src0_sel:WORD_0 src1_sel:DWORD
	v_cndmask_b32_e32 v4, v5, v14, vcc_lo
; %bb.16:
	s_or_b32 exec_lo, exec_lo, s5
	s_lshl_b64 s[6:7], s[0:1], 5
	v_mul_f32_e32 v5, s4, v6
	v_add_co_u32 v12, vcc_lo, v12, s6
	v_add_co_ci_u32_e64 v13, null, s7, v13, vcc_lo
	v_and_b32_e32 v14, 0x7f800000, v5
	v_add_co_u32 v2, vcc_lo, v12, v2
	v_add_co_ci_u32_e64 v3, null, v13, v3, vcc_lo
	s_mov_b32 s5, exec_lo
	flat_store_short_d16_hi v[2:3], v4
                                        ; implicit-def: $vgpr4
	v_cmpx_ne_u32_e32 0x7f800000, v14
	s_xor_b32 s5, exec_lo, s5
; %bb.17:
	v_bfe_u32 v4, v5, 16, 1
	v_add3_u32 v4, v5, v4, 0x7fff
                                        ; implicit-def: $vgpr5
; %bb.18:
	s_andn2_saveexec_b32 s5, s5
; %bb.19:
	v_mov_b32_e32 v4, 0
	v_or_b32_e32 v12, 0x10000, v5
	v_cmp_eq_u32_sdwa vcc_lo, v5, v4 src0_sel:WORD_0 src1_sel:DWORD
	v_cndmask_b32_e32 v4, v12, v5, vcc_lo
; %bb.20:
	s_or_b32 exec_lo, exec_lo, s5
	flat_store_short_d16_hi v[2:3], v4 offset:32
	s_branch .LBB156_53
.LBB156_21:
	v_mul_lo_u32 v4, v11, s14
	v_mul_lo_u32 v5, v10, s15
	v_mad_u64_u32 v[2:3], null, v10, s14, 0
	s_lshl_b64 s[6:7], s[16:17], 1
	v_lshlrev_b64 v[0:1], 1, v[0:1]
	s_add_u32 s5, s12, s6
	s_addc_u32 s6, s13, s7
	v_add3_u32 v3, v3, v5, v4
	v_lshlrev_b64 v[2:3], 1, v[2:3]
	v_add_co_u32 v12, vcc_lo, s5, v2
	v_add_co_ci_u32_e64 v13, null, s6, v3, vcc_lo
	v_add_co_u32 v2, vcc_lo, v12, v0
	v_add_co_ci_u32_e64 v3, null, v13, v1, vcc_lo
	flat_load_ushort v4, v[2:3]
	s_waitcnt vmcnt(0) lgkmcnt(0)
	v_lshlrev_b32_e32 v4, 16, v4
	v_mul_f32_e32 v4, s8, v4
	v_and_b32_e32 v5, 0x7f800000, v4
	v_cmp_ne_u32_e32 vcc_lo, 0x7f800000, v5
                                        ; implicit-def: $vgpr5
	s_and_saveexec_b32 s5, vcc_lo
	s_xor_b32 s5, exec_lo, s5
; %bb.22:
	v_bfe_u32 v5, v4, 16, 1
	v_add3_u32 v5, v4, v5, 0x7fff
                                        ; implicit-def: $vgpr4
; %bb.23:
	s_andn2_saveexec_b32 s5, s5
; %bb.24:
	v_mov_b32_e32 v5, 0
	v_or_b32_e32 v14, 0x10000, v4
	v_cmp_eq_u32_sdwa vcc_lo, v4, v5 src0_sel:WORD_0 src1_sel:DWORD
	v_cndmask_b32_e32 v5, v14, v4, vcc_lo
; %bb.25:
	s_or_b32 exec_lo, exec_lo, s5
	v_and_b32_e32 v4, 0xffff0000, v5
	s_mov_b32 s5, exec_lo
                                        ; implicit-def: $vgpr14
	v_fmac_f32_e32 v4, s4, v9
	v_and_b32_e32 v5, 0x7f800000, v4
	v_cmpx_ne_u32_e32 0x7f800000, v5
	s_xor_b32 s5, exec_lo, s5
; %bb.26:
	v_bfe_u32 v5, v4, 16, 1
	v_add3_u32 v14, v4, v5, 0x7fff
                                        ; implicit-def: $vgpr4
; %bb.27:
	s_andn2_saveexec_b32 s5, s5
; %bb.28:
	v_mov_b32_e32 v5, 0
	v_or_b32_e32 v9, 0x10000, v4
	v_cmp_eq_u32_sdwa vcc_lo, v4, v5 src0_sel:WORD_0 src1_sel:DWORD
	v_cndmask_b32_e32 v14, v9, v4, vcc_lo
; %bb.29:
	s_or_b32 exec_lo, exec_lo, s5
	v_mul_lo_u32 v9, v11, s0
	v_mul_lo_u32 v11, v10, s1
	v_mad_u64_u32 v[4:5], null, v10, s0, 0
	v_add3_u32 v5, v5, v11, v9
	v_lshlrev_b64 v[4:5], 1, v[4:5]
	v_add_co_u32 v9, vcc_lo, s2, v4
	v_add_co_ci_u32_e64 v10, null, s3, v5, vcc_lo
	v_add_co_u32 v4, vcc_lo, v9, v0
	v_add_co_ci_u32_e64 v5, null, v10, v1, vcc_lo
	flat_store_short_d16_hi v[4:5], v14
	flat_load_ushort v2, v[2:3] offset:32
	s_waitcnt vmcnt(0) lgkmcnt(0)
	v_lshlrev_b32_e32 v2, 16, v2
	v_mul_f32_e32 v2, s8, v2
	v_and_b32_e32 v3, 0x7f800000, v2
	v_cmp_ne_u32_e32 vcc_lo, 0x7f800000, v3
                                        ; implicit-def: $vgpr3
	s_and_saveexec_b32 s2, vcc_lo
	s_xor_b32 s2, exec_lo, s2
; %bb.30:
	v_bfe_u32 v3, v2, 16, 1
	v_add3_u32 v3, v2, v3, 0x7fff
                                        ; implicit-def: $vgpr2
; %bb.31:
	s_andn2_saveexec_b32 s2, s2
; %bb.32:
	v_mov_b32_e32 v3, 0
	v_or_b32_e32 v11, 0x10000, v2
	v_cmp_eq_u32_sdwa vcc_lo, v2, v3 src0_sel:WORD_0 src1_sel:DWORD
	v_cndmask_b32_e32 v3, v11, v2, vcc_lo
; %bb.33:
	s_or_b32 exec_lo, exec_lo, s2
	v_and_b32_e32 v2, 0xffff0000, v3
	s_mov_b32 s2, exec_lo
	v_fmac_f32_e32 v2, s4, v8
                                        ; implicit-def: $vgpr8
	v_and_b32_e32 v3, 0x7f800000, v2
	v_cmpx_ne_u32_e32 0x7f800000, v3
	s_xor_b32 s2, exec_lo, s2
; %bb.34:
	v_bfe_u32 v3, v2, 16, 1
	v_add3_u32 v8, v2, v3, 0x7fff
                                        ; implicit-def: $vgpr2
; %bb.35:
	s_andn2_saveexec_b32 s2, s2
; %bb.36:
	v_mov_b32_e32 v3, 0
	v_or_b32_e32 v8, 0x10000, v2
	v_cmp_eq_u32_sdwa vcc_lo, v2, v3 src0_sel:WORD_0 src1_sel:DWORD
	v_cndmask_b32_e32 v8, v8, v2, vcc_lo
; %bb.37:
	s_or_b32 exec_lo, exec_lo, s2
	s_lshl_b64 s[2:3], s[14:15], 5
	flat_store_short_d16_hi v[4:5], v8 offset:32
	v_add_co_u32 v2, vcc_lo, v12, s2
	v_add_co_ci_u32_e64 v3, null, s3, v13, vcc_lo
	v_add_co_u32 v2, vcc_lo, v2, v0
	v_add_co_ci_u32_e64 v3, null, v3, v1, vcc_lo
	flat_load_ushort v4, v[2:3]
	s_waitcnt vmcnt(0) lgkmcnt(0)
	v_lshlrev_b32_e32 v4, 16, v4
	v_mul_f32_e32 v4, s8, v4
	v_and_b32_e32 v5, 0x7f800000, v4
	v_cmp_ne_u32_e32 vcc_lo, 0x7f800000, v5
                                        ; implicit-def: $vgpr5
	s_and_saveexec_b32 s2, vcc_lo
	s_xor_b32 s2, exec_lo, s2
; %bb.38:
	v_bfe_u32 v5, v4, 16, 1
	v_add3_u32 v5, v4, v5, 0x7fff
                                        ; implicit-def: $vgpr4
; %bb.39:
	s_andn2_saveexec_b32 s2, s2
; %bb.40:
	v_mov_b32_e32 v5, 0
	v_or_b32_e32 v8, 0x10000, v4
	v_cmp_eq_u32_sdwa vcc_lo, v4, v5 src0_sel:WORD_0 src1_sel:DWORD
	v_cndmask_b32_e32 v5, v8, v4, vcc_lo
; %bb.41:
	s_or_b32 exec_lo, exec_lo, s2
	v_and_b32_e32 v5, 0xffff0000, v5
	v_fmac_f32_e32 v5, s4, v7
	v_and_b32_e32 v4, 0x7f800000, v5
	v_cmp_ne_u32_e32 vcc_lo, 0x7f800000, v4
                                        ; implicit-def: $vgpr4
	s_and_saveexec_b32 s2, vcc_lo
	s_xor_b32 s2, exec_lo, s2
; %bb.42:
	v_bfe_u32 v4, v5, 16, 1
	v_add3_u32 v4, v5, v4, 0x7fff
                                        ; implicit-def: $vgpr5
; %bb.43:
	s_andn2_saveexec_b32 s2, s2
; %bb.44:
	v_mov_b32_e32 v4, 0
	v_or_b32_e32 v7, 0x10000, v5
	v_cmp_eq_u32_sdwa vcc_lo, v5, v4 src0_sel:WORD_0 src1_sel:DWORD
	v_cndmask_b32_e32 v4, v7, v5, vcc_lo
; %bb.45:
	s_or_b32 exec_lo, exec_lo, s2
	s_lshl_b64 s[0:1], s[0:1], 5
	v_add_co_u32 v5, vcc_lo, v9, s0
	v_add_co_ci_u32_e64 v7, null, s1, v10, vcc_lo
	v_add_co_u32 v0, vcc_lo, v5, v0
	v_add_co_ci_u32_e64 v1, null, v7, v1, vcc_lo
	flat_store_short_d16_hi v[0:1], v4
	flat_load_ushort v2, v[2:3] offset:32
	s_waitcnt vmcnt(0) lgkmcnt(0)
	v_lshlrev_b32_e32 v2, 16, v2
	v_mul_f32_e32 v2, s8, v2
	v_and_b32_e32 v3, 0x7f800000, v2
	v_cmp_ne_u32_e32 vcc_lo, 0x7f800000, v3
                                        ; implicit-def: $vgpr3
	s_and_saveexec_b32 s0, vcc_lo
	s_xor_b32 s0, exec_lo, s0
; %bb.46:
	v_bfe_u32 v3, v2, 16, 1
	v_add3_u32 v3, v2, v3, 0x7fff
                                        ; implicit-def: $vgpr2
; %bb.47:
	s_andn2_saveexec_b32 s0, s0
; %bb.48:
	v_mov_b32_e32 v3, 0
	v_or_b32_e32 v4, 0x10000, v2
	v_cmp_eq_u32_sdwa vcc_lo, v2, v3 src0_sel:WORD_0 src1_sel:DWORD
	v_cndmask_b32_e32 v3, v4, v2, vcc_lo
; %bb.49:
	s_or_b32 exec_lo, exec_lo, s0
	v_and_b32_e32 v2, 0xffff0000, v3
	v_fmac_f32_e32 v2, s4, v6
	v_and_b32_e32 v3, 0x7f800000, v2
	v_cmp_ne_u32_e32 vcc_lo, 0x7f800000, v3
                                        ; implicit-def: $vgpr3
	s_and_saveexec_b32 s0, vcc_lo
	s_xor_b32 s0, exec_lo, s0
	s_cbranch_execnz .LBB156_54
; %bb.50:
	s_andn2_saveexec_b32 s0, s0
	s_cbranch_execnz .LBB156_55
.LBB156_51:
	s_or_b32 exec_lo, exec_lo, s0
	flat_store_short_d16_hi v[0:1], v3 offset:32
	s_endpgm
.LBB156_52:
	s_cbranch_execnz .LBB156_21
.LBB156_53:
	s_endpgm
.LBB156_54:
	v_bfe_u32 v3, v2, 16, 1
	v_add3_u32 v3, v2, v3, 0x7fff
                                        ; implicit-def: $vgpr2
	s_andn2_saveexec_b32 s0, s0
	s_cbranch_execz .LBB156_51
.LBB156_55:
	v_mov_b32_e32 v3, 0
	v_or_b32_e32 v4, 0x10000, v2
	v_cmp_eq_u32_sdwa vcc_lo, v2, v3 src0_sel:WORD_0 src1_sel:DWORD
	v_cndmask_b32_e32 v3, v4, v2, vcc_lo
	s_or_b32 exec_lo, exec_lo, s0
	flat_store_short_d16_hi v[0:1], v3 offset:32
	s_endpgm
	.section	.rodata,"a",@progbits
	.p2align	6, 0x0
	.amdhsa_kernel _ZN12_GLOBAL__N_127rocblas_gemm_batched_kernelIfLi16ELi16ELi32ELi32ELi8ELi32ELi8ELi8ELi32ELc78ELc67EKPK16rocblas_bfloat16S4_KPS1_EEvlllT_PT11_llS9_llS7_PT12_llPT13_lli
		.amdhsa_group_segment_fixed_size 2048
		.amdhsa_private_segment_fixed_size 0
		.amdhsa_kernarg_size 140
		.amdhsa_user_sgpr_count 6
		.amdhsa_user_sgpr_private_segment_buffer 1
		.amdhsa_user_sgpr_dispatch_ptr 0
		.amdhsa_user_sgpr_queue_ptr 0
		.amdhsa_user_sgpr_kernarg_segment_ptr 1
		.amdhsa_user_sgpr_dispatch_id 0
		.amdhsa_user_sgpr_flat_scratch_init 0
		.amdhsa_user_sgpr_private_segment_size 0
		.amdhsa_wavefront_size32 1
		.amdhsa_uses_dynamic_stack 0
		.amdhsa_system_sgpr_private_segment_wavefront_offset 0
		.amdhsa_system_sgpr_workgroup_id_x 1
		.amdhsa_system_sgpr_workgroup_id_y 1
		.amdhsa_system_sgpr_workgroup_id_z 1
		.amdhsa_system_sgpr_workgroup_info 0
		.amdhsa_system_vgpr_workitem_id 1
		.amdhsa_next_free_vgpr 46
		.amdhsa_next_free_sgpr 36
		.amdhsa_reserve_vcc 1
		.amdhsa_reserve_flat_scratch 0
		.amdhsa_float_round_mode_32 0
		.amdhsa_float_round_mode_16_64 0
		.amdhsa_float_denorm_mode_32 3
		.amdhsa_float_denorm_mode_16_64 3
		.amdhsa_dx10_clamp 1
		.amdhsa_ieee_mode 1
		.amdhsa_fp16_overflow 0
		.amdhsa_workgroup_processor_mode 1
		.amdhsa_memory_ordered 1
		.amdhsa_forward_progress 1
		.amdhsa_shared_vgpr_count 0
		.amdhsa_exception_fp_ieee_invalid_op 0
		.amdhsa_exception_fp_denorm_src 0
		.amdhsa_exception_fp_ieee_div_zero 0
		.amdhsa_exception_fp_ieee_overflow 0
		.amdhsa_exception_fp_ieee_underflow 0
		.amdhsa_exception_fp_ieee_inexact 0
		.amdhsa_exception_int_div_zero 0
	.end_amdhsa_kernel
	.section	.text._ZN12_GLOBAL__N_127rocblas_gemm_batched_kernelIfLi16ELi16ELi32ELi32ELi8ELi32ELi8ELi8ELi32ELc78ELc67EKPK16rocblas_bfloat16S4_KPS1_EEvlllT_PT11_llS9_llS7_PT12_llPT13_lli,"axG",@progbits,_ZN12_GLOBAL__N_127rocblas_gemm_batched_kernelIfLi16ELi16ELi32ELi32ELi8ELi32ELi8ELi8ELi32ELc78ELc67EKPK16rocblas_bfloat16S4_KPS1_EEvlllT_PT11_llS9_llS7_PT12_llPT13_lli,comdat
.Lfunc_end156:
	.size	_ZN12_GLOBAL__N_127rocblas_gemm_batched_kernelIfLi16ELi16ELi32ELi32ELi8ELi32ELi8ELi8ELi32ELc78ELc67EKPK16rocblas_bfloat16S4_KPS1_EEvlllT_PT11_llS9_llS7_PT12_llPT13_lli, .Lfunc_end156-_ZN12_GLOBAL__N_127rocblas_gemm_batched_kernelIfLi16ELi16ELi32ELi32ELi8ELi32ELi8ELi8ELi32ELc78ELc67EKPK16rocblas_bfloat16S4_KPS1_EEvlllT_PT11_llS9_llS7_PT12_llPT13_lli
                                        ; -- End function
	.set _ZN12_GLOBAL__N_127rocblas_gemm_batched_kernelIfLi16ELi16ELi32ELi32ELi8ELi32ELi8ELi8ELi32ELc78ELc67EKPK16rocblas_bfloat16S4_KPS1_EEvlllT_PT11_llS9_llS7_PT12_llPT13_lli.num_vgpr, 46
	.set _ZN12_GLOBAL__N_127rocblas_gemm_batched_kernelIfLi16ELi16ELi32ELi32ELi8ELi32ELi8ELi8ELi32ELc78ELc67EKPK16rocblas_bfloat16S4_KPS1_EEvlllT_PT11_llS9_llS7_PT12_llPT13_lli.num_agpr, 0
	.set _ZN12_GLOBAL__N_127rocblas_gemm_batched_kernelIfLi16ELi16ELi32ELi32ELi8ELi32ELi8ELi8ELi32ELc78ELc67EKPK16rocblas_bfloat16S4_KPS1_EEvlllT_PT11_llS9_llS7_PT12_llPT13_lli.numbered_sgpr, 36
	.set _ZN12_GLOBAL__N_127rocblas_gemm_batched_kernelIfLi16ELi16ELi32ELi32ELi8ELi32ELi8ELi8ELi32ELc78ELc67EKPK16rocblas_bfloat16S4_KPS1_EEvlllT_PT11_llS9_llS7_PT12_llPT13_lli.num_named_barrier, 0
	.set _ZN12_GLOBAL__N_127rocblas_gemm_batched_kernelIfLi16ELi16ELi32ELi32ELi8ELi32ELi8ELi8ELi32ELc78ELc67EKPK16rocblas_bfloat16S4_KPS1_EEvlllT_PT11_llS9_llS7_PT12_llPT13_lli.private_seg_size, 0
	.set _ZN12_GLOBAL__N_127rocblas_gemm_batched_kernelIfLi16ELi16ELi32ELi32ELi8ELi32ELi8ELi8ELi32ELc78ELc67EKPK16rocblas_bfloat16S4_KPS1_EEvlllT_PT11_llS9_llS7_PT12_llPT13_lli.uses_vcc, 1
	.set _ZN12_GLOBAL__N_127rocblas_gemm_batched_kernelIfLi16ELi16ELi32ELi32ELi8ELi32ELi8ELi8ELi32ELc78ELc67EKPK16rocblas_bfloat16S4_KPS1_EEvlllT_PT11_llS9_llS7_PT12_llPT13_lli.uses_flat_scratch, 0
	.set _ZN12_GLOBAL__N_127rocblas_gemm_batched_kernelIfLi16ELi16ELi32ELi32ELi8ELi32ELi8ELi8ELi32ELc78ELc67EKPK16rocblas_bfloat16S4_KPS1_EEvlllT_PT11_llS9_llS7_PT12_llPT13_lli.has_dyn_sized_stack, 0
	.set _ZN12_GLOBAL__N_127rocblas_gemm_batched_kernelIfLi16ELi16ELi32ELi32ELi8ELi32ELi8ELi8ELi32ELc78ELc67EKPK16rocblas_bfloat16S4_KPS1_EEvlllT_PT11_llS9_llS7_PT12_llPT13_lli.has_recursion, 0
	.set _ZN12_GLOBAL__N_127rocblas_gemm_batched_kernelIfLi16ELi16ELi32ELi32ELi8ELi32ELi8ELi8ELi32ELc78ELc67EKPK16rocblas_bfloat16S4_KPS1_EEvlllT_PT11_llS9_llS7_PT12_llPT13_lli.has_indirect_call, 0
	.section	.AMDGPU.csdata,"",@progbits
; Kernel info:
; codeLenInByte = 2388
; TotalNumSgprs: 38
; NumVgprs: 46
; ScratchSize: 0
; MemoryBound: 0
; FloatMode: 240
; IeeeMode: 1
; LDSByteSize: 2048 bytes/workgroup (compile time only)
; SGPRBlocks: 0
; VGPRBlocks: 5
; NumSGPRsForWavesPerEU: 38
; NumVGPRsForWavesPerEU: 46
; Occupancy: 16
; WaveLimiterHint : 1
; COMPUTE_PGM_RSRC2:SCRATCH_EN: 0
; COMPUTE_PGM_RSRC2:USER_SGPR: 6
; COMPUTE_PGM_RSRC2:TRAP_HANDLER: 0
; COMPUTE_PGM_RSRC2:TGID_X_EN: 1
; COMPUTE_PGM_RSRC2:TGID_Y_EN: 1
; COMPUTE_PGM_RSRC2:TGID_Z_EN: 1
; COMPUTE_PGM_RSRC2:TIDIG_COMP_CNT: 1
	.section	.text._ZN12_GLOBAL__N_127rocblas_gemm_batched_kernelIfLi16ELi16ELi32ELi32ELi8ELi32ELi8ELi8ELi32ELc84ELc67EKPK16rocblas_bfloat16S4_KPS1_EEvlllT_PT11_llS9_llS7_PT12_llPT13_lli,"axG",@progbits,_ZN12_GLOBAL__N_127rocblas_gemm_batched_kernelIfLi16ELi16ELi32ELi32ELi8ELi32ELi8ELi8ELi32ELc84ELc67EKPK16rocblas_bfloat16S4_KPS1_EEvlllT_PT11_llS9_llS7_PT12_llPT13_lli,comdat
	.globl	_ZN12_GLOBAL__N_127rocblas_gemm_batched_kernelIfLi16ELi16ELi32ELi32ELi8ELi32ELi8ELi8ELi32ELc84ELc67EKPK16rocblas_bfloat16S4_KPS1_EEvlllT_PT11_llS9_llS7_PT12_llPT13_lli ; -- Begin function _ZN12_GLOBAL__N_127rocblas_gemm_batched_kernelIfLi16ELi16ELi32ELi32ELi8ELi32ELi8ELi8ELi32ELc84ELc67EKPK16rocblas_bfloat16S4_KPS1_EEvlllT_PT11_llS9_llS7_PT12_llPT13_lli
	.p2align	8
	.type	_ZN12_GLOBAL__N_127rocblas_gemm_batched_kernelIfLi16ELi16ELi32ELi32ELi8ELi32ELi8ELi8ELi32ELc84ELc67EKPK16rocblas_bfloat16S4_KPS1_EEvlllT_PT11_llS9_llS7_PT12_llPT13_lli,@function
_ZN12_GLOBAL__N_127rocblas_gemm_batched_kernelIfLi16ELi16ELi32ELi32ELi8ELi32ELi8ELi8ELi32ELc84ELc67EKPK16rocblas_bfloat16S4_KPS1_EEvlllT_PT11_llS9_llS7_PT12_llPT13_lli: ; @_ZN12_GLOBAL__N_127rocblas_gemm_batched_kernelIfLi16ELi16ELi32ELi32ELi8ELi32ELi8ELi8ELi32ELc84ELc67EKPK16rocblas_bfloat16S4_KPS1_EEvlllT_PT11_llS9_llS7_PT12_llPT13_lli
; %bb.0:
	s_clause 0x1
	s_load_dwordx8 s[12:19], s[4:5], 0x58
	s_load_dwordx2 s[28:29], s[4:5], 0x10
	s_mov_b32 s9, 0
	s_load_dwordx4 s[0:3], s[4:5], 0x78
	s_lshl_b64 s[34:35], s[8:9], 3
	s_mov_b32 s10, s7
	v_mov_b32_e32 v9, 0
	v_mov_b32_e32 v8, 0
	;; [unrolled: 1-line block ×4, first 2 shown]
	s_waitcnt lgkmcnt(0)
	s_add_u32 s8, s12, s34
	s_addc_u32 s9, s13, s35
	s_add_u32 s18, s18, s34
	s_addc_u32 s19, s19, s35
	s_load_dwordx2 s[12:13], s[8:9], 0x0
	s_load_dwordx2 s[18:19], s[18:19], 0x0
	v_cmp_lt_i64_e64 s8, s[28:29], 1
	s_ashr_i32 s7, s6, 31
	s_ashr_i32 s11, s10, 31
	s_lshl_b64 s[6:7], s[6:7], 5
	s_lshl_b64 s[30:31], s[10:11], 5
	s_and_b32 vcc_lo, exec_lo, s8
	s_cbranch_vccnz .LBB157_3
; %bb.1:
	s_clause 0x1
	s_load_dwordx8 s[20:27], s[4:5], 0x20
	s_load_dwordx4 s[8:11], s[4:5], 0x40
	v_lshl_add_u32 v2, v1, 4, v0
	v_and_b32_e32 v7, 7, v0
	v_mov_b32_e32 v6, 0
	v_lshlrev_b32_e32 v10, 2, v0
	v_lshrrev_b32_e32 v8, 3, v2
	v_and_b32_e32 v9, 31, v2
	v_lshrrev_b32_e32 v11, 5, v2
	v_lshlrev_b32_e32 v12, 2, v7
	v_add_co_u32 v2, s33, v8, s30
	v_add_co_ci_u32_e64 v3, null, 0, s31, s33
	v_add_co_u32 v4, s33, s6, v9
	v_add_co_ci_u32_e64 v5, null, s7, 0, s33
	s_waitcnt lgkmcnt(0)
	s_add_u32 s20, s20, s34
	v_mul_lo_u32 v13, s23, v4
	v_mad_u64_u32 v[2:3], null, s8, v7, v[2:3]
	v_mul_lo_u32 v14, s22, v5
	v_mad_u64_u32 v[4:5], null, s22, v4, 0
	s_addc_u32 s21, s21, s35
	s_add_u32 s22, s26, s34
	s_addc_u32 s23, s27, s35
	s_load_dwordx2 s[20:21], s[20:21], 0x0
	s_load_dwordx2 s[22:23], s[22:23], 0x0
	v_lshl_or_b32 v12, v8, 5, v12
	v_add3_u32 v5, v5, v14, v13
	v_mad_u64_u32 v[7:8], null, s9, v7, v[3:4]
	s_lshl_b64 s[24:25], s[24:25], 1
	v_lshlrev_b32_e32 v8, 1, v11
	v_lshlrev_b64 v[4:5], 1, v[4:5]
	s_lshl_b64 s[10:11], s[10:11], 1
	v_lshlrev_b32_e32 v9, 2, v9
	v_add_nc_u32_e32 v12, 0x400, v12
	v_mov_b32_e32 v3, v7
	v_lshl_add_u32 v13, v1, 5, 0x400
	v_add_co_u32 v4, vcc_lo, v4, s24
	v_add_co_ci_u32_e64 v5, null, s25, v5, vcc_lo
	v_lshl_or_b32 v11, v11, 7, v9
	v_add_co_u32 v7, vcc_lo, v4, v8
	v_add_co_ci_u32_e64 v8, null, 0, v5, vcc_lo
	v_lshlrev_b64 v[4:5], 1, v[2:3]
	s_waitcnt lgkmcnt(0)
	v_add_co_u32 v2, vcc_lo, s20, v7
	s_add_u32 s10, s22, s10
	v_add_co_ci_u32_e64 v3, null, s21, v8, vcc_lo
	s_addc_u32 s11, s23, s11
	v_add_co_u32 v4, vcc_lo, s10, v4
	v_add_co_ci_u32_e64 v5, null, s11, v5, vcc_lo
	v_mov_b32_e32 v7, 0
	v_mov_b32_e32 v8, 0
	;; [unrolled: 1-line block ×3, first 2 shown]
	s_lshl_b64 s[8:9], s[8:9], 4
	s_mov_b64 s[10:11], 0
.LBB157_2:                              ; =>This Inner Loop Header: Depth=1
	flat_load_ushort v14, v[2:3]
	flat_load_ushort v15, v[4:5]
	s_add_u32 s10, s10, 8
	s_addc_u32 s11, s11, 0
	v_add_co_u32 v2, vcc_lo, v2, 16
	v_cmp_lt_i64_e64 s20, s[10:11], s[28:29]
	v_add_co_ci_u32_e64 v3, null, 0, v3, vcc_lo
	v_add_co_u32 v4, vcc_lo, v4, s8
	v_add_co_ci_u32_e64 v5, null, s9, v5, vcc_lo
	s_and_b32 vcc_lo, exec_lo, s20
	s_waitcnt vmcnt(1) lgkmcnt(1)
	v_lshlrev_b32_e32 v14, 16, v14
	s_waitcnt vmcnt(0) lgkmcnt(0)
	v_lshlrev_b32_e32 v15, 16, v15
	ds_write_b32 v11, v14
	ds_write_b32 v12, v15
	s_waitcnt lgkmcnt(0)
	s_barrier
	buffer_gl0_inv
	ds_read_b128 v[14:17], v13
	ds_read2_b32 v[30:31], v10 offset1:16
	ds_read_b128 v[18:21], v13 offset:512
	ds_read2_b32 v[32:33], v10 offset0:32 offset1:48
	ds_read2_b32 v[34:35], v10 offset0:64 offset1:80
	ds_read_b128 v[22:25], v13 offset:16
	ds_read2_b32 v[36:37], v10 offset0:96 offset1:112
	ds_read2_b32 v[38:39], v10 offset0:128 offset1:144
	;; [unrolled: 3-line block ×3, first 2 shown]
	ds_read2_b32 v[44:45], v10 offset0:224 offset1:240
	s_waitcnt lgkmcnt(0)
	s_barrier
	buffer_gl0_inv
	v_fmac_f32_e32 v9, v30, v14
	v_fmac_f32_e32 v8, v31, v14
	;; [unrolled: 1-line block ×32, first 2 shown]
	s_cbranch_vccnz .LBB157_2
.LBB157_3:
	s_clause 0x1
	s_load_dword s8, s[4:5], 0x50
	s_load_dword s4, s[4:5], 0x18
	v_add_co_u32 v10, s5, s30, v1
	v_add_co_ci_u32_e64 v11, null, s31, 0, s5
	v_add_co_u32 v0, s6, s6, v0
	s_lshl_b64 s[2:3], s[2:3], 1
	v_add_co_ci_u32_e64 v1, null, s7, 0, s6
	s_waitcnt lgkmcnt(0)
	s_add_u32 s2, s18, s2
	s_addc_u32 s3, s19, s3
	v_cmp_neq_f32_e64 s5, s8, 0
	s_and_b32 vcc_lo, exec_lo, s5
	s_cbranch_vccnz .LBB157_52
; %bb.4:
	v_mul_f32_e32 v2, s4, v9
	s_mov_b32 s5, exec_lo
                                        ; implicit-def: $vgpr14
	v_and_b32_e32 v3, 0x7f800000, v2
	v_cmpx_ne_u32_e32 0x7f800000, v3
	s_xor_b32 s5, exec_lo, s5
; %bb.5:
	v_bfe_u32 v3, v2, 16, 1
	v_add3_u32 v14, v2, v3, 0x7fff
                                        ; implicit-def: $vgpr2
; %bb.6:
	s_andn2_saveexec_b32 s5, s5
; %bb.7:
	v_mov_b32_e32 v3, 0
	v_or_b32_e32 v4, 0x10000, v2
	v_cmp_eq_u32_sdwa vcc_lo, v2, v3 src0_sel:WORD_0 src1_sel:DWORD
	v_cndmask_b32_e32 v14, v4, v2, vcc_lo
; %bb.8:
	s_or_b32 exec_lo, exec_lo, s5
	v_mul_lo_u32 v4, v11, s0
	v_mul_lo_u32 v5, v10, s1
	v_mad_u64_u32 v[2:3], null, v10, s0, 0
	v_mul_f32_e32 v15, s4, v8
	v_and_b32_e32 v16, 0x7f800000, v15
	v_add3_u32 v3, v3, v5, v4
	v_lshlrev_b64 v[4:5], 1, v[2:3]
	v_lshlrev_b64 v[2:3], 1, v[0:1]
	v_add_co_u32 v12, vcc_lo, s2, v4
	v_add_co_ci_u32_e64 v13, null, s3, v5, vcc_lo
	v_add_co_u32 v4, vcc_lo, v12, v2
	v_add_co_ci_u32_e64 v5, null, v13, v3, vcc_lo
	v_cmp_ne_u32_e32 vcc_lo, 0x7f800000, v16
                                        ; implicit-def: $vgpr16
	flat_store_short_d16_hi v[4:5], v14
	s_and_saveexec_b32 s5, vcc_lo
	s_xor_b32 s5, exec_lo, s5
; %bb.9:
	v_bfe_u32 v14, v15, 16, 1
	v_add3_u32 v16, v15, v14, 0x7fff
                                        ; implicit-def: $vgpr15
; %bb.10:
	s_andn2_saveexec_b32 s5, s5
; %bb.11:
	v_mov_b32_e32 v14, 0
	v_or_b32_e32 v16, 0x10000, v15
	v_cmp_eq_u32_sdwa vcc_lo, v15, v14 src0_sel:WORD_0 src1_sel:DWORD
	v_cndmask_b32_e32 v16, v16, v15, vcc_lo
; %bb.12:
	s_or_b32 exec_lo, exec_lo, s5
	v_mul_f32_e32 v14, s4, v7
	s_mov_b32 s5, exec_lo
	flat_store_short_d16_hi v[4:5], v16 offset:32
                                        ; implicit-def: $vgpr4
	v_and_b32_e32 v15, 0x7f800000, v14
	v_cmpx_ne_u32_e32 0x7f800000, v15
	s_xor_b32 s5, exec_lo, s5
; %bb.13:
	v_bfe_u32 v4, v14, 16, 1
	v_add3_u32 v4, v14, v4, 0x7fff
                                        ; implicit-def: $vgpr14
; %bb.14:
	s_andn2_saveexec_b32 s5, s5
; %bb.15:
	v_mov_b32_e32 v4, 0
	v_or_b32_e32 v5, 0x10000, v14
	v_cmp_eq_u32_sdwa vcc_lo, v14, v4 src0_sel:WORD_0 src1_sel:DWORD
	v_cndmask_b32_e32 v4, v5, v14, vcc_lo
; %bb.16:
	s_or_b32 exec_lo, exec_lo, s5
	s_lshl_b64 s[6:7], s[0:1], 5
	v_mul_f32_e32 v5, s4, v6
	v_add_co_u32 v12, vcc_lo, v12, s6
	v_add_co_ci_u32_e64 v13, null, s7, v13, vcc_lo
	v_and_b32_e32 v14, 0x7f800000, v5
	v_add_co_u32 v2, vcc_lo, v12, v2
	v_add_co_ci_u32_e64 v3, null, v13, v3, vcc_lo
	s_mov_b32 s5, exec_lo
	flat_store_short_d16_hi v[2:3], v4
                                        ; implicit-def: $vgpr4
	v_cmpx_ne_u32_e32 0x7f800000, v14
	s_xor_b32 s5, exec_lo, s5
; %bb.17:
	v_bfe_u32 v4, v5, 16, 1
	v_add3_u32 v4, v5, v4, 0x7fff
                                        ; implicit-def: $vgpr5
; %bb.18:
	s_andn2_saveexec_b32 s5, s5
; %bb.19:
	v_mov_b32_e32 v4, 0
	v_or_b32_e32 v12, 0x10000, v5
	v_cmp_eq_u32_sdwa vcc_lo, v5, v4 src0_sel:WORD_0 src1_sel:DWORD
	v_cndmask_b32_e32 v4, v12, v5, vcc_lo
; %bb.20:
	s_or_b32 exec_lo, exec_lo, s5
	flat_store_short_d16_hi v[2:3], v4 offset:32
	s_branch .LBB157_53
.LBB157_21:
	v_mul_lo_u32 v4, v11, s14
	v_mul_lo_u32 v5, v10, s15
	v_mad_u64_u32 v[2:3], null, v10, s14, 0
	s_lshl_b64 s[6:7], s[16:17], 1
	v_lshlrev_b64 v[0:1], 1, v[0:1]
	s_add_u32 s5, s12, s6
	s_addc_u32 s6, s13, s7
	v_add3_u32 v3, v3, v5, v4
	v_lshlrev_b64 v[2:3], 1, v[2:3]
	v_add_co_u32 v12, vcc_lo, s5, v2
	v_add_co_ci_u32_e64 v13, null, s6, v3, vcc_lo
	v_add_co_u32 v2, vcc_lo, v12, v0
	v_add_co_ci_u32_e64 v3, null, v13, v1, vcc_lo
	flat_load_ushort v4, v[2:3]
	s_waitcnt vmcnt(0) lgkmcnt(0)
	v_lshlrev_b32_e32 v4, 16, v4
	v_mul_f32_e32 v4, s8, v4
	v_and_b32_e32 v5, 0x7f800000, v4
	v_cmp_ne_u32_e32 vcc_lo, 0x7f800000, v5
                                        ; implicit-def: $vgpr5
	s_and_saveexec_b32 s5, vcc_lo
	s_xor_b32 s5, exec_lo, s5
; %bb.22:
	v_bfe_u32 v5, v4, 16, 1
	v_add3_u32 v5, v4, v5, 0x7fff
                                        ; implicit-def: $vgpr4
; %bb.23:
	s_andn2_saveexec_b32 s5, s5
; %bb.24:
	v_mov_b32_e32 v5, 0
	v_or_b32_e32 v14, 0x10000, v4
	v_cmp_eq_u32_sdwa vcc_lo, v4, v5 src0_sel:WORD_0 src1_sel:DWORD
	v_cndmask_b32_e32 v5, v14, v4, vcc_lo
; %bb.25:
	s_or_b32 exec_lo, exec_lo, s5
	v_and_b32_e32 v4, 0xffff0000, v5
	s_mov_b32 s5, exec_lo
                                        ; implicit-def: $vgpr14
	v_fmac_f32_e32 v4, s4, v9
	v_and_b32_e32 v5, 0x7f800000, v4
	v_cmpx_ne_u32_e32 0x7f800000, v5
	s_xor_b32 s5, exec_lo, s5
; %bb.26:
	v_bfe_u32 v5, v4, 16, 1
	v_add3_u32 v14, v4, v5, 0x7fff
                                        ; implicit-def: $vgpr4
; %bb.27:
	s_andn2_saveexec_b32 s5, s5
; %bb.28:
	v_mov_b32_e32 v5, 0
	v_or_b32_e32 v9, 0x10000, v4
	v_cmp_eq_u32_sdwa vcc_lo, v4, v5 src0_sel:WORD_0 src1_sel:DWORD
	v_cndmask_b32_e32 v14, v9, v4, vcc_lo
; %bb.29:
	s_or_b32 exec_lo, exec_lo, s5
	v_mul_lo_u32 v9, v11, s0
	v_mul_lo_u32 v11, v10, s1
	v_mad_u64_u32 v[4:5], null, v10, s0, 0
	v_add3_u32 v5, v5, v11, v9
	v_lshlrev_b64 v[4:5], 1, v[4:5]
	v_add_co_u32 v9, vcc_lo, s2, v4
	v_add_co_ci_u32_e64 v10, null, s3, v5, vcc_lo
	v_add_co_u32 v4, vcc_lo, v9, v0
	v_add_co_ci_u32_e64 v5, null, v10, v1, vcc_lo
	flat_store_short_d16_hi v[4:5], v14
	flat_load_ushort v2, v[2:3] offset:32
	s_waitcnt vmcnt(0) lgkmcnt(0)
	v_lshlrev_b32_e32 v2, 16, v2
	v_mul_f32_e32 v2, s8, v2
	v_and_b32_e32 v3, 0x7f800000, v2
	v_cmp_ne_u32_e32 vcc_lo, 0x7f800000, v3
                                        ; implicit-def: $vgpr3
	s_and_saveexec_b32 s2, vcc_lo
	s_xor_b32 s2, exec_lo, s2
; %bb.30:
	v_bfe_u32 v3, v2, 16, 1
	v_add3_u32 v3, v2, v3, 0x7fff
                                        ; implicit-def: $vgpr2
; %bb.31:
	s_andn2_saveexec_b32 s2, s2
; %bb.32:
	v_mov_b32_e32 v3, 0
	v_or_b32_e32 v11, 0x10000, v2
	v_cmp_eq_u32_sdwa vcc_lo, v2, v3 src0_sel:WORD_0 src1_sel:DWORD
	v_cndmask_b32_e32 v3, v11, v2, vcc_lo
; %bb.33:
	s_or_b32 exec_lo, exec_lo, s2
	v_and_b32_e32 v2, 0xffff0000, v3
	s_mov_b32 s2, exec_lo
	v_fmac_f32_e32 v2, s4, v8
                                        ; implicit-def: $vgpr8
	v_and_b32_e32 v3, 0x7f800000, v2
	v_cmpx_ne_u32_e32 0x7f800000, v3
	s_xor_b32 s2, exec_lo, s2
; %bb.34:
	v_bfe_u32 v3, v2, 16, 1
	v_add3_u32 v8, v2, v3, 0x7fff
                                        ; implicit-def: $vgpr2
; %bb.35:
	s_andn2_saveexec_b32 s2, s2
; %bb.36:
	v_mov_b32_e32 v3, 0
	v_or_b32_e32 v8, 0x10000, v2
	v_cmp_eq_u32_sdwa vcc_lo, v2, v3 src0_sel:WORD_0 src1_sel:DWORD
	v_cndmask_b32_e32 v8, v8, v2, vcc_lo
; %bb.37:
	s_or_b32 exec_lo, exec_lo, s2
	s_lshl_b64 s[2:3], s[14:15], 5
	flat_store_short_d16_hi v[4:5], v8 offset:32
	v_add_co_u32 v2, vcc_lo, v12, s2
	v_add_co_ci_u32_e64 v3, null, s3, v13, vcc_lo
	v_add_co_u32 v2, vcc_lo, v2, v0
	v_add_co_ci_u32_e64 v3, null, v3, v1, vcc_lo
	flat_load_ushort v4, v[2:3]
	s_waitcnt vmcnt(0) lgkmcnt(0)
	v_lshlrev_b32_e32 v4, 16, v4
	v_mul_f32_e32 v4, s8, v4
	v_and_b32_e32 v5, 0x7f800000, v4
	v_cmp_ne_u32_e32 vcc_lo, 0x7f800000, v5
                                        ; implicit-def: $vgpr5
	s_and_saveexec_b32 s2, vcc_lo
	s_xor_b32 s2, exec_lo, s2
; %bb.38:
	v_bfe_u32 v5, v4, 16, 1
	v_add3_u32 v5, v4, v5, 0x7fff
                                        ; implicit-def: $vgpr4
; %bb.39:
	s_andn2_saveexec_b32 s2, s2
; %bb.40:
	v_mov_b32_e32 v5, 0
	v_or_b32_e32 v8, 0x10000, v4
	v_cmp_eq_u32_sdwa vcc_lo, v4, v5 src0_sel:WORD_0 src1_sel:DWORD
	v_cndmask_b32_e32 v5, v8, v4, vcc_lo
; %bb.41:
	s_or_b32 exec_lo, exec_lo, s2
	v_and_b32_e32 v5, 0xffff0000, v5
	v_fmac_f32_e32 v5, s4, v7
	v_and_b32_e32 v4, 0x7f800000, v5
	v_cmp_ne_u32_e32 vcc_lo, 0x7f800000, v4
                                        ; implicit-def: $vgpr4
	s_and_saveexec_b32 s2, vcc_lo
	s_xor_b32 s2, exec_lo, s2
; %bb.42:
	v_bfe_u32 v4, v5, 16, 1
	v_add3_u32 v4, v5, v4, 0x7fff
                                        ; implicit-def: $vgpr5
; %bb.43:
	s_andn2_saveexec_b32 s2, s2
; %bb.44:
	v_mov_b32_e32 v4, 0
	v_or_b32_e32 v7, 0x10000, v5
	v_cmp_eq_u32_sdwa vcc_lo, v5, v4 src0_sel:WORD_0 src1_sel:DWORD
	v_cndmask_b32_e32 v4, v7, v5, vcc_lo
; %bb.45:
	s_or_b32 exec_lo, exec_lo, s2
	s_lshl_b64 s[0:1], s[0:1], 5
	v_add_co_u32 v5, vcc_lo, v9, s0
	v_add_co_ci_u32_e64 v7, null, s1, v10, vcc_lo
	v_add_co_u32 v0, vcc_lo, v5, v0
	v_add_co_ci_u32_e64 v1, null, v7, v1, vcc_lo
	flat_store_short_d16_hi v[0:1], v4
	flat_load_ushort v2, v[2:3] offset:32
	s_waitcnt vmcnt(0) lgkmcnt(0)
	v_lshlrev_b32_e32 v2, 16, v2
	v_mul_f32_e32 v2, s8, v2
	v_and_b32_e32 v3, 0x7f800000, v2
	v_cmp_ne_u32_e32 vcc_lo, 0x7f800000, v3
                                        ; implicit-def: $vgpr3
	s_and_saveexec_b32 s0, vcc_lo
	s_xor_b32 s0, exec_lo, s0
; %bb.46:
	v_bfe_u32 v3, v2, 16, 1
	v_add3_u32 v3, v2, v3, 0x7fff
                                        ; implicit-def: $vgpr2
; %bb.47:
	s_andn2_saveexec_b32 s0, s0
; %bb.48:
	v_mov_b32_e32 v3, 0
	v_or_b32_e32 v4, 0x10000, v2
	v_cmp_eq_u32_sdwa vcc_lo, v2, v3 src0_sel:WORD_0 src1_sel:DWORD
	v_cndmask_b32_e32 v3, v4, v2, vcc_lo
; %bb.49:
	s_or_b32 exec_lo, exec_lo, s0
	v_and_b32_e32 v2, 0xffff0000, v3
	v_fmac_f32_e32 v2, s4, v6
	v_and_b32_e32 v3, 0x7f800000, v2
	v_cmp_ne_u32_e32 vcc_lo, 0x7f800000, v3
                                        ; implicit-def: $vgpr3
	s_and_saveexec_b32 s0, vcc_lo
	s_xor_b32 s0, exec_lo, s0
	s_cbranch_execnz .LBB157_54
; %bb.50:
	s_andn2_saveexec_b32 s0, s0
	s_cbranch_execnz .LBB157_55
.LBB157_51:
	s_or_b32 exec_lo, exec_lo, s0
	flat_store_short_d16_hi v[0:1], v3 offset:32
	s_endpgm
.LBB157_52:
	s_cbranch_execnz .LBB157_21
.LBB157_53:
	s_endpgm
.LBB157_54:
	v_bfe_u32 v3, v2, 16, 1
	v_add3_u32 v3, v2, v3, 0x7fff
                                        ; implicit-def: $vgpr2
	s_andn2_saveexec_b32 s0, s0
	s_cbranch_execz .LBB157_51
.LBB157_55:
	v_mov_b32_e32 v3, 0
	v_or_b32_e32 v4, 0x10000, v2
	v_cmp_eq_u32_sdwa vcc_lo, v2, v3 src0_sel:WORD_0 src1_sel:DWORD
	v_cndmask_b32_e32 v3, v4, v2, vcc_lo
	s_or_b32 exec_lo, exec_lo, s0
	flat_store_short_d16_hi v[0:1], v3 offset:32
	s_endpgm
	.section	.rodata,"a",@progbits
	.p2align	6, 0x0
	.amdhsa_kernel _ZN12_GLOBAL__N_127rocblas_gemm_batched_kernelIfLi16ELi16ELi32ELi32ELi8ELi32ELi8ELi8ELi32ELc84ELc67EKPK16rocblas_bfloat16S4_KPS1_EEvlllT_PT11_llS9_llS7_PT12_llPT13_lli
		.amdhsa_group_segment_fixed_size 2048
		.amdhsa_private_segment_fixed_size 0
		.amdhsa_kernarg_size 140
		.amdhsa_user_sgpr_count 6
		.amdhsa_user_sgpr_private_segment_buffer 1
		.amdhsa_user_sgpr_dispatch_ptr 0
		.amdhsa_user_sgpr_queue_ptr 0
		.amdhsa_user_sgpr_kernarg_segment_ptr 1
		.amdhsa_user_sgpr_dispatch_id 0
		.amdhsa_user_sgpr_flat_scratch_init 0
		.amdhsa_user_sgpr_private_segment_size 0
		.amdhsa_wavefront_size32 1
		.amdhsa_uses_dynamic_stack 0
		.amdhsa_system_sgpr_private_segment_wavefront_offset 0
		.amdhsa_system_sgpr_workgroup_id_x 1
		.amdhsa_system_sgpr_workgroup_id_y 1
		.amdhsa_system_sgpr_workgroup_id_z 1
		.amdhsa_system_sgpr_workgroup_info 0
		.amdhsa_system_vgpr_workitem_id 1
		.amdhsa_next_free_vgpr 46
		.amdhsa_next_free_sgpr 36
		.amdhsa_reserve_vcc 1
		.amdhsa_reserve_flat_scratch 0
		.amdhsa_float_round_mode_32 0
		.amdhsa_float_round_mode_16_64 0
		.amdhsa_float_denorm_mode_32 3
		.amdhsa_float_denorm_mode_16_64 3
		.amdhsa_dx10_clamp 1
		.amdhsa_ieee_mode 1
		.amdhsa_fp16_overflow 0
		.amdhsa_workgroup_processor_mode 1
		.amdhsa_memory_ordered 1
		.amdhsa_forward_progress 1
		.amdhsa_shared_vgpr_count 0
		.amdhsa_exception_fp_ieee_invalid_op 0
		.amdhsa_exception_fp_denorm_src 0
		.amdhsa_exception_fp_ieee_div_zero 0
		.amdhsa_exception_fp_ieee_overflow 0
		.amdhsa_exception_fp_ieee_underflow 0
		.amdhsa_exception_fp_ieee_inexact 0
		.amdhsa_exception_int_div_zero 0
	.end_amdhsa_kernel
	.section	.text._ZN12_GLOBAL__N_127rocblas_gemm_batched_kernelIfLi16ELi16ELi32ELi32ELi8ELi32ELi8ELi8ELi32ELc84ELc67EKPK16rocblas_bfloat16S4_KPS1_EEvlllT_PT11_llS9_llS7_PT12_llPT13_lli,"axG",@progbits,_ZN12_GLOBAL__N_127rocblas_gemm_batched_kernelIfLi16ELi16ELi32ELi32ELi8ELi32ELi8ELi8ELi32ELc84ELc67EKPK16rocblas_bfloat16S4_KPS1_EEvlllT_PT11_llS9_llS7_PT12_llPT13_lli,comdat
.Lfunc_end157:
	.size	_ZN12_GLOBAL__N_127rocblas_gemm_batched_kernelIfLi16ELi16ELi32ELi32ELi8ELi32ELi8ELi8ELi32ELc84ELc67EKPK16rocblas_bfloat16S4_KPS1_EEvlllT_PT11_llS9_llS7_PT12_llPT13_lli, .Lfunc_end157-_ZN12_GLOBAL__N_127rocblas_gemm_batched_kernelIfLi16ELi16ELi32ELi32ELi8ELi32ELi8ELi8ELi32ELc84ELc67EKPK16rocblas_bfloat16S4_KPS1_EEvlllT_PT11_llS9_llS7_PT12_llPT13_lli
                                        ; -- End function
	.set _ZN12_GLOBAL__N_127rocblas_gemm_batched_kernelIfLi16ELi16ELi32ELi32ELi8ELi32ELi8ELi8ELi32ELc84ELc67EKPK16rocblas_bfloat16S4_KPS1_EEvlllT_PT11_llS9_llS7_PT12_llPT13_lli.num_vgpr, 46
	.set _ZN12_GLOBAL__N_127rocblas_gemm_batched_kernelIfLi16ELi16ELi32ELi32ELi8ELi32ELi8ELi8ELi32ELc84ELc67EKPK16rocblas_bfloat16S4_KPS1_EEvlllT_PT11_llS9_llS7_PT12_llPT13_lli.num_agpr, 0
	.set _ZN12_GLOBAL__N_127rocblas_gemm_batched_kernelIfLi16ELi16ELi32ELi32ELi8ELi32ELi8ELi8ELi32ELc84ELc67EKPK16rocblas_bfloat16S4_KPS1_EEvlllT_PT11_llS9_llS7_PT12_llPT13_lli.numbered_sgpr, 36
	.set _ZN12_GLOBAL__N_127rocblas_gemm_batched_kernelIfLi16ELi16ELi32ELi32ELi8ELi32ELi8ELi8ELi32ELc84ELc67EKPK16rocblas_bfloat16S4_KPS1_EEvlllT_PT11_llS9_llS7_PT12_llPT13_lli.num_named_barrier, 0
	.set _ZN12_GLOBAL__N_127rocblas_gemm_batched_kernelIfLi16ELi16ELi32ELi32ELi8ELi32ELi8ELi8ELi32ELc84ELc67EKPK16rocblas_bfloat16S4_KPS1_EEvlllT_PT11_llS9_llS7_PT12_llPT13_lli.private_seg_size, 0
	.set _ZN12_GLOBAL__N_127rocblas_gemm_batched_kernelIfLi16ELi16ELi32ELi32ELi8ELi32ELi8ELi8ELi32ELc84ELc67EKPK16rocblas_bfloat16S4_KPS1_EEvlllT_PT11_llS9_llS7_PT12_llPT13_lli.uses_vcc, 1
	.set _ZN12_GLOBAL__N_127rocblas_gemm_batched_kernelIfLi16ELi16ELi32ELi32ELi8ELi32ELi8ELi8ELi32ELc84ELc67EKPK16rocblas_bfloat16S4_KPS1_EEvlllT_PT11_llS9_llS7_PT12_llPT13_lli.uses_flat_scratch, 0
	.set _ZN12_GLOBAL__N_127rocblas_gemm_batched_kernelIfLi16ELi16ELi32ELi32ELi8ELi32ELi8ELi8ELi32ELc84ELc67EKPK16rocblas_bfloat16S4_KPS1_EEvlllT_PT11_llS9_llS7_PT12_llPT13_lli.has_dyn_sized_stack, 0
	.set _ZN12_GLOBAL__N_127rocblas_gemm_batched_kernelIfLi16ELi16ELi32ELi32ELi8ELi32ELi8ELi8ELi32ELc84ELc67EKPK16rocblas_bfloat16S4_KPS1_EEvlllT_PT11_llS9_llS7_PT12_llPT13_lli.has_recursion, 0
	.set _ZN12_GLOBAL__N_127rocblas_gemm_batched_kernelIfLi16ELi16ELi32ELi32ELi8ELi32ELi8ELi8ELi32ELc84ELc67EKPK16rocblas_bfloat16S4_KPS1_EEvlllT_PT11_llS9_llS7_PT12_llPT13_lli.has_indirect_call, 0
	.section	.AMDGPU.csdata,"",@progbits
; Kernel info:
; codeLenInByte = 2428
; TotalNumSgprs: 38
; NumVgprs: 46
; ScratchSize: 0
; MemoryBound: 0
; FloatMode: 240
; IeeeMode: 1
; LDSByteSize: 2048 bytes/workgroup (compile time only)
; SGPRBlocks: 0
; VGPRBlocks: 5
; NumSGPRsForWavesPerEU: 38
; NumVGPRsForWavesPerEU: 46
; Occupancy: 16
; WaveLimiterHint : 1
; COMPUTE_PGM_RSRC2:SCRATCH_EN: 0
; COMPUTE_PGM_RSRC2:USER_SGPR: 6
; COMPUTE_PGM_RSRC2:TRAP_HANDLER: 0
; COMPUTE_PGM_RSRC2:TGID_X_EN: 1
; COMPUTE_PGM_RSRC2:TGID_Y_EN: 1
; COMPUTE_PGM_RSRC2:TGID_Z_EN: 1
; COMPUTE_PGM_RSRC2:TIDIG_COMP_CNT: 1
	.section	.text._ZN12_GLOBAL__N_135rocblas_gemm_batched_general_kernelIfLi16ELi16ELi32ELi32ELi8ELi32ELi8ELi8ELi32ELc78ELc78EKPK16rocblas_bfloat16S4_KPS1_EEvlllT_PT11_llS9_llS7_PT12_llPT13_lli,"axG",@progbits,_ZN12_GLOBAL__N_135rocblas_gemm_batched_general_kernelIfLi16ELi16ELi32ELi32ELi8ELi32ELi8ELi8ELi32ELc78ELc78EKPK16rocblas_bfloat16S4_KPS1_EEvlllT_PT11_llS9_llS7_PT12_llPT13_lli,comdat
	.globl	_ZN12_GLOBAL__N_135rocblas_gemm_batched_general_kernelIfLi16ELi16ELi32ELi32ELi8ELi32ELi8ELi8ELi32ELc78ELc78EKPK16rocblas_bfloat16S4_KPS1_EEvlllT_PT11_llS9_llS7_PT12_llPT13_lli ; -- Begin function _ZN12_GLOBAL__N_135rocblas_gemm_batched_general_kernelIfLi16ELi16ELi32ELi32ELi8ELi32ELi8ELi8ELi32ELc78ELc78EKPK16rocblas_bfloat16S4_KPS1_EEvlllT_PT11_llS9_llS7_PT12_llPT13_lli
	.p2align	8
	.type	_ZN12_GLOBAL__N_135rocblas_gemm_batched_general_kernelIfLi16ELi16ELi32ELi32ELi8ELi32ELi8ELi8ELi32ELc78ELc78EKPK16rocblas_bfloat16S4_KPS1_EEvlllT_PT11_llS9_llS7_PT12_llPT13_lli,@function
_ZN12_GLOBAL__N_135rocblas_gemm_batched_general_kernelIfLi16ELi16ELi32ELi32ELi8ELi32ELi8ELi8ELi32ELc78ELc78EKPK16rocblas_bfloat16S4_KPS1_EEvlllT_PT11_llS9_llS7_PT12_llPT13_lli: ; @_ZN12_GLOBAL__N_135rocblas_gemm_batched_general_kernelIfLi16ELi16ELi32ELi32ELi8ELi32ELi8ELi8ELi32ELc78ELc78EKPK16rocblas_bfloat16S4_KPS1_EEvlllT_PT11_llS9_llS7_PT12_llPT13_lli
; %bb.0:
	s_clause 0x1
	s_load_dwordx8 s[12:19], s[4:5], 0x58
	s_load_dwordx2 s[36:37], s[4:5], 0x10
	s_mov_b32 s9, 0
	s_load_dwordx4 s[28:31], s[4:5], 0x0
	s_lshl_b64 s[40:41], s[8:9], 3
	s_load_dwordx4 s[8:11], s[4:5], 0x78
	s_mov_b32 s0, s7
	v_mov_b32_e32 v10, 0
	v_mov_b32_e32 v9, 0
	;; [unrolled: 1-line block ×4, first 2 shown]
	s_waitcnt lgkmcnt(0)
	s_add_u32 s2, s12, s40
	s_addc_u32 s3, s13, s41
	s_add_u32 s18, s18, s40
	s_addc_u32 s19, s19, s41
	s_load_dwordx2 s[12:13], s[2:3], 0x0
	s_load_dwordx2 s[34:35], s[18:19], 0x0
	v_cmp_lt_i64_e64 s2, s[36:37], 1
	s_ashr_i32 s7, s6, 31
	s_ashr_i32 s1, s0, 31
	s_lshl_b64 s[18:19], s[6:7], 5
	s_lshl_b64 s[38:39], s[0:1], 5
	s_and_b32 vcc_lo, exec_lo, s2
	s_cbranch_vccnz .LBB158_7
; %bb.1:
	s_clause 0x1
	s_load_dwordx4 s[0:3], s[4:5], 0x40
	s_load_dwordx8 s[20:27], s[4:5], 0x20
	v_lshl_add_u32 v2, v1, 4, v0
	v_mov_b32_e32 v3, s19
	v_and_b32_e32 v6, 7, v0
	v_mov_b32_e32 v7, 0
	v_lshlrev_b32_e32 v11, 2, v0
	v_lshrrev_b32_e32 v10, 3, v2
	v_lshrrev_b32_e32 v13, 5, v2
	v_and_b32_e32 v18, 31, v2
	v_lshlrev_b32_e32 v14, 2, v6
	v_lshl_add_u32 v12, v1, 5, 0x400
	v_add_co_u32 v4, s33, v10, s38
	v_add_co_ci_u32_e64 v5, null, 0, s39, s33
	v_or_b32_e32 v2, s18, v18
	v_lshlrev_b32_e32 v15, 2, v18
	v_lshl_or_b32 v10, v10, 5, v14
	s_waitcnt lgkmcnt(0)
	v_mul_lo_u32 v19, s1, v4
	v_mad_u64_u32 v[8:9], null, s22, v13, 0
	v_mul_lo_u32 v20, s0, v5
	v_mad_u64_u32 v[16:17], null, s0, v4, 0
	v_cmp_gt_i64_e64 s0, s[28:29], v[2:3]
	s_add_u32 s26, s26, s40
	s_addc_u32 s27, s27, s41
	v_mov_b32_e32 v2, v9
	s_add_u32 s20, s20, s40
	v_cmp_gt_i64_e64 s1, s[30:31], v[4:5]
	v_add3_u32 v17, v17, v20, v19
	s_load_dwordx2 s[26:27], s[26:27], 0x0
	v_mad_u64_u32 v[2:3], null, s23, v13, v[2:3]
	s_addc_u32 s21, s21, s41
	v_lshlrev_b64 v[3:4], 1, v[16:17]
	s_load_dwordx2 s[20:21], s[20:21], 0x0
	s_lshl_b64 s[2:3], s[2:3], 1
	v_lshl_or_b32 v14, v13, 7, v15
	v_add_nc_u32_e32 v15, 0x400, v10
	v_mov_b32_e32 v9, v2
	v_add_co_u32 v5, vcc_lo, v3, s2
	v_add_co_ci_u32_e64 v4, null, s3, v4, vcc_lo
	v_lshlrev_b64 v[2:3], 1, v[8:9]
	s_lshl_b64 s[2:3], s[6:7], 6
	s_lshl_b64 s[6:7], s[24:25], 1
	v_lshlrev_b32_e32 v8, 1, v6
	s_add_u32 s2, s6, s2
	s_addc_u32 s3, s7, s3
	v_add_co_u32 v2, vcc_lo, s2, v2
	v_lshlrev_b32_e32 v9, 1, v18
	v_add_co_ci_u32_e64 v3, null, s3, v3, vcc_lo
	v_add_co_u32 v5, vcc_lo, v5, v8
	v_add_co_ci_u32_e64 v4, null, 0, v4, vcc_lo
	v_add_co_u32 v8, vcc_lo, v2, v9
	v_add_co_ci_u32_e64 v9, null, 0, v3, vcc_lo
	s_waitcnt lgkmcnt(0)
	v_add_co_u32 v2, vcc_lo, s26, v5
	v_add_co_ci_u32_e64 v3, null, s27, v4, vcc_lo
	v_add_co_u32 v4, vcc_lo, s20, v8
	v_add_co_ci_u32_e64 v5, null, s21, v9, vcc_lo
	v_mov_b32_e32 v8, 0
	v_mov_b32_e32 v9, 0
	;; [unrolled: 1-line block ×3, first 2 shown]
	s_lshl_b64 s[2:3], s[22:23], 4
	s_mov_b64 s[6:7], 0
	s_branch .LBB158_3
.LBB158_2:                              ;   in Loop: Header=BB158_3 Depth=1
	s_or_b32 exec_lo, exec_lo, s20
	ds_write_b32 v15, v17
	s_waitcnt lgkmcnt(0)
	s_barrier
	buffer_gl0_inv
	ds_read_b128 v[16:19], v12
	ds_read2_b32 v[32:33], v11 offset1:16
	ds_read_b128 v[20:23], v12 offset:512
	ds_read2_b32 v[34:35], v11 offset0:32 offset1:48
	ds_read2_b32 v[36:37], v11 offset0:64 offset1:80
	;; [unrolled: 1-line block ×3, first 2 shown]
	ds_read_b128 v[24:27], v12 offset:16
	ds_read2_b32 v[40:41], v11 offset0:128 offset1:144
	ds_read_b128 v[28:31], v12 offset:528
	ds_read2_b32 v[42:43], v11 offset0:160 offset1:176
	s_add_u32 s6, s6, 8
	s_addc_u32 s7, s7, 0
	v_add_co_u32 v2, vcc_lo, v2, 16
	v_cmp_lt_i64_e64 s20, s[6:7], s[36:37]
	v_add_co_ci_u32_e64 v3, null, 0, v3, vcc_lo
	v_add_co_u32 v4, vcc_lo, v4, s2
	v_add_co_ci_u32_e64 v5, null, s3, v5, vcc_lo
	s_waitcnt lgkmcnt(8)
	v_fmac_f32_e32 v10, v32, v16
	v_fmac_f32_e32 v9, v33, v16
	s_waitcnt lgkmcnt(7)
	v_fmac_f32_e32 v8, v32, v20
	v_fmac_f32_e32 v7, v33, v20
	ds_read2_b32 v[32:33], v11 offset0:192 offset1:208
	s_waitcnt lgkmcnt(7)
	v_fmac_f32_e32 v10, v34, v17
	v_fmac_f32_e32 v9, v35, v17
	;; [unrolled: 1-line block ×4, first 2 shown]
	ds_read2_b32 v[16:17], v11 offset0:224 offset1:240
	s_waitcnt lgkmcnt(7)
	v_fmac_f32_e32 v10, v36, v18
	v_fmac_f32_e32 v9, v37, v18
	v_fmac_f32_e32 v8, v36, v22
	v_fmac_f32_e32 v7, v37, v22
	s_and_b32 vcc_lo, exec_lo, s20
	s_waitcnt lgkmcnt(6)
	v_fmac_f32_e32 v10, v38, v19
	v_fmac_f32_e32 v9, v39, v19
	;; [unrolled: 1-line block ×4, first 2 shown]
	s_waitcnt lgkmcnt(0)
	v_fmac_f32_e32 v10, v40, v24
	v_fmac_f32_e32 v9, v41, v24
	;; [unrolled: 1-line block ×4, first 2 shown]
	s_barrier
	v_fmac_f32_e32 v10, v42, v25
	v_fmac_f32_e32 v9, v43, v25
	v_fmac_f32_e32 v8, v42, v29
	v_fmac_f32_e32 v7, v43, v29
	buffer_gl0_inv
	v_fmac_f32_e32 v10, v32, v26
	v_fmac_f32_e32 v9, v33, v26
	;; [unrolled: 1-line block ×8, first 2 shown]
	s_cbranch_vccz .LBB158_7
.LBB158_3:                              ; =>This Inner Loop Header: Depth=1
	v_add_co_u32 v16, s20, v13, s6
	v_add_co_ci_u32_e64 v17, null, 0, s7, s20
	v_cmp_gt_i64_e32 vcc_lo, s[36:37], v[16:17]
	v_mov_b32_e32 v16, 0
	s_and_b32 s21, s0, vcc_lo
	s_and_saveexec_b32 s20, s21
	s_cbranch_execz .LBB158_5
; %bb.4:                                ;   in Loop: Header=BB158_3 Depth=1
	flat_load_ushort v16, v[4:5]
	s_waitcnt vmcnt(0) lgkmcnt(0)
	v_lshlrev_b32_e32 v16, 16, v16
.LBB158_5:                              ;   in Loop: Header=BB158_3 Depth=1
	s_or_b32 exec_lo, exec_lo, s20
	v_add_co_u32 v17, s20, v6, s6
	v_add_co_ci_u32_e64 v18, null, 0, s7, s20
	ds_write_b32 v14, v16
	v_cmp_gt_i64_e32 vcc_lo, s[36:37], v[17:18]
	v_mov_b32_e32 v17, 0
	s_and_b32 s21, vcc_lo, s1
	s_and_saveexec_b32 s20, s21
	s_cbranch_execz .LBB158_2
; %bb.6:                                ;   in Loop: Header=BB158_3 Depth=1
	flat_load_ushort v16, v[2:3]
	s_waitcnt vmcnt(0) lgkmcnt(0)
	v_lshlrev_b32_e32 v17, 16, v16
	s_branch .LBB158_2
.LBB158_7:
	s_clause 0x1
	s_load_dword s6, s[4:5], 0x50
	s_load_dword s3, s[4:5], 0x18
	v_add_co_u32 v1, s2, s38, v1
	v_add_co_ci_u32_e64 v2, null, s39, 0, s2
	s_lshl_b64 s[0:1], s[10:11], 1
	s_waitcnt lgkmcnt(0)
	s_add_u32 s4, s34, s0
	v_cmp_gt_i64_e64 s0, s[30:31], v[1:2]
	s_addc_u32 s5, s35, s1
	v_cmp_neq_f32_e64 s2, s6, 0
	s_and_b32 vcc_lo, exec_lo, s2
	s_cbranch_vccnz .LBB158_28
; %bb.8:
	s_and_saveexec_b32 s7, s0
	s_cbranch_execz .LBB158_26
; %bb.9:
	v_mul_lo_u32 v3, v2, s8
	v_mul_lo_u32 v4, v1, s9
	v_mad_u64_u32 v[5:6], null, v1, s8, 0
	v_add3_u32 v6, v6, v4, v3
	v_add_co_u32 v3, s1, s18, v0
	v_add_co_ci_u32_e64 v4, null, s19, 0, s1
	v_lshlrev_b64 v[5:6], 1, v[5:6]
	v_cmp_gt_i64_e32 vcc_lo, s[28:29], v[3:4]
	v_add_co_u32 v5, s1, s4, v5
	v_add_co_ci_u32_e64 v6, null, s5, v6, s1
	s_and_saveexec_b32 s2, vcc_lo
	s_cbranch_execz .LBB158_15
; %bb.10:
	v_mul_f32_e32 v12, s3, v10
	v_and_b32_e32 v11, 0x7f800000, v12
	v_cmp_ne_u32_e64 s1, 0x7f800000, v11
                                        ; implicit-def: $vgpr11
	s_and_saveexec_b32 s10, s1
	s_xor_b32 s1, exec_lo, s10
; %bb.11:
	v_bfe_u32 v11, v12, 16, 1
	v_add3_u32 v11, v12, v11, 0x7fff
                                        ; implicit-def: $vgpr12
; %bb.12:
	s_andn2_saveexec_b32 s10, s1
; %bb.13:
	v_mov_b32_e32 v11, 0
	v_or_b32_e32 v13, 0x10000, v12
	v_cmp_eq_u32_sdwa s1, v12, v11 src0_sel:WORD_0 src1_sel:DWORD
	v_cndmask_b32_e64 v11, v13, v12, s1
; %bb.14:
	s_or_b32 exec_lo, exec_lo, s10
	v_lshlrev_b64 v[12:13], 1, v[3:4]
	v_add_co_u32 v12, s1, v5, v12
	v_add_co_ci_u32_e64 v13, null, v6, v13, s1
	flat_store_short_d16_hi v[12:13], v11
.LBB158_15:
	s_or_b32 exec_lo, exec_lo, s2
	v_add_co_u32 v11, s1, v3, 16
	v_add_co_ci_u32_e64 v12, null, 0, v4, s1
	v_cmp_gt_i64_e64 s1, s[28:29], v[11:12]
	s_and_saveexec_b32 s10, s1
	s_cbranch_execz .LBB158_21
; %bb.16:
	v_mul_f32_e32 v12, s3, v9
	v_and_b32_e32 v11, 0x7f800000, v12
	v_cmp_ne_u32_e64 s2, 0x7f800000, v11
                                        ; implicit-def: $vgpr11
	s_and_saveexec_b32 s11, s2
	s_xor_b32 s2, exec_lo, s11
; %bb.17:
	v_bfe_u32 v11, v12, 16, 1
	v_add3_u32 v11, v12, v11, 0x7fff
                                        ; implicit-def: $vgpr12
; %bb.18:
	s_andn2_saveexec_b32 s11, s2
; %bb.19:
	v_mov_b32_e32 v11, 0
	v_or_b32_e32 v13, 0x10000, v12
	v_cmp_eq_u32_sdwa s2, v12, v11 src0_sel:WORD_0 src1_sel:DWORD
	v_cndmask_b32_e64 v11, v13, v12, s2
; %bb.20:
	s_or_b32 exec_lo, exec_lo, s11
	v_lshlrev_b64 v[12:13], 1, v[3:4]
	v_add_co_u32 v12, s2, v5, v12
	v_add_co_ci_u32_e64 v13, null, v6, v13, s2
	flat_store_short_d16_hi v[12:13], v11 offset:32
.LBB158_21:
	s_or_b32 exec_lo, exec_lo, s10
	v_add_co_u32 v11, s2, v1, 16
	v_add_co_ci_u32_e64 v12, null, 0, v2, s2
	v_cmp_gt_i64_e64 s2, s[30:31], v[11:12]
	s_and_b32 exec_lo, exec_lo, s2
	s_cbranch_execz .LBB158_26
; %bb.22:
	s_lshl_b64 s[10:11], s[8:9], 5
	v_lshlrev_b64 v[3:4], 1, v[3:4]
	v_add_co_u32 v5, s2, v5, s10
	v_add_co_ci_u32_e64 v6, null, s11, v6, s2
	v_add_co_u32 v3, s2, v5, v3
	v_add_co_ci_u32_e64 v4, null, v6, v4, s2
	s_and_saveexec_b32 s2, vcc_lo
	s_cbranch_execz .LBB158_24
; %bb.23:
	v_mul_f32_e32 v5, s3, v8
	v_mov_b32_e32 v11, 0
	v_bfe_u32 v6, v5, 16, 1
	v_or_b32_e32 v12, 0x10000, v5
	v_and_b32_e32 v13, 0x7f800000, v5
	v_cmp_eq_u32_sdwa vcc_lo, v5, v11 src0_sel:WORD_0 src1_sel:DWORD
	v_add3_u32 v6, v5, v6, 0x7fff
	v_cndmask_b32_e32 v5, v12, v5, vcc_lo
	v_cmp_eq_u32_e32 vcc_lo, 0x7f800000, v13
	v_cndmask_b32_e32 v5, v6, v5, vcc_lo
	flat_store_short_d16_hi v[3:4], v5
.LBB158_24:
	s_or_b32 exec_lo, exec_lo, s2
	s_and_b32 exec_lo, exec_lo, s1
	s_cbranch_execz .LBB158_26
; %bb.25:
	v_mul_f32_e32 v5, s3, v7
	v_mov_b32_e32 v11, 0
	v_bfe_u32 v6, v5, 16, 1
	v_or_b32_e32 v12, 0x10000, v5
	v_and_b32_e32 v13, 0x7f800000, v5
	v_cmp_eq_u32_sdwa vcc_lo, v5, v11 src0_sel:WORD_0 src1_sel:DWORD
	v_add3_u32 v6, v5, v6, 0x7fff
	v_cndmask_b32_e32 v5, v12, v5, vcc_lo
	v_cmp_eq_u32_e32 vcc_lo, 0x7f800000, v13
	v_cndmask_b32_e32 v5, v6, v5, vcc_lo
	flat_store_short_d16_hi v[3:4], v5 offset:32
.LBB158_26:
	s_or_b32 exec_lo, exec_lo, s7
	s_cbranch_execz .LBB158_29
.LBB158_27:
	s_endpgm
.LBB158_28:
.LBB158_29:
	s_and_saveexec_b32 s1, s0
	s_cbranch_execz .LBB158_27
; %bb.30:
	v_mul_lo_u32 v5, v2, s14
	v_mul_lo_u32 v6, v1, s15
	v_mad_u64_u32 v[3:4], null, v1, s14, 0
	v_mul_lo_u32 v13, v2, s8
	v_mul_lo_u32 v14, v1, s9
	v_mad_u64_u32 v[11:12], null, v1, s8, 0
	s_lshl_b64 s[0:1], s[16:17], 1
	v_add3_u32 v4, v4, v6, v5
	v_add_co_u32 v5, s2, s18, v0
	v_add_co_ci_u32_e64 v6, null, s19, 0, s2
	v_add3_u32 v12, v12, v14, v13
	v_lshlrev_b64 v[3:4], 1, v[3:4]
	s_add_u32 s0, s12, s0
	s_addc_u32 s1, s13, s1
	v_cmp_gt_i64_e32 vcc_lo, s[28:29], v[5:6]
	v_lshlrev_b64 v[12:13], 1, v[11:12]
	v_add_co_u32 v0, s0, s0, v3
	v_add_co_ci_u32_e64 v11, null, s1, v4, s0
	v_add_co_u32 v12, s0, s4, v12
	v_lshlrev_b64 v[3:4], 1, v[5:6]
	v_add_co_ci_u32_e64 v13, null, s5, v13, s0
	s_and_saveexec_b32 s1, vcc_lo
	s_cbranch_execz .LBB158_40
; %bb.31:
	v_add_co_u32 v14, s0, v0, v3
	v_add_co_ci_u32_e64 v15, null, v11, v4, s0
	flat_load_ushort v14, v[14:15]
	s_waitcnt vmcnt(0) lgkmcnt(0)
	v_lshlrev_b32_e32 v14, 16, v14
	v_mul_f32_e32 v14, s6, v14
	v_and_b32_e32 v15, 0x7f800000, v14
	v_cmp_ne_u32_e64 s0, 0x7f800000, v15
                                        ; implicit-def: $vgpr15
	s_and_saveexec_b32 s2, s0
	s_xor_b32 s0, exec_lo, s2
; %bb.32:
	v_bfe_u32 v15, v14, 16, 1
	v_add3_u32 v15, v14, v15, 0x7fff
                                        ; implicit-def: $vgpr14
; %bb.33:
	s_andn2_saveexec_b32 s2, s0
; %bb.34:
	v_mov_b32_e32 v15, 0
	v_or_b32_e32 v16, 0x10000, v14
	v_cmp_eq_u32_sdwa s0, v14, v15 src0_sel:WORD_0 src1_sel:DWORD
	v_cndmask_b32_e64 v15, v16, v14, s0
; %bb.35:
	s_or_b32 exec_lo, exec_lo, s2
	v_and_b32_e32 v14, 0xffff0000, v15
	v_fmac_f32_e32 v14, s3, v10
	v_and_b32_e32 v10, 0x7f800000, v14
	v_cmp_ne_u32_e64 s0, 0x7f800000, v10
                                        ; implicit-def: $vgpr10
	s_and_saveexec_b32 s2, s0
	s_xor_b32 s0, exec_lo, s2
; %bb.36:
	v_bfe_u32 v10, v14, 16, 1
	v_add3_u32 v10, v14, v10, 0x7fff
                                        ; implicit-def: $vgpr14
; %bb.37:
	s_andn2_saveexec_b32 s2, s0
; %bb.38:
	v_mov_b32_e32 v10, 0
	v_or_b32_e32 v15, 0x10000, v14
	v_cmp_eq_u32_sdwa s0, v14, v10 src0_sel:WORD_0 src1_sel:DWORD
	v_cndmask_b32_e64 v10, v15, v14, s0
; %bb.39:
	s_or_b32 exec_lo, exec_lo, s2
	v_add_co_u32 v14, s0, v12, v3
	v_add_co_ci_u32_e64 v15, null, v13, v4, s0
	flat_store_short_d16_hi v[14:15], v10
.LBB158_40:
	s_or_b32 exec_lo, exec_lo, s1
	v_add_co_u32 v5, s0, v5, 16
	v_add_co_ci_u32_e64 v6, null, 0, v6, s0
	v_cmp_gt_i64_e64 s0, s[28:29], v[5:6]
	s_and_saveexec_b32 s2, s0
	s_cbranch_execz .LBB158_50
; %bb.41:
	v_add_co_u32 v5, s1, v0, v3
	v_add_co_ci_u32_e64 v6, null, v11, v4, s1
	flat_load_ushort v5, v[5:6] offset:32
	s_waitcnt vmcnt(0) lgkmcnt(0)
	v_lshlrev_b32_e32 v5, 16, v5
	v_mul_f32_e32 v5, s6, v5
	v_and_b32_e32 v6, 0x7f800000, v5
	v_cmp_ne_u32_e64 s1, 0x7f800000, v6
                                        ; implicit-def: $vgpr6
	s_and_saveexec_b32 s4, s1
	s_xor_b32 s1, exec_lo, s4
; %bb.42:
	v_bfe_u32 v6, v5, 16, 1
	v_add3_u32 v6, v5, v6, 0x7fff
                                        ; implicit-def: $vgpr5
; %bb.43:
	s_andn2_saveexec_b32 s4, s1
; %bb.44:
	v_mov_b32_e32 v6, 0
	v_or_b32_e32 v10, 0x10000, v5
	v_cmp_eq_u32_sdwa s1, v5, v6 src0_sel:WORD_0 src1_sel:DWORD
	v_cndmask_b32_e64 v6, v10, v5, s1
; %bb.45:
	s_or_b32 exec_lo, exec_lo, s4
	v_and_b32_e32 v5, 0xffff0000, v6
	v_fmac_f32_e32 v5, s3, v9
	v_and_b32_e32 v6, 0x7f800000, v5
	v_cmp_ne_u32_e64 s1, 0x7f800000, v6
                                        ; implicit-def: $vgpr6
	s_and_saveexec_b32 s4, s1
	s_xor_b32 s1, exec_lo, s4
; %bb.46:
	v_bfe_u32 v6, v5, 16, 1
	v_add3_u32 v6, v5, v6, 0x7fff
                                        ; implicit-def: $vgpr5
; %bb.47:
	s_andn2_saveexec_b32 s4, s1
; %bb.48:
	v_mov_b32_e32 v6, 0
	v_or_b32_e32 v9, 0x10000, v5
	v_cmp_eq_u32_sdwa s1, v5, v6 src0_sel:WORD_0 src1_sel:DWORD
	v_cndmask_b32_e64 v6, v9, v5, s1
; %bb.49:
	s_or_b32 exec_lo, exec_lo, s4
	v_add_co_u32 v9, s1, v12, v3
	v_add_co_ci_u32_e64 v10, null, v13, v4, s1
	flat_store_short_d16_hi v[9:10], v6 offset:32
.LBB158_50:
	s_or_b32 exec_lo, exec_lo, s2
	v_add_co_u32 v1, s1, v1, 16
	v_add_co_ci_u32_e64 v2, null, 0, v2, s1
	v_cmp_gt_i64_e64 s1, s[30:31], v[1:2]
	s_and_b32 exec_lo, exec_lo, s1
	s_cbranch_execz .LBB158_27
; %bb.51:
	s_lshl_b64 s[4:5], s[14:15], 5
	v_add_co_u32 v0, s1, v0, s4
	v_add_co_ci_u32_e64 v1, null, s5, v11, s1
	s_lshl_b64 s[4:5], s[8:9], 5
	v_add_co_u32 v2, s1, v12, s4
	v_add_co_ci_u32_e64 v9, null, s5, v13, s1
	v_add_co_u32 v5, s1, v0, v3
	v_add_co_ci_u32_e64 v6, null, v1, v4, s1
	;; [unrolled: 2-line block ×3, first 2 shown]
	s_and_saveexec_b32 s1, vcc_lo
	s_cbranch_execz .LBB158_61
; %bb.52:
	flat_load_ushort v2, v[5:6]
	s_waitcnt vmcnt(0) lgkmcnt(0)
	v_lshlrev_b32_e32 v2, 16, v2
	v_mul_f32_e32 v2, s6, v2
	v_and_b32_e32 v3, 0x7f800000, v2
	v_cmp_ne_u32_e32 vcc_lo, 0x7f800000, v3
                                        ; implicit-def: $vgpr3
	s_and_saveexec_b32 s2, vcc_lo
	s_xor_b32 s2, exec_lo, s2
; %bb.53:
	v_bfe_u32 v3, v2, 16, 1
	v_add3_u32 v3, v2, v3, 0x7fff
                                        ; implicit-def: $vgpr2
; %bb.54:
	s_andn2_saveexec_b32 s2, s2
; %bb.55:
	v_mov_b32_e32 v3, 0
	v_or_b32_e32 v4, 0x10000, v2
	v_cmp_eq_u32_sdwa vcc_lo, v2, v3 src0_sel:WORD_0 src1_sel:DWORD
	v_cndmask_b32_e32 v3, v4, v2, vcc_lo
; %bb.56:
	s_or_b32 exec_lo, exec_lo, s2
	v_and_b32_e32 v2, 0xffff0000, v3
	v_fmac_f32_e32 v2, s3, v8
	v_and_b32_e32 v3, 0x7f800000, v2
	v_cmp_ne_u32_e32 vcc_lo, 0x7f800000, v3
                                        ; implicit-def: $vgpr3
	s_and_saveexec_b32 s2, vcc_lo
	s_xor_b32 s2, exec_lo, s2
; %bb.57:
	v_bfe_u32 v3, v2, 16, 1
	v_add3_u32 v3, v2, v3, 0x7fff
                                        ; implicit-def: $vgpr2
; %bb.58:
	s_andn2_saveexec_b32 s2, s2
; %bb.59:
	v_mov_b32_e32 v3, 0
	v_or_b32_e32 v4, 0x10000, v2
	v_cmp_eq_u32_sdwa vcc_lo, v2, v3 src0_sel:WORD_0 src1_sel:DWORD
	v_cndmask_b32_e32 v3, v4, v2, vcc_lo
; %bb.60:
	s_or_b32 exec_lo, exec_lo, s2
	flat_store_short_d16_hi v[0:1], v3
.LBB158_61:
	s_or_b32 exec_lo, exec_lo, s1
	s_and_b32 exec_lo, exec_lo, s0
	s_cbranch_execz .LBB158_27
; %bb.62:
	flat_load_ushort v2, v[5:6] offset:32
	s_waitcnt vmcnt(0) lgkmcnt(0)
	v_lshlrev_b32_e32 v2, 16, v2
	v_mul_f32_e32 v2, s6, v2
	v_and_b32_e32 v3, 0x7f800000, v2
	v_cmp_ne_u32_e32 vcc_lo, 0x7f800000, v3
                                        ; implicit-def: $vgpr3
	s_and_saveexec_b32 s0, vcc_lo
	s_xor_b32 s0, exec_lo, s0
; %bb.63:
	v_bfe_u32 v3, v2, 16, 1
	v_add3_u32 v3, v2, v3, 0x7fff
                                        ; implicit-def: $vgpr2
; %bb.64:
	s_andn2_saveexec_b32 s0, s0
; %bb.65:
	v_mov_b32_e32 v3, 0
	v_or_b32_e32 v4, 0x10000, v2
	v_cmp_eq_u32_sdwa vcc_lo, v2, v3 src0_sel:WORD_0 src1_sel:DWORD
	v_cndmask_b32_e32 v3, v4, v2, vcc_lo
; %bb.66:
	s_or_b32 exec_lo, exec_lo, s0
	v_and_b32_e32 v2, 0xffff0000, v3
	v_fmac_f32_e32 v2, s3, v7
	v_and_b32_e32 v3, 0x7f800000, v2
	v_cmp_ne_u32_e32 vcc_lo, 0x7f800000, v3
                                        ; implicit-def: $vgpr3
	s_and_saveexec_b32 s0, vcc_lo
	s_xor_b32 s0, exec_lo, s0
; %bb.67:
	v_bfe_u32 v3, v2, 16, 1
	v_add3_u32 v3, v2, v3, 0x7fff
                                        ; implicit-def: $vgpr2
; %bb.68:
	s_andn2_saveexec_b32 s0, s0
; %bb.69:
	v_mov_b32_e32 v3, 0
	v_or_b32_e32 v4, 0x10000, v2
	v_cmp_eq_u32_sdwa vcc_lo, v2, v3 src0_sel:WORD_0 src1_sel:DWORD
	v_cndmask_b32_e32 v3, v4, v2, vcc_lo
; %bb.70:
	s_or_b32 exec_lo, exec_lo, s0
	flat_store_short_d16_hi v[0:1], v3 offset:32
	s_endpgm
	.section	.rodata,"a",@progbits
	.p2align	6, 0x0
	.amdhsa_kernel _ZN12_GLOBAL__N_135rocblas_gemm_batched_general_kernelIfLi16ELi16ELi32ELi32ELi8ELi32ELi8ELi8ELi32ELc78ELc78EKPK16rocblas_bfloat16S4_KPS1_EEvlllT_PT11_llS9_llS7_PT12_llPT13_lli
		.amdhsa_group_segment_fixed_size 2048
		.amdhsa_private_segment_fixed_size 0
		.amdhsa_kernarg_size 140
		.amdhsa_user_sgpr_count 6
		.amdhsa_user_sgpr_private_segment_buffer 1
		.amdhsa_user_sgpr_dispatch_ptr 0
		.amdhsa_user_sgpr_queue_ptr 0
		.amdhsa_user_sgpr_kernarg_segment_ptr 1
		.amdhsa_user_sgpr_dispatch_id 0
		.amdhsa_user_sgpr_flat_scratch_init 0
		.amdhsa_user_sgpr_private_segment_size 0
		.amdhsa_wavefront_size32 1
		.amdhsa_uses_dynamic_stack 0
		.amdhsa_system_sgpr_private_segment_wavefront_offset 0
		.amdhsa_system_sgpr_workgroup_id_x 1
		.amdhsa_system_sgpr_workgroup_id_y 1
		.amdhsa_system_sgpr_workgroup_id_z 1
		.amdhsa_system_sgpr_workgroup_info 0
		.amdhsa_system_vgpr_workitem_id 1
		.amdhsa_next_free_vgpr 44
		.amdhsa_next_free_sgpr 42
		.amdhsa_reserve_vcc 1
		.amdhsa_reserve_flat_scratch 0
		.amdhsa_float_round_mode_32 0
		.amdhsa_float_round_mode_16_64 0
		.amdhsa_float_denorm_mode_32 3
		.amdhsa_float_denorm_mode_16_64 3
		.amdhsa_dx10_clamp 1
		.amdhsa_ieee_mode 1
		.amdhsa_fp16_overflow 0
		.amdhsa_workgroup_processor_mode 1
		.amdhsa_memory_ordered 1
		.amdhsa_forward_progress 1
		.amdhsa_shared_vgpr_count 0
		.amdhsa_exception_fp_ieee_invalid_op 0
		.amdhsa_exception_fp_denorm_src 0
		.amdhsa_exception_fp_ieee_div_zero 0
		.amdhsa_exception_fp_ieee_overflow 0
		.amdhsa_exception_fp_ieee_underflow 0
		.amdhsa_exception_fp_ieee_inexact 0
		.amdhsa_exception_int_div_zero 0
	.end_amdhsa_kernel
	.section	.text._ZN12_GLOBAL__N_135rocblas_gemm_batched_general_kernelIfLi16ELi16ELi32ELi32ELi8ELi32ELi8ELi8ELi32ELc78ELc78EKPK16rocblas_bfloat16S4_KPS1_EEvlllT_PT11_llS9_llS7_PT12_llPT13_lli,"axG",@progbits,_ZN12_GLOBAL__N_135rocblas_gemm_batched_general_kernelIfLi16ELi16ELi32ELi32ELi8ELi32ELi8ELi8ELi32ELc78ELc78EKPK16rocblas_bfloat16S4_KPS1_EEvlllT_PT11_llS9_llS7_PT12_llPT13_lli,comdat
.Lfunc_end158:
	.size	_ZN12_GLOBAL__N_135rocblas_gemm_batched_general_kernelIfLi16ELi16ELi32ELi32ELi8ELi32ELi8ELi8ELi32ELc78ELc78EKPK16rocblas_bfloat16S4_KPS1_EEvlllT_PT11_llS9_llS7_PT12_llPT13_lli, .Lfunc_end158-_ZN12_GLOBAL__N_135rocblas_gemm_batched_general_kernelIfLi16ELi16ELi32ELi32ELi8ELi32ELi8ELi8ELi32ELc78ELc78EKPK16rocblas_bfloat16S4_KPS1_EEvlllT_PT11_llS9_llS7_PT12_llPT13_lli
                                        ; -- End function
	.set _ZN12_GLOBAL__N_135rocblas_gemm_batched_general_kernelIfLi16ELi16ELi32ELi32ELi8ELi32ELi8ELi8ELi32ELc78ELc78EKPK16rocblas_bfloat16S4_KPS1_EEvlllT_PT11_llS9_llS7_PT12_llPT13_lli.num_vgpr, 44
	.set _ZN12_GLOBAL__N_135rocblas_gemm_batched_general_kernelIfLi16ELi16ELi32ELi32ELi8ELi32ELi8ELi8ELi32ELc78ELc78EKPK16rocblas_bfloat16S4_KPS1_EEvlllT_PT11_llS9_llS7_PT12_llPT13_lli.num_agpr, 0
	.set _ZN12_GLOBAL__N_135rocblas_gemm_batched_general_kernelIfLi16ELi16ELi32ELi32ELi8ELi32ELi8ELi8ELi32ELc78ELc78EKPK16rocblas_bfloat16S4_KPS1_EEvlllT_PT11_llS9_llS7_PT12_llPT13_lli.numbered_sgpr, 42
	.set _ZN12_GLOBAL__N_135rocblas_gemm_batched_general_kernelIfLi16ELi16ELi32ELi32ELi8ELi32ELi8ELi8ELi32ELc78ELc78EKPK16rocblas_bfloat16S4_KPS1_EEvlllT_PT11_llS9_llS7_PT12_llPT13_lli.num_named_barrier, 0
	.set _ZN12_GLOBAL__N_135rocblas_gemm_batched_general_kernelIfLi16ELi16ELi32ELi32ELi8ELi32ELi8ELi8ELi32ELc78ELc78EKPK16rocblas_bfloat16S4_KPS1_EEvlllT_PT11_llS9_llS7_PT12_llPT13_lli.private_seg_size, 0
	.set _ZN12_GLOBAL__N_135rocblas_gemm_batched_general_kernelIfLi16ELi16ELi32ELi32ELi8ELi32ELi8ELi8ELi32ELc78ELc78EKPK16rocblas_bfloat16S4_KPS1_EEvlllT_PT11_llS9_llS7_PT12_llPT13_lli.uses_vcc, 1
	.set _ZN12_GLOBAL__N_135rocblas_gemm_batched_general_kernelIfLi16ELi16ELi32ELi32ELi8ELi32ELi8ELi8ELi32ELc78ELc78EKPK16rocblas_bfloat16S4_KPS1_EEvlllT_PT11_llS9_llS7_PT12_llPT13_lli.uses_flat_scratch, 0
	.set _ZN12_GLOBAL__N_135rocblas_gemm_batched_general_kernelIfLi16ELi16ELi32ELi32ELi8ELi32ELi8ELi8ELi32ELc78ELc78EKPK16rocblas_bfloat16S4_KPS1_EEvlllT_PT11_llS9_llS7_PT12_llPT13_lli.has_dyn_sized_stack, 0
	.set _ZN12_GLOBAL__N_135rocblas_gemm_batched_general_kernelIfLi16ELi16ELi32ELi32ELi8ELi32ELi8ELi8ELi32ELc78ELc78EKPK16rocblas_bfloat16S4_KPS1_EEvlllT_PT11_llS9_llS7_PT12_llPT13_lli.has_recursion, 0
	.set _ZN12_GLOBAL__N_135rocblas_gemm_batched_general_kernelIfLi16ELi16ELi32ELi32ELi8ELi32ELi8ELi8ELi32ELc78ELc78EKPK16rocblas_bfloat16S4_KPS1_EEvlllT_PT11_llS9_llS7_PT12_llPT13_lli.has_indirect_call, 0
	.section	.AMDGPU.csdata,"",@progbits
; Kernel info:
; codeLenInByte = 2900
; TotalNumSgprs: 44
; NumVgprs: 44
; ScratchSize: 0
; MemoryBound: 0
; FloatMode: 240
; IeeeMode: 1
; LDSByteSize: 2048 bytes/workgroup (compile time only)
; SGPRBlocks: 0
; VGPRBlocks: 5
; NumSGPRsForWavesPerEU: 44
; NumVGPRsForWavesPerEU: 44
; Occupancy: 16
; WaveLimiterHint : 1
; COMPUTE_PGM_RSRC2:SCRATCH_EN: 0
; COMPUTE_PGM_RSRC2:USER_SGPR: 6
; COMPUTE_PGM_RSRC2:TRAP_HANDLER: 0
; COMPUTE_PGM_RSRC2:TGID_X_EN: 1
; COMPUTE_PGM_RSRC2:TGID_Y_EN: 1
; COMPUTE_PGM_RSRC2:TGID_Z_EN: 1
; COMPUTE_PGM_RSRC2:TIDIG_COMP_CNT: 1
	.section	.text._ZN12_GLOBAL__N_135rocblas_gemm_batched_general_kernelIfLi16ELi16ELi32ELi32ELi8ELi32ELi8ELi8ELi32ELc84ELc78EKPK16rocblas_bfloat16S4_KPS1_EEvlllT_PT11_llS9_llS7_PT12_llPT13_lli,"axG",@progbits,_ZN12_GLOBAL__N_135rocblas_gemm_batched_general_kernelIfLi16ELi16ELi32ELi32ELi8ELi32ELi8ELi8ELi32ELc84ELc78EKPK16rocblas_bfloat16S4_KPS1_EEvlllT_PT11_llS9_llS7_PT12_llPT13_lli,comdat
	.globl	_ZN12_GLOBAL__N_135rocblas_gemm_batched_general_kernelIfLi16ELi16ELi32ELi32ELi8ELi32ELi8ELi8ELi32ELc84ELc78EKPK16rocblas_bfloat16S4_KPS1_EEvlllT_PT11_llS9_llS7_PT12_llPT13_lli ; -- Begin function _ZN12_GLOBAL__N_135rocblas_gemm_batched_general_kernelIfLi16ELi16ELi32ELi32ELi8ELi32ELi8ELi8ELi32ELc84ELc78EKPK16rocblas_bfloat16S4_KPS1_EEvlllT_PT11_llS9_llS7_PT12_llPT13_lli
	.p2align	8
	.type	_ZN12_GLOBAL__N_135rocblas_gemm_batched_general_kernelIfLi16ELi16ELi32ELi32ELi8ELi32ELi8ELi8ELi32ELc84ELc78EKPK16rocblas_bfloat16S4_KPS1_EEvlllT_PT11_llS9_llS7_PT12_llPT13_lli,@function
_ZN12_GLOBAL__N_135rocblas_gemm_batched_general_kernelIfLi16ELi16ELi32ELi32ELi8ELi32ELi8ELi8ELi32ELc84ELc78EKPK16rocblas_bfloat16S4_KPS1_EEvlllT_PT11_llS9_llS7_PT12_llPT13_lli: ; @_ZN12_GLOBAL__N_135rocblas_gemm_batched_general_kernelIfLi16ELi16ELi32ELi32ELi8ELi32ELi8ELi8ELi32ELc84ELc78EKPK16rocblas_bfloat16S4_KPS1_EEvlllT_PT11_llS9_llS7_PT12_llPT13_lli
; %bb.0:
	s_clause 0x1
	s_load_dwordx8 s[12:19], s[4:5], 0x58
	s_load_dwordx2 s[34:35], s[4:5], 0x10
	s_mov_b32 s9, 0
	s_load_dwordx4 s[28:31], s[4:5], 0x0
	s_lshl_b64 s[38:39], s[8:9], 3
	s_load_dwordx4 s[8:11], s[4:5], 0x78
	s_mov_b32 s0, s7
	v_mov_b32_e32 v10, 0
	v_mov_b32_e32 v9, 0
	;; [unrolled: 1-line block ×4, first 2 shown]
	s_waitcnt lgkmcnt(0)
	s_add_u32 s2, s12, s38
	s_addc_u32 s3, s13, s39
	s_add_u32 s18, s18, s38
	s_addc_u32 s19, s19, s39
	s_load_dwordx2 s[12:13], s[2:3], 0x0
	s_load_dwordx2 s[18:19], s[18:19], 0x0
	v_cmp_lt_i64_e64 s2, s[34:35], 1
	s_ashr_i32 s7, s6, 31
	s_ashr_i32 s1, s0, 31
	s_lshl_b64 s[6:7], s[6:7], 5
	s_lshl_b64 s[36:37], s[0:1], 5
	s_and_b32 vcc_lo, exec_lo, s2
	s_cbranch_vccnz .LBB159_7
; %bb.1:
	s_clause 0x1
	s_load_dwordx8 s[20:27], s[4:5], 0x20
	s_load_dwordx4 s[0:3], s[4:5], 0x40
	v_lshl_add_u32 v2, v1, 4, v0
	v_mov_b32_e32 v3, s7
	v_and_b32_e32 v6, 7, v0
	v_mov_b32_e32 v7, 0
	v_lshrrev_b32_e32 v10, 3, v2
	v_and_b32_e32 v8, 31, v2
	v_lshrrev_b32_e32 v11, 5, v2
	v_lshlrev_b32_e32 v12, 2, v6
	v_add_co_u32 v4, s33, v10, s36
	v_add_co_ci_u32_e64 v5, null, 0, s37, s33
	v_or_b32_e32 v2, s6, v8
	v_lshlrev_b32_e32 v13, 2, v8
	v_lshl_or_b32 v10, v10, 5, v12
	s_waitcnt lgkmcnt(0)
	s_add_u32 s26, s26, s38
	v_mul_lo_u32 v14, s1, v4
	v_add_co_u32 v15, s1, s6, v8
	v_add_co_ci_u32_e64 v16, null, s7, 0, s1
	v_mul_lo_u32 v18, s0, v5
	v_mad_u64_u32 v[8:9], null, s0, v4, 0
	v_mul_lo_u32 v19, s23, v15
	v_mul_lo_u32 v20, s22, v16
	v_mad_u64_u32 v[16:17], null, s22, v15, 0
	s_addc_u32 s27, s27, s39
	s_add_u32 s20, s20, s38
	v_add3_u32 v9, v9, v18, v14
	s_load_dwordx2 s[26:27], s[26:27], 0x0
	s_addc_u32 s21, s21, s39
	v_cmp_gt_i64_e64 s0, s[28:29], v[2:3]
	v_add3_u32 v17, v17, v20, v19
	s_load_dwordx2 s[20:21], s[20:21], 0x0
	v_lshlrev_b64 v[2:3], 1, v[8:9]
	v_cmp_gt_i64_e64 s1, s[30:31], v[4:5]
	s_lshl_b64 s[2:3], s[2:3], 1
	v_lshlrev_b64 v[4:5], 1, v[16:17]
	v_lshlrev_b32_e32 v8, 1, v6
	v_lshlrev_b32_e32 v9, 1, v11
	v_add_co_u32 v2, vcc_lo, v2, s2
	v_add_co_ci_u32_e64 v3, null, s3, v3, vcc_lo
	s_lshl_b64 s[2:3], s[24:25], 1
	v_lshl_or_b32 v12, v11, 7, v13
	v_add_co_u32 v4, vcc_lo, v4, s2
	v_add_co_ci_u32_e64 v5, null, s3, v5, vcc_lo
	v_add_co_u32 v2, vcc_lo, v2, v8
	v_add_co_ci_u32_e64 v3, null, 0, v3, vcc_lo
	;; [unrolled: 2-line block ×3, first 2 shown]
	s_waitcnt lgkmcnt(0)
	v_add_co_u32 v2, vcc_lo, s26, v2
	v_add_co_ci_u32_e64 v3, null, s27, v3, vcc_lo
	v_add_co_u32 v4, vcc_lo, s20, v4
	v_add_nc_u32_e32 v13, 0x400, v10
	v_lshlrev_b32_e32 v14, 2, v0
	v_lshl_add_u32 v15, v1, 5, 0x400
	v_add_co_ci_u32_e64 v5, null, s21, v5, vcc_lo
	v_mov_b32_e32 v8, 0
	v_mov_b32_e32 v9, 0
	v_mov_b32_e32 v10, 0
	s_mov_b64 s[2:3], 0
	s_branch .LBB159_3
.LBB159_2:                              ;   in Loop: Header=BB159_3 Depth=1
	s_or_b32 exec_lo, exec_lo, s20
	ds_write_b32 v13, v17
	s_waitcnt lgkmcnt(0)
	s_barrier
	buffer_gl0_inv
	ds_read_b128 v[16:19], v15
	ds_read2_b32 v[32:33], v14 offset1:16
	ds_read_b128 v[20:23], v15 offset:512
	ds_read2_b32 v[34:35], v14 offset0:32 offset1:48
	ds_read2_b32 v[36:37], v14 offset0:64 offset1:80
	;; [unrolled: 1-line block ×3, first 2 shown]
	ds_read_b128 v[24:27], v15 offset:16
	ds_read2_b32 v[40:41], v14 offset0:128 offset1:144
	ds_read_b128 v[28:31], v15 offset:528
	ds_read2_b32 v[42:43], v14 offset0:160 offset1:176
	s_add_u32 s2, s2, 8
	s_addc_u32 s3, s3, 0
	v_add_co_u32 v2, vcc_lo, v2, 16
	v_cmp_lt_i64_e64 s20, s[2:3], s[34:35]
	v_add_co_ci_u32_e64 v3, null, 0, v3, vcc_lo
	v_add_co_u32 v4, vcc_lo, v4, 16
	v_add_co_ci_u32_e64 v5, null, 0, v5, vcc_lo
	s_waitcnt lgkmcnt(8)
	v_fmac_f32_e32 v10, v32, v16
	v_fmac_f32_e32 v9, v33, v16
	s_waitcnt lgkmcnt(7)
	v_fmac_f32_e32 v8, v32, v20
	v_fmac_f32_e32 v7, v33, v20
	ds_read2_b32 v[32:33], v14 offset0:192 offset1:208
	s_waitcnt lgkmcnt(7)
	v_fmac_f32_e32 v10, v34, v17
	v_fmac_f32_e32 v9, v35, v17
	;; [unrolled: 1-line block ×4, first 2 shown]
	ds_read2_b32 v[16:17], v14 offset0:224 offset1:240
	s_waitcnt lgkmcnt(7)
	v_fmac_f32_e32 v10, v36, v18
	v_fmac_f32_e32 v9, v37, v18
	;; [unrolled: 1-line block ×4, first 2 shown]
	s_and_b32 vcc_lo, exec_lo, s20
	s_waitcnt lgkmcnt(6)
	v_fmac_f32_e32 v10, v38, v19
	v_fmac_f32_e32 v9, v39, v19
	;; [unrolled: 1-line block ×4, first 2 shown]
	s_waitcnt lgkmcnt(0)
	v_fmac_f32_e32 v10, v40, v24
	v_fmac_f32_e32 v9, v41, v24
	;; [unrolled: 1-line block ×4, first 2 shown]
	s_barrier
	v_fmac_f32_e32 v10, v42, v25
	v_fmac_f32_e32 v9, v43, v25
	;; [unrolled: 1-line block ×4, first 2 shown]
	buffer_gl0_inv
	v_fmac_f32_e32 v10, v32, v26
	v_fmac_f32_e32 v9, v33, v26
	;; [unrolled: 1-line block ×8, first 2 shown]
	s_cbranch_vccz .LBB159_7
.LBB159_3:                              ; =>This Inner Loop Header: Depth=1
	v_add_co_u32 v16, s20, v11, s2
	v_add_co_ci_u32_e64 v17, null, 0, s3, s20
	v_cmp_gt_i64_e32 vcc_lo, s[34:35], v[16:17]
	v_mov_b32_e32 v16, 0
	s_and_b32 s21, s0, vcc_lo
	s_and_saveexec_b32 s20, s21
	s_cbranch_execz .LBB159_5
; %bb.4:                                ;   in Loop: Header=BB159_3 Depth=1
	flat_load_ushort v16, v[4:5]
	s_waitcnt vmcnt(0) lgkmcnt(0)
	v_lshlrev_b32_e32 v16, 16, v16
.LBB159_5:                              ;   in Loop: Header=BB159_3 Depth=1
	s_or_b32 exec_lo, exec_lo, s20
	v_add_co_u32 v17, s20, v6, s2
	v_add_co_ci_u32_e64 v18, null, 0, s3, s20
	ds_write_b32 v12, v16
	v_cmp_gt_i64_e32 vcc_lo, s[34:35], v[17:18]
	v_mov_b32_e32 v17, 0
	s_and_b32 s21, vcc_lo, s1
	s_and_saveexec_b32 s20, s21
	s_cbranch_execz .LBB159_2
; %bb.6:                                ;   in Loop: Header=BB159_3 Depth=1
	flat_load_ushort v16, v[2:3]
	s_waitcnt vmcnt(0) lgkmcnt(0)
	v_lshlrev_b32_e32 v17, 16, v16
	s_branch .LBB159_2
.LBB159_7:
	s_clause 0x1
	s_load_dword s20, s[4:5], 0x50
	s_load_dword s3, s[4:5], 0x18
	v_add_co_u32 v1, s2, s36, v1
	v_add_co_ci_u32_e64 v2, null, s37, 0, s2
	s_lshl_b64 s[0:1], s[10:11], 1
	s_waitcnt lgkmcnt(0)
	s_add_u32 s4, s18, s0
	v_cmp_gt_i64_e64 s0, s[30:31], v[1:2]
	s_addc_u32 s5, s19, s1
	v_cmp_neq_f32_e64 s2, s20, 0
	s_and_b32 vcc_lo, exec_lo, s2
	s_cbranch_vccnz .LBB159_28
; %bb.8:
	s_and_saveexec_b32 s10, s0
	s_cbranch_execz .LBB159_26
; %bb.9:
	v_mul_lo_u32 v3, v2, s8
	v_mul_lo_u32 v4, v1, s9
	v_mad_u64_u32 v[5:6], null, v1, s8, 0
	v_add3_u32 v6, v6, v4, v3
	v_add_co_u32 v3, s1, s6, v0
	v_add_co_ci_u32_e64 v4, null, s7, 0, s1
	v_lshlrev_b64 v[5:6], 1, v[5:6]
	v_cmp_gt_i64_e32 vcc_lo, s[28:29], v[3:4]
	v_add_co_u32 v5, s1, s4, v5
	v_add_co_ci_u32_e64 v6, null, s5, v6, s1
	s_and_saveexec_b32 s2, vcc_lo
	s_cbranch_execz .LBB159_15
; %bb.10:
	v_mul_f32_e32 v12, s3, v10
	v_and_b32_e32 v11, 0x7f800000, v12
	v_cmp_ne_u32_e64 s1, 0x7f800000, v11
                                        ; implicit-def: $vgpr11
	s_and_saveexec_b32 s11, s1
	s_xor_b32 s1, exec_lo, s11
; %bb.11:
	v_bfe_u32 v11, v12, 16, 1
	v_add3_u32 v11, v12, v11, 0x7fff
                                        ; implicit-def: $vgpr12
; %bb.12:
	s_andn2_saveexec_b32 s11, s1
; %bb.13:
	v_mov_b32_e32 v11, 0
	v_or_b32_e32 v13, 0x10000, v12
	v_cmp_eq_u32_sdwa s1, v12, v11 src0_sel:WORD_0 src1_sel:DWORD
	v_cndmask_b32_e64 v11, v13, v12, s1
; %bb.14:
	s_or_b32 exec_lo, exec_lo, s11
	v_lshlrev_b64 v[12:13], 1, v[3:4]
	v_add_co_u32 v12, s1, v5, v12
	v_add_co_ci_u32_e64 v13, null, v6, v13, s1
	flat_store_short_d16_hi v[12:13], v11
.LBB159_15:
	s_or_b32 exec_lo, exec_lo, s2
	v_add_co_u32 v11, s1, v3, 16
	v_add_co_ci_u32_e64 v12, null, 0, v4, s1
	v_cmp_gt_i64_e64 s1, s[28:29], v[11:12]
	s_and_saveexec_b32 s11, s1
	s_cbranch_execz .LBB159_21
; %bb.16:
	v_mul_f32_e32 v12, s3, v9
	v_and_b32_e32 v11, 0x7f800000, v12
	v_cmp_ne_u32_e64 s2, 0x7f800000, v11
                                        ; implicit-def: $vgpr11
	s_and_saveexec_b32 s18, s2
	s_xor_b32 s2, exec_lo, s18
; %bb.17:
	v_bfe_u32 v11, v12, 16, 1
	v_add3_u32 v11, v12, v11, 0x7fff
                                        ; implicit-def: $vgpr12
; %bb.18:
	s_andn2_saveexec_b32 s18, s2
; %bb.19:
	v_mov_b32_e32 v11, 0
	v_or_b32_e32 v13, 0x10000, v12
	v_cmp_eq_u32_sdwa s2, v12, v11 src0_sel:WORD_0 src1_sel:DWORD
	v_cndmask_b32_e64 v11, v13, v12, s2
; %bb.20:
	s_or_b32 exec_lo, exec_lo, s18
	v_lshlrev_b64 v[12:13], 1, v[3:4]
	v_add_co_u32 v12, s2, v5, v12
	v_add_co_ci_u32_e64 v13, null, v6, v13, s2
	flat_store_short_d16_hi v[12:13], v11 offset:32
.LBB159_21:
	s_or_b32 exec_lo, exec_lo, s11
	v_add_co_u32 v11, s2, v1, 16
	v_add_co_ci_u32_e64 v12, null, 0, v2, s2
	v_cmp_gt_i64_e64 s2, s[30:31], v[11:12]
	s_and_b32 exec_lo, exec_lo, s2
	s_cbranch_execz .LBB159_26
; %bb.22:
	s_lshl_b64 s[18:19], s[8:9], 5
	v_lshlrev_b64 v[3:4], 1, v[3:4]
	v_add_co_u32 v5, s2, v5, s18
	v_add_co_ci_u32_e64 v6, null, s19, v6, s2
	v_add_co_u32 v3, s2, v5, v3
	v_add_co_ci_u32_e64 v4, null, v6, v4, s2
	s_and_saveexec_b32 s2, vcc_lo
	s_cbranch_execz .LBB159_24
; %bb.23:
	v_mul_f32_e32 v5, s3, v8
	v_mov_b32_e32 v11, 0
	v_bfe_u32 v6, v5, 16, 1
	v_or_b32_e32 v12, 0x10000, v5
	v_and_b32_e32 v13, 0x7f800000, v5
	v_cmp_eq_u32_sdwa vcc_lo, v5, v11 src0_sel:WORD_0 src1_sel:DWORD
	v_add3_u32 v6, v5, v6, 0x7fff
	v_cndmask_b32_e32 v5, v12, v5, vcc_lo
	v_cmp_eq_u32_e32 vcc_lo, 0x7f800000, v13
	v_cndmask_b32_e32 v5, v6, v5, vcc_lo
	flat_store_short_d16_hi v[3:4], v5
.LBB159_24:
	s_or_b32 exec_lo, exec_lo, s2
	s_and_b32 exec_lo, exec_lo, s1
	s_cbranch_execz .LBB159_26
; %bb.25:
	v_mul_f32_e32 v5, s3, v7
	v_mov_b32_e32 v11, 0
	v_bfe_u32 v6, v5, 16, 1
	v_or_b32_e32 v12, 0x10000, v5
	v_and_b32_e32 v13, 0x7f800000, v5
	v_cmp_eq_u32_sdwa vcc_lo, v5, v11 src0_sel:WORD_0 src1_sel:DWORD
	v_add3_u32 v6, v5, v6, 0x7fff
	v_cndmask_b32_e32 v5, v12, v5, vcc_lo
	v_cmp_eq_u32_e32 vcc_lo, 0x7f800000, v13
	v_cndmask_b32_e32 v5, v6, v5, vcc_lo
	flat_store_short_d16_hi v[3:4], v5 offset:32
.LBB159_26:
	s_or_b32 exec_lo, exec_lo, s10
	s_cbranch_execz .LBB159_29
.LBB159_27:
	s_endpgm
.LBB159_28:
.LBB159_29:
	s_and_saveexec_b32 s1, s0
	s_cbranch_execz .LBB159_27
; %bb.30:
	v_mul_lo_u32 v5, v2, s14
	v_mul_lo_u32 v6, v1, s15
	v_mad_u64_u32 v[3:4], null, v1, s14, 0
	v_mul_lo_u32 v13, v2, s8
	v_mul_lo_u32 v14, v1, s9
	v_mad_u64_u32 v[11:12], null, v1, s8, 0
	s_lshl_b64 s[0:1], s[16:17], 1
	v_add3_u32 v4, v4, v6, v5
	v_add_co_u32 v5, s2, s6, v0
	v_add_co_ci_u32_e64 v6, null, s7, 0, s2
	v_add3_u32 v12, v12, v14, v13
	v_lshlrev_b64 v[3:4], 1, v[3:4]
	s_add_u32 s0, s12, s0
	s_addc_u32 s1, s13, s1
	v_cmp_gt_i64_e32 vcc_lo, s[28:29], v[5:6]
	v_lshlrev_b64 v[12:13], 1, v[11:12]
	v_add_co_u32 v0, s0, s0, v3
	v_add_co_ci_u32_e64 v11, null, s1, v4, s0
	v_add_co_u32 v12, s0, s4, v12
	v_lshlrev_b64 v[3:4], 1, v[5:6]
	v_add_co_ci_u32_e64 v13, null, s5, v13, s0
	s_and_saveexec_b32 s1, vcc_lo
	s_cbranch_execz .LBB159_40
; %bb.31:
	v_add_co_u32 v14, s0, v0, v3
	v_add_co_ci_u32_e64 v15, null, v11, v4, s0
	flat_load_ushort v14, v[14:15]
	s_waitcnt vmcnt(0) lgkmcnt(0)
	v_lshlrev_b32_e32 v14, 16, v14
	v_mul_f32_e32 v14, s20, v14
	v_and_b32_e32 v15, 0x7f800000, v14
	v_cmp_ne_u32_e64 s0, 0x7f800000, v15
                                        ; implicit-def: $vgpr15
	s_and_saveexec_b32 s2, s0
	s_xor_b32 s0, exec_lo, s2
; %bb.32:
	v_bfe_u32 v15, v14, 16, 1
	v_add3_u32 v15, v14, v15, 0x7fff
                                        ; implicit-def: $vgpr14
; %bb.33:
	s_andn2_saveexec_b32 s2, s0
; %bb.34:
	v_mov_b32_e32 v15, 0
	v_or_b32_e32 v16, 0x10000, v14
	v_cmp_eq_u32_sdwa s0, v14, v15 src0_sel:WORD_0 src1_sel:DWORD
	v_cndmask_b32_e64 v15, v16, v14, s0
; %bb.35:
	s_or_b32 exec_lo, exec_lo, s2
	v_and_b32_e32 v14, 0xffff0000, v15
	v_fmac_f32_e32 v14, s3, v10
	v_and_b32_e32 v10, 0x7f800000, v14
	v_cmp_ne_u32_e64 s0, 0x7f800000, v10
                                        ; implicit-def: $vgpr10
	s_and_saveexec_b32 s2, s0
	s_xor_b32 s0, exec_lo, s2
; %bb.36:
	v_bfe_u32 v10, v14, 16, 1
	v_add3_u32 v10, v14, v10, 0x7fff
                                        ; implicit-def: $vgpr14
; %bb.37:
	s_andn2_saveexec_b32 s2, s0
; %bb.38:
	v_mov_b32_e32 v10, 0
	v_or_b32_e32 v15, 0x10000, v14
	v_cmp_eq_u32_sdwa s0, v14, v10 src0_sel:WORD_0 src1_sel:DWORD
	v_cndmask_b32_e64 v10, v15, v14, s0
; %bb.39:
	s_or_b32 exec_lo, exec_lo, s2
	v_add_co_u32 v14, s0, v12, v3
	v_add_co_ci_u32_e64 v15, null, v13, v4, s0
	flat_store_short_d16_hi v[14:15], v10
.LBB159_40:
	s_or_b32 exec_lo, exec_lo, s1
	v_add_co_u32 v5, s0, v5, 16
	v_add_co_ci_u32_e64 v6, null, 0, v6, s0
	v_cmp_gt_i64_e64 s0, s[28:29], v[5:6]
	s_and_saveexec_b32 s2, s0
	s_cbranch_execz .LBB159_50
; %bb.41:
	v_add_co_u32 v5, s1, v0, v3
	v_add_co_ci_u32_e64 v6, null, v11, v4, s1
	flat_load_ushort v5, v[5:6] offset:32
	s_waitcnt vmcnt(0) lgkmcnt(0)
	v_lshlrev_b32_e32 v5, 16, v5
	v_mul_f32_e32 v5, s20, v5
	v_and_b32_e32 v6, 0x7f800000, v5
	v_cmp_ne_u32_e64 s1, 0x7f800000, v6
                                        ; implicit-def: $vgpr6
	s_and_saveexec_b32 s4, s1
	s_xor_b32 s1, exec_lo, s4
; %bb.42:
	v_bfe_u32 v6, v5, 16, 1
	v_add3_u32 v6, v5, v6, 0x7fff
                                        ; implicit-def: $vgpr5
; %bb.43:
	s_andn2_saveexec_b32 s4, s1
; %bb.44:
	v_mov_b32_e32 v6, 0
	v_or_b32_e32 v10, 0x10000, v5
	v_cmp_eq_u32_sdwa s1, v5, v6 src0_sel:WORD_0 src1_sel:DWORD
	v_cndmask_b32_e64 v6, v10, v5, s1
; %bb.45:
	s_or_b32 exec_lo, exec_lo, s4
	v_and_b32_e32 v5, 0xffff0000, v6
	v_fmac_f32_e32 v5, s3, v9
	v_and_b32_e32 v6, 0x7f800000, v5
	v_cmp_ne_u32_e64 s1, 0x7f800000, v6
                                        ; implicit-def: $vgpr6
	s_and_saveexec_b32 s4, s1
	s_xor_b32 s1, exec_lo, s4
; %bb.46:
	v_bfe_u32 v6, v5, 16, 1
	v_add3_u32 v6, v5, v6, 0x7fff
                                        ; implicit-def: $vgpr5
; %bb.47:
	s_andn2_saveexec_b32 s4, s1
; %bb.48:
	v_mov_b32_e32 v6, 0
	v_or_b32_e32 v9, 0x10000, v5
	v_cmp_eq_u32_sdwa s1, v5, v6 src0_sel:WORD_0 src1_sel:DWORD
	v_cndmask_b32_e64 v6, v9, v5, s1
; %bb.49:
	s_or_b32 exec_lo, exec_lo, s4
	v_add_co_u32 v9, s1, v12, v3
	v_add_co_ci_u32_e64 v10, null, v13, v4, s1
	flat_store_short_d16_hi v[9:10], v6 offset:32
.LBB159_50:
	s_or_b32 exec_lo, exec_lo, s2
	v_add_co_u32 v1, s1, v1, 16
	v_add_co_ci_u32_e64 v2, null, 0, v2, s1
	v_cmp_gt_i64_e64 s1, s[30:31], v[1:2]
	s_and_b32 exec_lo, exec_lo, s1
	s_cbranch_execz .LBB159_27
; %bb.51:
	s_lshl_b64 s[4:5], s[14:15], 5
	v_add_co_u32 v0, s1, v0, s4
	v_add_co_ci_u32_e64 v1, null, s5, v11, s1
	s_lshl_b64 s[4:5], s[8:9], 5
	v_add_co_u32 v2, s1, v12, s4
	v_add_co_ci_u32_e64 v9, null, s5, v13, s1
	v_add_co_u32 v5, s1, v0, v3
	v_add_co_ci_u32_e64 v6, null, v1, v4, s1
	;; [unrolled: 2-line block ×3, first 2 shown]
	s_and_saveexec_b32 s1, vcc_lo
	s_cbranch_execz .LBB159_61
; %bb.52:
	flat_load_ushort v2, v[5:6]
	s_waitcnt vmcnt(0) lgkmcnt(0)
	v_lshlrev_b32_e32 v2, 16, v2
	v_mul_f32_e32 v2, s20, v2
	v_and_b32_e32 v3, 0x7f800000, v2
	v_cmp_ne_u32_e32 vcc_lo, 0x7f800000, v3
                                        ; implicit-def: $vgpr3
	s_and_saveexec_b32 s2, vcc_lo
	s_xor_b32 s2, exec_lo, s2
; %bb.53:
	v_bfe_u32 v3, v2, 16, 1
	v_add3_u32 v3, v2, v3, 0x7fff
                                        ; implicit-def: $vgpr2
; %bb.54:
	s_andn2_saveexec_b32 s2, s2
; %bb.55:
	v_mov_b32_e32 v3, 0
	v_or_b32_e32 v4, 0x10000, v2
	v_cmp_eq_u32_sdwa vcc_lo, v2, v3 src0_sel:WORD_0 src1_sel:DWORD
	v_cndmask_b32_e32 v3, v4, v2, vcc_lo
; %bb.56:
	s_or_b32 exec_lo, exec_lo, s2
	v_and_b32_e32 v2, 0xffff0000, v3
	v_fmac_f32_e32 v2, s3, v8
	v_and_b32_e32 v3, 0x7f800000, v2
	v_cmp_ne_u32_e32 vcc_lo, 0x7f800000, v3
                                        ; implicit-def: $vgpr3
	s_and_saveexec_b32 s2, vcc_lo
	s_xor_b32 s2, exec_lo, s2
; %bb.57:
	v_bfe_u32 v3, v2, 16, 1
	v_add3_u32 v3, v2, v3, 0x7fff
                                        ; implicit-def: $vgpr2
; %bb.58:
	s_andn2_saveexec_b32 s2, s2
; %bb.59:
	v_mov_b32_e32 v3, 0
	v_or_b32_e32 v4, 0x10000, v2
	v_cmp_eq_u32_sdwa vcc_lo, v2, v3 src0_sel:WORD_0 src1_sel:DWORD
	v_cndmask_b32_e32 v3, v4, v2, vcc_lo
; %bb.60:
	s_or_b32 exec_lo, exec_lo, s2
	flat_store_short_d16_hi v[0:1], v3
.LBB159_61:
	s_or_b32 exec_lo, exec_lo, s1
	s_and_b32 exec_lo, exec_lo, s0
	s_cbranch_execz .LBB159_27
; %bb.62:
	flat_load_ushort v2, v[5:6] offset:32
	s_waitcnt vmcnt(0) lgkmcnt(0)
	v_lshlrev_b32_e32 v2, 16, v2
	v_mul_f32_e32 v2, s20, v2
	v_and_b32_e32 v3, 0x7f800000, v2
	v_cmp_ne_u32_e32 vcc_lo, 0x7f800000, v3
                                        ; implicit-def: $vgpr3
	s_and_saveexec_b32 s0, vcc_lo
	s_xor_b32 s0, exec_lo, s0
; %bb.63:
	v_bfe_u32 v3, v2, 16, 1
	v_add3_u32 v3, v2, v3, 0x7fff
                                        ; implicit-def: $vgpr2
; %bb.64:
	s_andn2_saveexec_b32 s0, s0
; %bb.65:
	v_mov_b32_e32 v3, 0
	v_or_b32_e32 v4, 0x10000, v2
	v_cmp_eq_u32_sdwa vcc_lo, v2, v3 src0_sel:WORD_0 src1_sel:DWORD
	v_cndmask_b32_e32 v3, v4, v2, vcc_lo
; %bb.66:
	s_or_b32 exec_lo, exec_lo, s0
	v_and_b32_e32 v2, 0xffff0000, v3
	v_fmac_f32_e32 v2, s3, v7
	v_and_b32_e32 v3, 0x7f800000, v2
	v_cmp_ne_u32_e32 vcc_lo, 0x7f800000, v3
                                        ; implicit-def: $vgpr3
	s_and_saveexec_b32 s0, vcc_lo
	s_xor_b32 s0, exec_lo, s0
; %bb.67:
	v_bfe_u32 v3, v2, 16, 1
	v_add3_u32 v3, v2, v3, 0x7fff
                                        ; implicit-def: $vgpr2
; %bb.68:
	s_andn2_saveexec_b32 s0, s0
; %bb.69:
	v_mov_b32_e32 v3, 0
	v_or_b32_e32 v4, 0x10000, v2
	v_cmp_eq_u32_sdwa vcc_lo, v2, v3 src0_sel:WORD_0 src1_sel:DWORD
	v_cndmask_b32_e32 v3, v4, v2, vcc_lo
; %bb.70:
	s_or_b32 exec_lo, exec_lo, s0
	flat_store_short_d16_hi v[0:1], v3 offset:32
	s_endpgm
	.section	.rodata,"a",@progbits
	.p2align	6, 0x0
	.amdhsa_kernel _ZN12_GLOBAL__N_135rocblas_gemm_batched_general_kernelIfLi16ELi16ELi32ELi32ELi8ELi32ELi8ELi8ELi32ELc84ELc78EKPK16rocblas_bfloat16S4_KPS1_EEvlllT_PT11_llS9_llS7_PT12_llPT13_lli
		.amdhsa_group_segment_fixed_size 2048
		.amdhsa_private_segment_fixed_size 0
		.amdhsa_kernarg_size 140
		.amdhsa_user_sgpr_count 6
		.amdhsa_user_sgpr_private_segment_buffer 1
		.amdhsa_user_sgpr_dispatch_ptr 0
		.amdhsa_user_sgpr_queue_ptr 0
		.amdhsa_user_sgpr_kernarg_segment_ptr 1
		.amdhsa_user_sgpr_dispatch_id 0
		.amdhsa_user_sgpr_flat_scratch_init 0
		.amdhsa_user_sgpr_private_segment_size 0
		.amdhsa_wavefront_size32 1
		.amdhsa_uses_dynamic_stack 0
		.amdhsa_system_sgpr_private_segment_wavefront_offset 0
		.amdhsa_system_sgpr_workgroup_id_x 1
		.amdhsa_system_sgpr_workgroup_id_y 1
		.amdhsa_system_sgpr_workgroup_id_z 1
		.amdhsa_system_sgpr_workgroup_info 0
		.amdhsa_system_vgpr_workitem_id 1
		.amdhsa_next_free_vgpr 44
		.amdhsa_next_free_sgpr 40
		.amdhsa_reserve_vcc 1
		.amdhsa_reserve_flat_scratch 0
		.amdhsa_float_round_mode_32 0
		.amdhsa_float_round_mode_16_64 0
		.amdhsa_float_denorm_mode_32 3
		.amdhsa_float_denorm_mode_16_64 3
		.amdhsa_dx10_clamp 1
		.amdhsa_ieee_mode 1
		.amdhsa_fp16_overflow 0
		.amdhsa_workgroup_processor_mode 1
		.amdhsa_memory_ordered 1
		.amdhsa_forward_progress 1
		.amdhsa_shared_vgpr_count 0
		.amdhsa_exception_fp_ieee_invalid_op 0
		.amdhsa_exception_fp_denorm_src 0
		.amdhsa_exception_fp_ieee_div_zero 0
		.amdhsa_exception_fp_ieee_overflow 0
		.amdhsa_exception_fp_ieee_underflow 0
		.amdhsa_exception_fp_ieee_inexact 0
		.amdhsa_exception_int_div_zero 0
	.end_amdhsa_kernel
	.section	.text._ZN12_GLOBAL__N_135rocblas_gemm_batched_general_kernelIfLi16ELi16ELi32ELi32ELi8ELi32ELi8ELi8ELi32ELc84ELc78EKPK16rocblas_bfloat16S4_KPS1_EEvlllT_PT11_llS9_llS7_PT12_llPT13_lli,"axG",@progbits,_ZN12_GLOBAL__N_135rocblas_gemm_batched_general_kernelIfLi16ELi16ELi32ELi32ELi8ELi32ELi8ELi8ELi32ELc84ELc78EKPK16rocblas_bfloat16S4_KPS1_EEvlllT_PT11_llS9_llS7_PT12_llPT13_lli,comdat
.Lfunc_end159:
	.size	_ZN12_GLOBAL__N_135rocblas_gemm_batched_general_kernelIfLi16ELi16ELi32ELi32ELi8ELi32ELi8ELi8ELi32ELc84ELc78EKPK16rocblas_bfloat16S4_KPS1_EEvlllT_PT11_llS9_llS7_PT12_llPT13_lli, .Lfunc_end159-_ZN12_GLOBAL__N_135rocblas_gemm_batched_general_kernelIfLi16ELi16ELi32ELi32ELi8ELi32ELi8ELi8ELi32ELc84ELc78EKPK16rocblas_bfloat16S4_KPS1_EEvlllT_PT11_llS9_llS7_PT12_llPT13_lli
                                        ; -- End function
	.set _ZN12_GLOBAL__N_135rocblas_gemm_batched_general_kernelIfLi16ELi16ELi32ELi32ELi8ELi32ELi8ELi8ELi32ELc84ELc78EKPK16rocblas_bfloat16S4_KPS1_EEvlllT_PT11_llS9_llS7_PT12_llPT13_lli.num_vgpr, 44
	.set _ZN12_GLOBAL__N_135rocblas_gemm_batched_general_kernelIfLi16ELi16ELi32ELi32ELi8ELi32ELi8ELi8ELi32ELc84ELc78EKPK16rocblas_bfloat16S4_KPS1_EEvlllT_PT11_llS9_llS7_PT12_llPT13_lli.num_agpr, 0
	.set _ZN12_GLOBAL__N_135rocblas_gemm_batched_general_kernelIfLi16ELi16ELi32ELi32ELi8ELi32ELi8ELi8ELi32ELc84ELc78EKPK16rocblas_bfloat16S4_KPS1_EEvlllT_PT11_llS9_llS7_PT12_llPT13_lli.numbered_sgpr, 40
	.set _ZN12_GLOBAL__N_135rocblas_gemm_batched_general_kernelIfLi16ELi16ELi32ELi32ELi8ELi32ELi8ELi8ELi32ELc84ELc78EKPK16rocblas_bfloat16S4_KPS1_EEvlllT_PT11_llS9_llS7_PT12_llPT13_lli.num_named_barrier, 0
	.set _ZN12_GLOBAL__N_135rocblas_gemm_batched_general_kernelIfLi16ELi16ELi32ELi32ELi8ELi32ELi8ELi8ELi32ELc84ELc78EKPK16rocblas_bfloat16S4_KPS1_EEvlllT_PT11_llS9_llS7_PT12_llPT13_lli.private_seg_size, 0
	.set _ZN12_GLOBAL__N_135rocblas_gemm_batched_general_kernelIfLi16ELi16ELi32ELi32ELi8ELi32ELi8ELi8ELi32ELc84ELc78EKPK16rocblas_bfloat16S4_KPS1_EEvlllT_PT11_llS9_llS7_PT12_llPT13_lli.uses_vcc, 1
	.set _ZN12_GLOBAL__N_135rocblas_gemm_batched_general_kernelIfLi16ELi16ELi32ELi32ELi8ELi32ELi8ELi8ELi32ELc84ELc78EKPK16rocblas_bfloat16S4_KPS1_EEvlllT_PT11_llS9_llS7_PT12_llPT13_lli.uses_flat_scratch, 0
	.set _ZN12_GLOBAL__N_135rocblas_gemm_batched_general_kernelIfLi16ELi16ELi32ELi32ELi8ELi32ELi8ELi8ELi32ELc84ELc78EKPK16rocblas_bfloat16S4_KPS1_EEvlllT_PT11_llS9_llS7_PT12_llPT13_lli.has_dyn_sized_stack, 0
	.set _ZN12_GLOBAL__N_135rocblas_gemm_batched_general_kernelIfLi16ELi16ELi32ELi32ELi8ELi32ELi8ELi8ELi32ELc84ELc78EKPK16rocblas_bfloat16S4_KPS1_EEvlllT_PT11_llS9_llS7_PT12_llPT13_lli.has_recursion, 0
	.set _ZN12_GLOBAL__N_135rocblas_gemm_batched_general_kernelIfLi16ELi16ELi32ELi32ELi8ELi32ELi8ELi8ELi32ELc84ELc78EKPK16rocblas_bfloat16S4_KPS1_EEvlllT_PT11_llS9_llS7_PT12_llPT13_lli.has_indirect_call, 0
	.section	.AMDGPU.csdata,"",@progbits
; Kernel info:
; codeLenInByte = 2908
; TotalNumSgprs: 42
; NumVgprs: 44
; ScratchSize: 0
; MemoryBound: 0
; FloatMode: 240
; IeeeMode: 1
; LDSByteSize: 2048 bytes/workgroup (compile time only)
; SGPRBlocks: 0
; VGPRBlocks: 5
; NumSGPRsForWavesPerEU: 42
; NumVGPRsForWavesPerEU: 44
; Occupancy: 16
; WaveLimiterHint : 1
; COMPUTE_PGM_RSRC2:SCRATCH_EN: 0
; COMPUTE_PGM_RSRC2:USER_SGPR: 6
; COMPUTE_PGM_RSRC2:TRAP_HANDLER: 0
; COMPUTE_PGM_RSRC2:TGID_X_EN: 1
; COMPUTE_PGM_RSRC2:TGID_Y_EN: 1
; COMPUTE_PGM_RSRC2:TGID_Z_EN: 1
; COMPUTE_PGM_RSRC2:TIDIG_COMP_CNT: 1
	.section	.text._ZN12_GLOBAL__N_135rocblas_gemm_batched_general_kernelIfLi16ELi16ELi32ELi32ELi8ELi32ELi8ELi8ELi32ELc78ELc84EKPK16rocblas_bfloat16S4_KPS1_EEvlllT_PT11_llS9_llS7_PT12_llPT13_lli,"axG",@progbits,_ZN12_GLOBAL__N_135rocblas_gemm_batched_general_kernelIfLi16ELi16ELi32ELi32ELi8ELi32ELi8ELi8ELi32ELc78ELc84EKPK16rocblas_bfloat16S4_KPS1_EEvlllT_PT11_llS9_llS7_PT12_llPT13_lli,comdat
	.globl	_ZN12_GLOBAL__N_135rocblas_gemm_batched_general_kernelIfLi16ELi16ELi32ELi32ELi8ELi32ELi8ELi8ELi32ELc78ELc84EKPK16rocblas_bfloat16S4_KPS1_EEvlllT_PT11_llS9_llS7_PT12_llPT13_lli ; -- Begin function _ZN12_GLOBAL__N_135rocblas_gemm_batched_general_kernelIfLi16ELi16ELi32ELi32ELi8ELi32ELi8ELi8ELi32ELc78ELc84EKPK16rocblas_bfloat16S4_KPS1_EEvlllT_PT11_llS9_llS7_PT12_llPT13_lli
	.p2align	8
	.type	_ZN12_GLOBAL__N_135rocblas_gemm_batched_general_kernelIfLi16ELi16ELi32ELi32ELi8ELi32ELi8ELi8ELi32ELc78ELc84EKPK16rocblas_bfloat16S4_KPS1_EEvlllT_PT11_llS9_llS7_PT12_llPT13_lli,@function
_ZN12_GLOBAL__N_135rocblas_gemm_batched_general_kernelIfLi16ELi16ELi32ELi32ELi8ELi32ELi8ELi8ELi32ELc78ELc84EKPK16rocblas_bfloat16S4_KPS1_EEvlllT_PT11_llS9_llS7_PT12_llPT13_lli: ; @_ZN12_GLOBAL__N_135rocblas_gemm_batched_general_kernelIfLi16ELi16ELi32ELi32ELi8ELi32ELi8ELi8ELi32ELc78ELc84EKPK16rocblas_bfloat16S4_KPS1_EEvlllT_PT11_llS9_llS7_PT12_llPT13_lli
; %bb.0:
	s_clause 0x1
	s_load_dwordx8 s[12:19], s[4:5], 0x58
	s_load_dwordx2 s[34:35], s[4:5], 0x10
	s_mov_b32 s9, 0
	s_load_dwordx4 s[28:31], s[4:5], 0x0
	s_lshl_b64 s[44:45], s[8:9], 3
	s_load_dwordx4 s[8:11], s[4:5], 0x78
	s_mov_b32 s42, s7
	v_mov_b32_e32 v10, 0
	v_mov_b32_e32 v9, 0
	;; [unrolled: 1-line block ×4, first 2 shown]
	s_waitcnt lgkmcnt(0)
	s_add_u32 s0, s12, s44
	s_addc_u32 s1, s13, s45
	s_add_u32 s2, s18, s44
	s_addc_u32 s3, s19, s45
	s_load_dwordx2 s[12:13], s[0:1], 0x0
	s_load_dwordx2 s[2:3], s[2:3], 0x0
	v_cmp_lt_i64_e64 s0, s[34:35], 1
	s_ashr_i32 s7, s6, 31
	s_ashr_i32 s43, s42, 31
	s_lshl_b64 s[18:19], s[6:7], 5
	s_lshl_b64 s[40:41], s[42:43], 5
	s_and_b32 vcc_lo, exec_lo, s0
	s_cbranch_vccnz .LBB160_7
; %bb.1:
	s_clause 0x1
	s_load_dwordx4 s[36:39], s[4:5], 0x40
	s_load_dwordx8 s[20:27], s[4:5], 0x20
	v_lshl_add_u32 v2, v1, 4, v0
	v_and_b32_e32 v6, 7, v0
	v_mov_b32_e32 v3, s19
	v_mov_b32_e32 v7, 0
	v_lshlrev_b32_e32 v11, 2, v0
	v_lshrrev_b32_e32 v13, 5, v2
	v_and_b32_e32 v18, 31, v2
	v_lshrrev_b32_e32 v10, 3, v2
	v_lshlrev_b32_e32 v14, 2, v6
	v_lshl_add_u32 v12, v1, 5, 0x400
	v_or_b32_e32 v2, s18, v18
	v_add_co_u32 v4, s0, v10, s40
	v_add_co_ci_u32_e64 v5, null, 0, s41, s0
	v_cmp_gt_i64_e64 s0, s[28:29], v[2:3]
	v_lshl_or_b32 v19, v10, 5, v14
	s_waitcnt lgkmcnt(0)
	v_mad_u64_u32 v[8:9], null, s36, v6, 0
	v_mad_u64_u32 v[16:17], null, s22, v13, 0
	v_cmp_gt_i64_e64 s1, s[30:31], v[4:5]
	s_add_u32 s26, s26, s44
	s_addc_u32 s27, s27, s45
	s_add_u32 s20, s20, s44
	v_mov_b32_e32 v2, v9
	s_load_dwordx2 s[26:27], s[26:27], 0x0
	v_mov_b32_e32 v3, v17
	s_addc_u32 s21, s21, s45
	s_lshl_b64 s[42:43], s[42:43], 6
	s_load_dwordx2 s[20:21], s[20:21], 0x0
	s_lshl_b64 s[38:39], s[38:39], 1
	v_mad_u64_u32 v[4:5], null, s37, v6, v[2:3]
	s_add_u32 s33, s38, s42
	s_addc_u32 s42, s39, s43
	s_lshl_b64 s[38:39], s[6:7], 6
	s_lshl_b64 s[24:25], s[24:25], 1
	;; [unrolled: 1-line block ×3, first 2 shown]
	v_lshlrev_b32_e32 v10, 1, v10
	v_mad_u64_u32 v[2:3], null, s23, v13, v[3:4]
	v_mov_b32_e32 v9, v4
	s_add_u32 s24, s24, s38
	s_addc_u32 s25, s25, s39
	v_lshlrev_b32_e32 v15, 2, v18
	v_mov_b32_e32 v17, v2
	v_lshlrev_b64 v[2:3], 1, v[8:9]
	v_lshlrev_b32_e32 v8, 1, v18
	v_lshl_or_b32 v14, v13, 7, v15
	v_add_nc_u32_e32 v15, 0x400, v19
	v_lshlrev_b64 v[4:5], 1, v[16:17]
	v_mov_b32_e32 v9, 0
	v_add_co_u32 v2, vcc_lo, s33, v2
	v_add_co_ci_u32_e64 v3, null, s42, v3, vcc_lo
	v_add_co_u32 v4, vcc_lo, s24, v4
	v_add_co_ci_u32_e64 v5, null, s25, v5, vcc_lo
	;; [unrolled: 2-line block ×4, first 2 shown]
	s_waitcnt lgkmcnt(0)
	v_add_co_u32 v2, vcc_lo, s26, v2
	v_add_co_ci_u32_e64 v3, null, s27, v3, vcc_lo
	v_add_co_u32 v4, vcc_lo, s20, v4
	v_add_co_ci_u32_e64 v5, null, s21, v5, vcc_lo
	v_mov_b32_e32 v8, 0
	v_mov_b32_e32 v10, 0
	s_lshl_b64 s[20:21], s[22:23], 4
	s_mov_b64 s[22:23], 0
	s_branch .LBB160_3
.LBB160_2:                              ;   in Loop: Header=BB160_3 Depth=1
	s_or_b32 exec_lo, exec_lo, s24
	ds_write_b32 v15, v17
	s_waitcnt lgkmcnt(0)
	s_barrier
	buffer_gl0_inv
	ds_read_b128 v[16:19], v12
	ds_read2_b32 v[32:33], v11 offset1:16
	ds_read_b128 v[20:23], v12 offset:512
	ds_read2_b32 v[34:35], v11 offset0:32 offset1:48
	ds_read2_b32 v[36:37], v11 offset0:64 offset1:80
	ds_read2_b32 v[38:39], v11 offset0:96 offset1:112
	ds_read_b128 v[24:27], v12 offset:16
	ds_read2_b32 v[40:41], v11 offset0:128 offset1:144
	ds_read_b128 v[28:31], v12 offset:528
	ds_read2_b32 v[42:43], v11 offset0:160 offset1:176
	s_add_u32 s22, s22, 8
	s_addc_u32 s23, s23, 0
	v_add_co_u32 v2, vcc_lo, v2, s6
	v_cmp_lt_i64_e64 s24, s[22:23], s[34:35]
	v_add_co_ci_u32_e64 v3, null, s7, v3, vcc_lo
	v_add_co_u32 v4, vcc_lo, v4, s20
	v_add_co_ci_u32_e64 v5, null, s21, v5, vcc_lo
	s_waitcnt lgkmcnt(8)
	v_fmac_f32_e32 v10, v32, v16
	v_fmac_f32_e32 v9, v33, v16
	s_waitcnt lgkmcnt(7)
	v_fmac_f32_e32 v8, v32, v20
	v_fmac_f32_e32 v7, v33, v20
	ds_read2_b32 v[32:33], v11 offset0:192 offset1:208
	s_waitcnt lgkmcnt(7)
	v_fmac_f32_e32 v10, v34, v17
	v_fmac_f32_e32 v9, v35, v17
	;; [unrolled: 1-line block ×4, first 2 shown]
	ds_read2_b32 v[16:17], v11 offset0:224 offset1:240
	s_waitcnt lgkmcnt(7)
	v_fmac_f32_e32 v10, v36, v18
	v_fmac_f32_e32 v9, v37, v18
	;; [unrolled: 1-line block ×4, first 2 shown]
	s_and_b32 vcc_lo, exec_lo, s24
	s_waitcnt lgkmcnt(6)
	v_fmac_f32_e32 v10, v38, v19
	v_fmac_f32_e32 v9, v39, v19
	;; [unrolled: 1-line block ×4, first 2 shown]
	s_waitcnt lgkmcnt(0)
	v_fmac_f32_e32 v10, v40, v24
	v_fmac_f32_e32 v9, v41, v24
	;; [unrolled: 1-line block ×4, first 2 shown]
	s_barrier
	v_fmac_f32_e32 v10, v42, v25
	v_fmac_f32_e32 v9, v43, v25
	;; [unrolled: 1-line block ×4, first 2 shown]
	buffer_gl0_inv
	v_fmac_f32_e32 v10, v32, v26
	v_fmac_f32_e32 v9, v33, v26
	;; [unrolled: 1-line block ×8, first 2 shown]
	s_cbranch_vccz .LBB160_7
.LBB160_3:                              ; =>This Inner Loop Header: Depth=1
	v_add_co_u32 v16, s24, v13, s22
	v_add_co_ci_u32_e64 v17, null, 0, s23, s24
	v_cmp_gt_i64_e32 vcc_lo, s[34:35], v[16:17]
	v_mov_b32_e32 v16, 0
	s_and_b32 s25, s0, vcc_lo
	s_and_saveexec_b32 s24, s25
	s_cbranch_execz .LBB160_5
; %bb.4:                                ;   in Loop: Header=BB160_3 Depth=1
	flat_load_ushort v16, v[4:5]
	s_waitcnt vmcnt(0) lgkmcnt(0)
	v_lshlrev_b32_e32 v16, 16, v16
.LBB160_5:                              ;   in Loop: Header=BB160_3 Depth=1
	s_or_b32 exec_lo, exec_lo, s24
	v_add_co_u32 v17, s24, v6, s22
	v_add_co_ci_u32_e64 v18, null, 0, s23, s24
	ds_write_b32 v14, v16
	v_cmp_gt_i64_e32 vcc_lo, s[34:35], v[17:18]
	v_mov_b32_e32 v17, 0
	s_and_b32 s25, vcc_lo, s1
	s_and_saveexec_b32 s24, s25
	s_cbranch_execz .LBB160_2
; %bb.6:                                ;   in Loop: Header=BB160_3 Depth=1
	flat_load_ushort v16, v[2:3]
	s_waitcnt vmcnt(0) lgkmcnt(0)
	v_lshlrev_b32_e32 v17, 16, v16
	s_branch .LBB160_2
.LBB160_7:
	s_clause 0x1
	s_load_dword s6, s[4:5], 0x50
	s_load_dword s4, s[4:5], 0x18
	v_add_co_u32 v1, s5, s40, v1
	v_add_co_ci_u32_e64 v2, null, s41, 0, s5
	s_lshl_b64 s[0:1], s[10:11], 1
	s_waitcnt lgkmcnt(0)
	s_add_u32 s5, s2, s0
	v_cmp_gt_i64_e64 s0, s[30:31], v[1:2]
	s_addc_u32 s3, s3, s1
	v_cmp_neq_f32_e64 s7, s6, 0
	s_and_b32 vcc_lo, exec_lo, s7
	s_cbranch_vccnz .LBB160_28
; %bb.8:
	s_and_saveexec_b32 s7, s0
	s_cbranch_execz .LBB160_26
; %bb.9:
	v_mul_lo_u32 v3, v2, s8
	v_mul_lo_u32 v4, v1, s9
	v_mad_u64_u32 v[5:6], null, v1, s8, 0
	v_add3_u32 v6, v6, v4, v3
	v_add_co_u32 v3, s1, s18, v0
	v_add_co_ci_u32_e64 v4, null, s19, 0, s1
	v_lshlrev_b64 v[5:6], 1, v[5:6]
	v_cmp_gt_i64_e32 vcc_lo, s[28:29], v[3:4]
	v_add_co_u32 v5, s1, s5, v5
	v_add_co_ci_u32_e64 v6, null, s3, v6, s1
	s_and_saveexec_b32 s2, vcc_lo
	s_cbranch_execz .LBB160_15
; %bb.10:
	v_mul_f32_e32 v12, s4, v10
	v_and_b32_e32 v11, 0x7f800000, v12
	v_cmp_ne_u32_e64 s1, 0x7f800000, v11
                                        ; implicit-def: $vgpr11
	s_and_saveexec_b32 s10, s1
	s_xor_b32 s1, exec_lo, s10
; %bb.11:
	v_bfe_u32 v11, v12, 16, 1
	v_add3_u32 v11, v12, v11, 0x7fff
                                        ; implicit-def: $vgpr12
; %bb.12:
	s_andn2_saveexec_b32 s10, s1
; %bb.13:
	v_mov_b32_e32 v11, 0
	v_or_b32_e32 v13, 0x10000, v12
	v_cmp_eq_u32_sdwa s1, v12, v11 src0_sel:WORD_0 src1_sel:DWORD
	v_cndmask_b32_e64 v11, v13, v12, s1
; %bb.14:
	s_or_b32 exec_lo, exec_lo, s10
	v_lshlrev_b64 v[12:13], 1, v[3:4]
	v_add_co_u32 v12, s1, v5, v12
	v_add_co_ci_u32_e64 v13, null, v6, v13, s1
	flat_store_short_d16_hi v[12:13], v11
.LBB160_15:
	s_or_b32 exec_lo, exec_lo, s2
	v_add_co_u32 v11, s1, v3, 16
	v_add_co_ci_u32_e64 v12, null, 0, v4, s1
	v_cmp_gt_i64_e64 s1, s[28:29], v[11:12]
	s_and_saveexec_b32 s10, s1
	s_cbranch_execz .LBB160_21
; %bb.16:
	v_mul_f32_e32 v12, s4, v9
	v_and_b32_e32 v11, 0x7f800000, v12
	v_cmp_ne_u32_e64 s2, 0x7f800000, v11
                                        ; implicit-def: $vgpr11
	s_and_saveexec_b32 s11, s2
	s_xor_b32 s2, exec_lo, s11
; %bb.17:
	v_bfe_u32 v11, v12, 16, 1
	v_add3_u32 v11, v12, v11, 0x7fff
                                        ; implicit-def: $vgpr12
; %bb.18:
	s_andn2_saveexec_b32 s11, s2
; %bb.19:
	v_mov_b32_e32 v11, 0
	v_or_b32_e32 v13, 0x10000, v12
	v_cmp_eq_u32_sdwa s2, v12, v11 src0_sel:WORD_0 src1_sel:DWORD
	v_cndmask_b32_e64 v11, v13, v12, s2
; %bb.20:
	s_or_b32 exec_lo, exec_lo, s11
	v_lshlrev_b64 v[12:13], 1, v[3:4]
	v_add_co_u32 v12, s2, v5, v12
	v_add_co_ci_u32_e64 v13, null, v6, v13, s2
	flat_store_short_d16_hi v[12:13], v11 offset:32
.LBB160_21:
	s_or_b32 exec_lo, exec_lo, s10
	v_add_co_u32 v11, s2, v1, 16
	v_add_co_ci_u32_e64 v12, null, 0, v2, s2
	v_cmp_gt_i64_e64 s2, s[30:31], v[11:12]
	s_and_b32 exec_lo, exec_lo, s2
	s_cbranch_execz .LBB160_26
; %bb.22:
	s_lshl_b64 s[10:11], s[8:9], 5
	v_lshlrev_b64 v[3:4], 1, v[3:4]
	v_add_co_u32 v5, s2, v5, s10
	v_add_co_ci_u32_e64 v6, null, s11, v6, s2
	v_add_co_u32 v3, s2, v5, v3
	v_add_co_ci_u32_e64 v4, null, v6, v4, s2
	s_and_saveexec_b32 s2, vcc_lo
	s_cbranch_execz .LBB160_24
; %bb.23:
	v_mul_f32_e32 v5, s4, v8
	v_mov_b32_e32 v11, 0
	v_bfe_u32 v6, v5, 16, 1
	v_or_b32_e32 v12, 0x10000, v5
	v_and_b32_e32 v13, 0x7f800000, v5
	v_cmp_eq_u32_sdwa vcc_lo, v5, v11 src0_sel:WORD_0 src1_sel:DWORD
	v_add3_u32 v6, v5, v6, 0x7fff
	v_cndmask_b32_e32 v5, v12, v5, vcc_lo
	v_cmp_eq_u32_e32 vcc_lo, 0x7f800000, v13
	v_cndmask_b32_e32 v5, v6, v5, vcc_lo
	flat_store_short_d16_hi v[3:4], v5
.LBB160_24:
	s_or_b32 exec_lo, exec_lo, s2
	s_and_b32 exec_lo, exec_lo, s1
	s_cbranch_execz .LBB160_26
; %bb.25:
	v_mul_f32_e32 v5, s4, v7
	v_mov_b32_e32 v11, 0
	v_bfe_u32 v6, v5, 16, 1
	v_or_b32_e32 v12, 0x10000, v5
	v_and_b32_e32 v13, 0x7f800000, v5
	v_cmp_eq_u32_sdwa vcc_lo, v5, v11 src0_sel:WORD_0 src1_sel:DWORD
	v_add3_u32 v6, v5, v6, 0x7fff
	v_cndmask_b32_e32 v5, v12, v5, vcc_lo
	v_cmp_eq_u32_e32 vcc_lo, 0x7f800000, v13
	v_cndmask_b32_e32 v5, v6, v5, vcc_lo
	flat_store_short_d16_hi v[3:4], v5 offset:32
.LBB160_26:
	s_or_b32 exec_lo, exec_lo, s7
	s_cbranch_execz .LBB160_29
.LBB160_27:
	s_endpgm
.LBB160_28:
.LBB160_29:
	s_and_saveexec_b32 s1, s0
	s_cbranch_execz .LBB160_27
; %bb.30:
	v_mul_lo_u32 v5, v2, s14
	v_mul_lo_u32 v6, v1, s15
	v_mad_u64_u32 v[3:4], null, v1, s14, 0
	v_mul_lo_u32 v13, v2, s8
	v_mul_lo_u32 v14, v1, s9
	v_mad_u64_u32 v[11:12], null, v1, s8, 0
	s_lshl_b64 s[0:1], s[16:17], 1
	v_add3_u32 v4, v4, v6, v5
	v_add_co_u32 v5, s2, s18, v0
	v_add_co_ci_u32_e64 v6, null, s19, 0, s2
	v_add3_u32 v12, v12, v14, v13
	v_lshlrev_b64 v[3:4], 1, v[3:4]
	s_add_u32 s0, s12, s0
	s_addc_u32 s1, s13, s1
	v_cmp_gt_i64_e32 vcc_lo, s[28:29], v[5:6]
	v_lshlrev_b64 v[12:13], 1, v[11:12]
	v_add_co_u32 v0, s0, s0, v3
	v_add_co_ci_u32_e64 v11, null, s1, v4, s0
	v_add_co_u32 v12, s0, s5, v12
	v_lshlrev_b64 v[3:4], 1, v[5:6]
	v_add_co_ci_u32_e64 v13, null, s3, v13, s0
	s_and_saveexec_b32 s1, vcc_lo
	s_cbranch_execz .LBB160_40
; %bb.31:
	v_add_co_u32 v14, s0, v0, v3
	v_add_co_ci_u32_e64 v15, null, v11, v4, s0
	flat_load_ushort v14, v[14:15]
	s_waitcnt vmcnt(0) lgkmcnt(0)
	v_lshlrev_b32_e32 v14, 16, v14
	v_mul_f32_e32 v14, s6, v14
	v_and_b32_e32 v15, 0x7f800000, v14
	v_cmp_ne_u32_e64 s0, 0x7f800000, v15
                                        ; implicit-def: $vgpr15
	s_and_saveexec_b32 s2, s0
	s_xor_b32 s0, exec_lo, s2
; %bb.32:
	v_bfe_u32 v15, v14, 16, 1
	v_add3_u32 v15, v14, v15, 0x7fff
                                        ; implicit-def: $vgpr14
; %bb.33:
	s_andn2_saveexec_b32 s2, s0
; %bb.34:
	v_mov_b32_e32 v15, 0
	v_or_b32_e32 v16, 0x10000, v14
	v_cmp_eq_u32_sdwa s0, v14, v15 src0_sel:WORD_0 src1_sel:DWORD
	v_cndmask_b32_e64 v15, v16, v14, s0
; %bb.35:
	s_or_b32 exec_lo, exec_lo, s2
	v_and_b32_e32 v14, 0xffff0000, v15
	v_fmac_f32_e32 v14, s4, v10
	v_and_b32_e32 v10, 0x7f800000, v14
	v_cmp_ne_u32_e64 s0, 0x7f800000, v10
                                        ; implicit-def: $vgpr10
	s_and_saveexec_b32 s2, s0
	s_xor_b32 s0, exec_lo, s2
; %bb.36:
	v_bfe_u32 v10, v14, 16, 1
	v_add3_u32 v10, v14, v10, 0x7fff
                                        ; implicit-def: $vgpr14
; %bb.37:
	s_andn2_saveexec_b32 s2, s0
; %bb.38:
	v_mov_b32_e32 v10, 0
	v_or_b32_e32 v15, 0x10000, v14
	v_cmp_eq_u32_sdwa s0, v14, v10 src0_sel:WORD_0 src1_sel:DWORD
	v_cndmask_b32_e64 v10, v15, v14, s0
; %bb.39:
	s_or_b32 exec_lo, exec_lo, s2
	v_add_co_u32 v14, s0, v12, v3
	v_add_co_ci_u32_e64 v15, null, v13, v4, s0
	flat_store_short_d16_hi v[14:15], v10
.LBB160_40:
	s_or_b32 exec_lo, exec_lo, s1
	v_add_co_u32 v5, s0, v5, 16
	v_add_co_ci_u32_e64 v6, null, 0, v6, s0
	v_cmp_gt_i64_e64 s0, s[28:29], v[5:6]
	s_and_saveexec_b32 s2, s0
	s_cbranch_execz .LBB160_50
; %bb.41:
	v_add_co_u32 v5, s1, v0, v3
	v_add_co_ci_u32_e64 v6, null, v11, v4, s1
	flat_load_ushort v5, v[5:6] offset:32
	s_waitcnt vmcnt(0) lgkmcnt(0)
	v_lshlrev_b32_e32 v5, 16, v5
	v_mul_f32_e32 v5, s6, v5
	v_and_b32_e32 v6, 0x7f800000, v5
	v_cmp_ne_u32_e64 s1, 0x7f800000, v6
                                        ; implicit-def: $vgpr6
	s_and_saveexec_b32 s3, s1
	s_xor_b32 s1, exec_lo, s3
; %bb.42:
	v_bfe_u32 v6, v5, 16, 1
	v_add3_u32 v6, v5, v6, 0x7fff
                                        ; implicit-def: $vgpr5
; %bb.43:
	s_andn2_saveexec_b32 s3, s1
; %bb.44:
	v_mov_b32_e32 v6, 0
	v_or_b32_e32 v10, 0x10000, v5
	v_cmp_eq_u32_sdwa s1, v5, v6 src0_sel:WORD_0 src1_sel:DWORD
	v_cndmask_b32_e64 v6, v10, v5, s1
; %bb.45:
	s_or_b32 exec_lo, exec_lo, s3
	v_and_b32_e32 v5, 0xffff0000, v6
	v_fmac_f32_e32 v5, s4, v9
	v_and_b32_e32 v6, 0x7f800000, v5
	v_cmp_ne_u32_e64 s1, 0x7f800000, v6
                                        ; implicit-def: $vgpr6
	s_and_saveexec_b32 s3, s1
	s_xor_b32 s1, exec_lo, s3
; %bb.46:
	v_bfe_u32 v6, v5, 16, 1
	v_add3_u32 v6, v5, v6, 0x7fff
                                        ; implicit-def: $vgpr5
; %bb.47:
	s_andn2_saveexec_b32 s3, s1
; %bb.48:
	v_mov_b32_e32 v6, 0
	v_or_b32_e32 v9, 0x10000, v5
	v_cmp_eq_u32_sdwa s1, v5, v6 src0_sel:WORD_0 src1_sel:DWORD
	v_cndmask_b32_e64 v6, v9, v5, s1
; %bb.49:
	s_or_b32 exec_lo, exec_lo, s3
	v_add_co_u32 v9, s1, v12, v3
	v_add_co_ci_u32_e64 v10, null, v13, v4, s1
	flat_store_short_d16_hi v[9:10], v6 offset:32
.LBB160_50:
	s_or_b32 exec_lo, exec_lo, s2
	v_add_co_u32 v1, s1, v1, 16
	v_add_co_ci_u32_e64 v2, null, 0, v2, s1
	v_cmp_gt_i64_e64 s1, s[30:31], v[1:2]
	s_and_b32 exec_lo, exec_lo, s1
	s_cbranch_execz .LBB160_27
; %bb.51:
	s_lshl_b64 s[2:3], s[14:15], 5
	v_add_co_u32 v0, s1, v0, s2
	v_add_co_ci_u32_e64 v1, null, s3, v11, s1
	s_lshl_b64 s[2:3], s[8:9], 5
	v_add_co_u32 v2, s1, v12, s2
	v_add_co_ci_u32_e64 v9, null, s3, v13, s1
	v_add_co_u32 v5, s1, v0, v3
	v_add_co_ci_u32_e64 v6, null, v1, v4, s1
	;; [unrolled: 2-line block ×3, first 2 shown]
	s_and_saveexec_b32 s1, vcc_lo
	s_cbranch_execz .LBB160_61
; %bb.52:
	flat_load_ushort v2, v[5:6]
	s_waitcnt vmcnt(0) lgkmcnt(0)
	v_lshlrev_b32_e32 v2, 16, v2
	v_mul_f32_e32 v2, s6, v2
	v_and_b32_e32 v3, 0x7f800000, v2
	v_cmp_ne_u32_e32 vcc_lo, 0x7f800000, v3
                                        ; implicit-def: $vgpr3
	s_and_saveexec_b32 s2, vcc_lo
	s_xor_b32 s2, exec_lo, s2
; %bb.53:
	v_bfe_u32 v3, v2, 16, 1
	v_add3_u32 v3, v2, v3, 0x7fff
                                        ; implicit-def: $vgpr2
; %bb.54:
	s_andn2_saveexec_b32 s2, s2
; %bb.55:
	v_mov_b32_e32 v3, 0
	v_or_b32_e32 v4, 0x10000, v2
	v_cmp_eq_u32_sdwa vcc_lo, v2, v3 src0_sel:WORD_0 src1_sel:DWORD
	v_cndmask_b32_e32 v3, v4, v2, vcc_lo
; %bb.56:
	s_or_b32 exec_lo, exec_lo, s2
	v_and_b32_e32 v2, 0xffff0000, v3
	v_fmac_f32_e32 v2, s4, v8
	v_and_b32_e32 v3, 0x7f800000, v2
	v_cmp_ne_u32_e32 vcc_lo, 0x7f800000, v3
                                        ; implicit-def: $vgpr3
	s_and_saveexec_b32 s2, vcc_lo
	s_xor_b32 s2, exec_lo, s2
; %bb.57:
	v_bfe_u32 v3, v2, 16, 1
	v_add3_u32 v3, v2, v3, 0x7fff
                                        ; implicit-def: $vgpr2
; %bb.58:
	s_andn2_saveexec_b32 s2, s2
; %bb.59:
	v_mov_b32_e32 v3, 0
	v_or_b32_e32 v4, 0x10000, v2
	v_cmp_eq_u32_sdwa vcc_lo, v2, v3 src0_sel:WORD_0 src1_sel:DWORD
	v_cndmask_b32_e32 v3, v4, v2, vcc_lo
; %bb.60:
	s_or_b32 exec_lo, exec_lo, s2
	flat_store_short_d16_hi v[0:1], v3
.LBB160_61:
	s_or_b32 exec_lo, exec_lo, s1
	s_and_b32 exec_lo, exec_lo, s0
	s_cbranch_execz .LBB160_27
; %bb.62:
	flat_load_ushort v2, v[5:6] offset:32
	s_waitcnt vmcnt(0) lgkmcnt(0)
	v_lshlrev_b32_e32 v2, 16, v2
	v_mul_f32_e32 v2, s6, v2
	v_and_b32_e32 v3, 0x7f800000, v2
	v_cmp_ne_u32_e32 vcc_lo, 0x7f800000, v3
                                        ; implicit-def: $vgpr3
	s_and_saveexec_b32 s0, vcc_lo
	s_xor_b32 s0, exec_lo, s0
; %bb.63:
	v_bfe_u32 v3, v2, 16, 1
	v_add3_u32 v3, v2, v3, 0x7fff
                                        ; implicit-def: $vgpr2
; %bb.64:
	s_andn2_saveexec_b32 s0, s0
; %bb.65:
	v_mov_b32_e32 v3, 0
	v_or_b32_e32 v4, 0x10000, v2
	v_cmp_eq_u32_sdwa vcc_lo, v2, v3 src0_sel:WORD_0 src1_sel:DWORD
	v_cndmask_b32_e32 v3, v4, v2, vcc_lo
; %bb.66:
	s_or_b32 exec_lo, exec_lo, s0
	v_and_b32_e32 v2, 0xffff0000, v3
	v_fmac_f32_e32 v2, s4, v7
	v_and_b32_e32 v3, 0x7f800000, v2
	v_cmp_ne_u32_e32 vcc_lo, 0x7f800000, v3
                                        ; implicit-def: $vgpr3
	s_and_saveexec_b32 s0, vcc_lo
	s_xor_b32 s0, exec_lo, s0
; %bb.67:
	v_bfe_u32 v3, v2, 16, 1
	v_add3_u32 v3, v2, v3, 0x7fff
                                        ; implicit-def: $vgpr2
; %bb.68:
	s_andn2_saveexec_b32 s0, s0
; %bb.69:
	v_mov_b32_e32 v3, 0
	v_or_b32_e32 v4, 0x10000, v2
	v_cmp_eq_u32_sdwa vcc_lo, v2, v3 src0_sel:WORD_0 src1_sel:DWORD
	v_cndmask_b32_e32 v3, v4, v2, vcc_lo
; %bb.70:
	s_or_b32 exec_lo, exec_lo, s0
	flat_store_short_d16_hi v[0:1], v3 offset:32
	s_endpgm
	.section	.rodata,"a",@progbits
	.p2align	6, 0x0
	.amdhsa_kernel _ZN12_GLOBAL__N_135rocblas_gemm_batched_general_kernelIfLi16ELi16ELi32ELi32ELi8ELi32ELi8ELi8ELi32ELc78ELc84EKPK16rocblas_bfloat16S4_KPS1_EEvlllT_PT11_llS9_llS7_PT12_llPT13_lli
		.amdhsa_group_segment_fixed_size 2048
		.amdhsa_private_segment_fixed_size 0
		.amdhsa_kernarg_size 140
		.amdhsa_user_sgpr_count 6
		.amdhsa_user_sgpr_private_segment_buffer 1
		.amdhsa_user_sgpr_dispatch_ptr 0
		.amdhsa_user_sgpr_queue_ptr 0
		.amdhsa_user_sgpr_kernarg_segment_ptr 1
		.amdhsa_user_sgpr_dispatch_id 0
		.amdhsa_user_sgpr_flat_scratch_init 0
		.amdhsa_user_sgpr_private_segment_size 0
		.amdhsa_wavefront_size32 1
		.amdhsa_uses_dynamic_stack 0
		.amdhsa_system_sgpr_private_segment_wavefront_offset 0
		.amdhsa_system_sgpr_workgroup_id_x 1
		.amdhsa_system_sgpr_workgroup_id_y 1
		.amdhsa_system_sgpr_workgroup_id_z 1
		.amdhsa_system_sgpr_workgroup_info 0
		.amdhsa_system_vgpr_workitem_id 1
		.amdhsa_next_free_vgpr 44
		.amdhsa_next_free_sgpr 46
		.amdhsa_reserve_vcc 1
		.amdhsa_reserve_flat_scratch 0
		.amdhsa_float_round_mode_32 0
		.amdhsa_float_round_mode_16_64 0
		.amdhsa_float_denorm_mode_32 3
		.amdhsa_float_denorm_mode_16_64 3
		.amdhsa_dx10_clamp 1
		.amdhsa_ieee_mode 1
		.amdhsa_fp16_overflow 0
		.amdhsa_workgroup_processor_mode 1
		.amdhsa_memory_ordered 1
		.amdhsa_forward_progress 1
		.amdhsa_shared_vgpr_count 0
		.amdhsa_exception_fp_ieee_invalid_op 0
		.amdhsa_exception_fp_denorm_src 0
		.amdhsa_exception_fp_ieee_div_zero 0
		.amdhsa_exception_fp_ieee_overflow 0
		.amdhsa_exception_fp_ieee_underflow 0
		.amdhsa_exception_fp_ieee_inexact 0
		.amdhsa_exception_int_div_zero 0
	.end_amdhsa_kernel
	.section	.text._ZN12_GLOBAL__N_135rocblas_gemm_batched_general_kernelIfLi16ELi16ELi32ELi32ELi8ELi32ELi8ELi8ELi32ELc78ELc84EKPK16rocblas_bfloat16S4_KPS1_EEvlllT_PT11_llS9_llS7_PT12_llPT13_lli,"axG",@progbits,_ZN12_GLOBAL__N_135rocblas_gemm_batched_general_kernelIfLi16ELi16ELi32ELi32ELi8ELi32ELi8ELi8ELi32ELc78ELc84EKPK16rocblas_bfloat16S4_KPS1_EEvlllT_PT11_llS9_llS7_PT12_llPT13_lli,comdat
.Lfunc_end160:
	.size	_ZN12_GLOBAL__N_135rocblas_gemm_batched_general_kernelIfLi16ELi16ELi32ELi32ELi8ELi32ELi8ELi8ELi32ELc78ELc84EKPK16rocblas_bfloat16S4_KPS1_EEvlllT_PT11_llS9_llS7_PT12_llPT13_lli, .Lfunc_end160-_ZN12_GLOBAL__N_135rocblas_gemm_batched_general_kernelIfLi16ELi16ELi32ELi32ELi8ELi32ELi8ELi8ELi32ELc78ELc84EKPK16rocblas_bfloat16S4_KPS1_EEvlllT_PT11_llS9_llS7_PT12_llPT13_lli
                                        ; -- End function
	.set _ZN12_GLOBAL__N_135rocblas_gemm_batched_general_kernelIfLi16ELi16ELi32ELi32ELi8ELi32ELi8ELi8ELi32ELc78ELc84EKPK16rocblas_bfloat16S4_KPS1_EEvlllT_PT11_llS9_llS7_PT12_llPT13_lli.num_vgpr, 44
	.set _ZN12_GLOBAL__N_135rocblas_gemm_batched_general_kernelIfLi16ELi16ELi32ELi32ELi8ELi32ELi8ELi8ELi32ELc78ELc84EKPK16rocblas_bfloat16S4_KPS1_EEvlllT_PT11_llS9_llS7_PT12_llPT13_lli.num_agpr, 0
	.set _ZN12_GLOBAL__N_135rocblas_gemm_batched_general_kernelIfLi16ELi16ELi32ELi32ELi8ELi32ELi8ELi8ELi32ELc78ELc84EKPK16rocblas_bfloat16S4_KPS1_EEvlllT_PT11_llS9_llS7_PT12_llPT13_lli.numbered_sgpr, 46
	.set _ZN12_GLOBAL__N_135rocblas_gemm_batched_general_kernelIfLi16ELi16ELi32ELi32ELi8ELi32ELi8ELi8ELi32ELc78ELc84EKPK16rocblas_bfloat16S4_KPS1_EEvlllT_PT11_llS9_llS7_PT12_llPT13_lli.num_named_barrier, 0
	.set _ZN12_GLOBAL__N_135rocblas_gemm_batched_general_kernelIfLi16ELi16ELi32ELi32ELi8ELi32ELi8ELi8ELi32ELc78ELc84EKPK16rocblas_bfloat16S4_KPS1_EEvlllT_PT11_llS9_llS7_PT12_llPT13_lli.private_seg_size, 0
	.set _ZN12_GLOBAL__N_135rocblas_gemm_batched_general_kernelIfLi16ELi16ELi32ELi32ELi8ELi32ELi8ELi8ELi32ELc78ELc84EKPK16rocblas_bfloat16S4_KPS1_EEvlllT_PT11_llS9_llS7_PT12_llPT13_lli.uses_vcc, 1
	.set _ZN12_GLOBAL__N_135rocblas_gemm_batched_general_kernelIfLi16ELi16ELi32ELi32ELi8ELi32ELi8ELi8ELi32ELc78ELc84EKPK16rocblas_bfloat16S4_KPS1_EEvlllT_PT11_llS9_llS7_PT12_llPT13_lli.uses_flat_scratch, 0
	.set _ZN12_GLOBAL__N_135rocblas_gemm_batched_general_kernelIfLi16ELi16ELi32ELi32ELi8ELi32ELi8ELi8ELi32ELc78ELc84EKPK16rocblas_bfloat16S4_KPS1_EEvlllT_PT11_llS9_llS7_PT12_llPT13_lli.has_dyn_sized_stack, 0
	.set _ZN12_GLOBAL__N_135rocblas_gemm_batched_general_kernelIfLi16ELi16ELi32ELi32ELi8ELi32ELi8ELi8ELi32ELc78ELc84EKPK16rocblas_bfloat16S4_KPS1_EEvlllT_PT11_llS9_llS7_PT12_llPT13_lli.has_recursion, 0
	.set _ZN12_GLOBAL__N_135rocblas_gemm_batched_general_kernelIfLi16ELi16ELi32ELi32ELi8ELi32ELi8ELi8ELi32ELc78ELc84EKPK16rocblas_bfloat16S4_KPS1_EEvlllT_PT11_llS9_llS7_PT12_llPT13_lli.has_indirect_call, 0
	.section	.AMDGPU.csdata,"",@progbits
; Kernel info:
; codeLenInByte = 2908
; TotalNumSgprs: 48
; NumVgprs: 44
; ScratchSize: 0
; MemoryBound: 0
; FloatMode: 240
; IeeeMode: 1
; LDSByteSize: 2048 bytes/workgroup (compile time only)
; SGPRBlocks: 0
; VGPRBlocks: 5
; NumSGPRsForWavesPerEU: 48
; NumVGPRsForWavesPerEU: 44
; Occupancy: 16
; WaveLimiterHint : 1
; COMPUTE_PGM_RSRC2:SCRATCH_EN: 0
; COMPUTE_PGM_RSRC2:USER_SGPR: 6
; COMPUTE_PGM_RSRC2:TRAP_HANDLER: 0
; COMPUTE_PGM_RSRC2:TGID_X_EN: 1
; COMPUTE_PGM_RSRC2:TGID_Y_EN: 1
; COMPUTE_PGM_RSRC2:TGID_Z_EN: 1
; COMPUTE_PGM_RSRC2:TIDIG_COMP_CNT: 1
	.section	.text._ZN12_GLOBAL__N_135rocblas_gemm_batched_general_kernelIfLi16ELi16ELi32ELi32ELi8ELi32ELi8ELi8ELi32ELc84ELc84EKPK16rocblas_bfloat16S4_KPS1_EEvlllT_PT11_llS9_llS7_PT12_llPT13_lli,"axG",@progbits,_ZN12_GLOBAL__N_135rocblas_gemm_batched_general_kernelIfLi16ELi16ELi32ELi32ELi8ELi32ELi8ELi8ELi32ELc84ELc84EKPK16rocblas_bfloat16S4_KPS1_EEvlllT_PT11_llS9_llS7_PT12_llPT13_lli,comdat
	.globl	_ZN12_GLOBAL__N_135rocblas_gemm_batched_general_kernelIfLi16ELi16ELi32ELi32ELi8ELi32ELi8ELi8ELi32ELc84ELc84EKPK16rocblas_bfloat16S4_KPS1_EEvlllT_PT11_llS9_llS7_PT12_llPT13_lli ; -- Begin function _ZN12_GLOBAL__N_135rocblas_gemm_batched_general_kernelIfLi16ELi16ELi32ELi32ELi8ELi32ELi8ELi8ELi32ELc84ELc84EKPK16rocblas_bfloat16S4_KPS1_EEvlllT_PT11_llS9_llS7_PT12_llPT13_lli
	.p2align	8
	.type	_ZN12_GLOBAL__N_135rocblas_gemm_batched_general_kernelIfLi16ELi16ELi32ELi32ELi8ELi32ELi8ELi8ELi32ELc84ELc84EKPK16rocblas_bfloat16S4_KPS1_EEvlllT_PT11_llS9_llS7_PT12_llPT13_lli,@function
_ZN12_GLOBAL__N_135rocblas_gemm_batched_general_kernelIfLi16ELi16ELi32ELi32ELi8ELi32ELi8ELi8ELi32ELc84ELc84EKPK16rocblas_bfloat16S4_KPS1_EEvlllT_PT11_llS9_llS7_PT12_llPT13_lli: ; @_ZN12_GLOBAL__N_135rocblas_gemm_batched_general_kernelIfLi16ELi16ELi32ELi32ELi8ELi32ELi8ELi8ELi32ELc84ELc84EKPK16rocblas_bfloat16S4_KPS1_EEvlllT_PT11_llS9_llS7_PT12_llPT13_lli
; %bb.0:
	s_clause 0x1
	s_load_dwordx8 s[12:19], s[4:5], 0x58
	s_load_dwordx2 s[34:35], s[4:5], 0x10
	s_mov_b32 s9, 0
	s_load_dwordx4 s[28:31], s[4:5], 0x0
	s_lshl_b64 s[42:43], s[8:9], 3
	s_load_dwordx4 s[8:11], s[4:5], 0x78
	s_mov_b32 s40, s7
	v_mov_b32_e32 v10, 0
	v_mov_b32_e32 v9, 0
	;; [unrolled: 1-line block ×4, first 2 shown]
	s_waitcnt lgkmcnt(0)
	s_add_u32 s0, s12, s42
	s_addc_u32 s1, s13, s43
	s_add_u32 s2, s18, s42
	s_addc_u32 s3, s19, s43
	s_load_dwordx2 s[12:13], s[0:1], 0x0
	s_load_dwordx2 s[2:3], s[2:3], 0x0
	v_cmp_lt_i64_e64 s0, s[34:35], 1
	s_ashr_i32 s7, s6, 31
	s_ashr_i32 s41, s40, 31
	s_lshl_b64 s[6:7], s[6:7], 5
	s_lshl_b64 s[18:19], s[40:41], 5
	s_and_b32 vcc_lo, exec_lo, s0
	s_cbranch_vccnz .LBB161_7
; %bb.1:
	s_clause 0x1
	s_load_dwordx4 s[36:39], s[4:5], 0x40
	s_load_dwordx8 s[20:27], s[4:5], 0x20
	v_lshl_add_u32 v2, v1, 4, v0
	v_and_b32_e32 v6, 7, v0
	v_mov_b32_e32 v3, s7
	v_mov_b32_e32 v7, 0
	v_lshlrev_b32_e32 v11, 2, v0
	v_and_b32_e32 v14, 31, v2
	v_lshrrev_b32_e32 v10, 3, v2
	v_lshrrev_b32_e32 v13, 5, v2
	v_lshlrev_b32_e32 v15, 2, v6
	v_lshl_add_u32 v12, v1, 5, 0x400
	v_or_b32_e32 v2, s6, v14
	v_add_co_u32 v4, s0, v10, s18
	v_add_co_ci_u32_e64 v5, null, 0, s19, s0
	v_add_co_u32 v17, s0, s6, v14
	v_add_co_ci_u32_e64 v18, null, s7, 0, s0
	s_waitcnt lgkmcnt(0)
	v_mad_u64_u32 v[8:9], null, s36, v6, 0
	v_cmp_gt_i64_e64 s0, s[28:29], v[2:3]
	v_lshlrev_b32_e32 v16, 2, v14
	v_cmp_gt_i64_e64 s1, s[30:31], v[4:5]
	v_mul_lo_u32 v5, s23, v17
	s_add_u32 s26, s26, s42
	s_addc_u32 s27, s27, s43
	v_mov_b32_e32 v2, v9
	v_lshl_or_b32 v14, v13, 7, v16
	v_mul_lo_u32 v16, s22, v18
	s_add_u32 s20, s20, s42
	s_addc_u32 s21, s21, s43
	v_mad_u64_u32 v[2:3], null, s37, v6, v[2:3]
	v_mad_u64_u32 v[3:4], null, s22, v17, 0
	s_load_dwordx2 s[22:23], s[26:27], 0x0
	s_load_dwordx2 s[20:21], s[20:21], 0x0
	s_lshl_b64 s[26:27], s[40:41], 6
	s_lshl_b64 s[38:39], s[38:39], 1
	v_mov_b32_e32 v9, v2
	s_add_u32 s26, s38, s26
	v_add3_u32 v4, v4, v16, v5
	s_addc_u32 s27, s39, s27
	s_lshl_b64 s[24:25], s[24:25], 1
	v_lshlrev_b64 v[8:9], 1, v[8:9]
	v_lshl_or_b32 v15, v10, 5, v15
	v_lshlrev_b64 v[2:3], 1, v[3:4]
	v_add_nc_u32_e32 v15, 0x400, v15
	v_add_co_u32 v4, vcc_lo, s26, v8
	v_lshlrev_b32_e32 v8, 1, v10
	v_add_co_ci_u32_e64 v5, null, s27, v9, vcc_lo
	v_add_co_u32 v2, vcc_lo, v2, s24
	v_lshlrev_b32_e32 v9, 1, v13
	v_add_co_ci_u32_e64 v3, null, s25, v3, vcc_lo
	v_add_co_u32 v4, vcc_lo, v4, v8
	v_add_co_ci_u32_e64 v5, null, 0, v5, vcc_lo
	v_add_co_u32 v8, vcc_lo, v2, v9
	v_add_co_ci_u32_e64 v9, null, 0, v3, vcc_lo
	s_waitcnt lgkmcnt(0)
	v_add_co_u32 v2, vcc_lo, s22, v4
	v_add_co_ci_u32_e64 v3, null, s23, v5, vcc_lo
	v_add_co_u32 v4, vcc_lo, s20, v8
	v_add_co_ci_u32_e64 v5, null, s21, v9, vcc_lo
	v_mov_b32_e32 v8, 0
	v_mov_b32_e32 v9, 0
	;; [unrolled: 1-line block ×3, first 2 shown]
	s_lshl_b64 s[20:21], s[36:37], 4
	s_mov_b64 s[22:23], 0
	s_branch .LBB161_3
.LBB161_2:                              ;   in Loop: Header=BB161_3 Depth=1
	s_or_b32 exec_lo, exec_lo, s24
	ds_write_b32 v15, v17
	s_waitcnt lgkmcnt(0)
	s_barrier
	buffer_gl0_inv
	ds_read_b128 v[16:19], v12
	ds_read2_b32 v[32:33], v11 offset1:16
	ds_read_b128 v[20:23], v12 offset:512
	ds_read2_b32 v[34:35], v11 offset0:32 offset1:48
	ds_read2_b32 v[36:37], v11 offset0:64 offset1:80
	;; [unrolled: 1-line block ×3, first 2 shown]
	ds_read_b128 v[24:27], v12 offset:16
	ds_read2_b32 v[40:41], v11 offset0:128 offset1:144
	ds_read_b128 v[28:31], v12 offset:528
	ds_read2_b32 v[42:43], v11 offset0:160 offset1:176
	s_add_u32 s22, s22, 8
	s_addc_u32 s23, s23, 0
	v_add_co_u32 v2, vcc_lo, v2, s20
	v_cmp_lt_i64_e64 s24, s[22:23], s[34:35]
	v_add_co_ci_u32_e64 v3, null, s21, v3, vcc_lo
	v_add_co_u32 v4, vcc_lo, v4, 16
	v_add_co_ci_u32_e64 v5, null, 0, v5, vcc_lo
	s_waitcnt lgkmcnt(8)
	v_fmac_f32_e32 v10, v32, v16
	v_fmac_f32_e32 v9, v33, v16
	s_waitcnt lgkmcnt(7)
	v_fmac_f32_e32 v8, v32, v20
	v_fmac_f32_e32 v7, v33, v20
	ds_read2_b32 v[32:33], v11 offset0:192 offset1:208
	s_waitcnt lgkmcnt(7)
	v_fmac_f32_e32 v10, v34, v17
	v_fmac_f32_e32 v9, v35, v17
	;; [unrolled: 1-line block ×4, first 2 shown]
	ds_read2_b32 v[16:17], v11 offset0:224 offset1:240
	s_waitcnt lgkmcnt(7)
	v_fmac_f32_e32 v10, v36, v18
	v_fmac_f32_e32 v9, v37, v18
	;; [unrolled: 1-line block ×4, first 2 shown]
	s_and_b32 vcc_lo, exec_lo, s24
	s_waitcnt lgkmcnt(6)
	v_fmac_f32_e32 v10, v38, v19
	v_fmac_f32_e32 v9, v39, v19
	;; [unrolled: 1-line block ×4, first 2 shown]
	s_waitcnt lgkmcnt(0)
	v_fmac_f32_e32 v10, v40, v24
	v_fmac_f32_e32 v9, v41, v24
	;; [unrolled: 1-line block ×4, first 2 shown]
	s_barrier
	v_fmac_f32_e32 v10, v42, v25
	v_fmac_f32_e32 v9, v43, v25
	v_fmac_f32_e32 v8, v42, v29
	v_fmac_f32_e32 v7, v43, v29
	buffer_gl0_inv
	v_fmac_f32_e32 v10, v32, v26
	v_fmac_f32_e32 v9, v33, v26
	;; [unrolled: 1-line block ×8, first 2 shown]
	s_cbranch_vccz .LBB161_7
.LBB161_3:                              ; =>This Inner Loop Header: Depth=1
	v_add_co_u32 v16, s24, v13, s22
	v_add_co_ci_u32_e64 v17, null, 0, s23, s24
	v_cmp_gt_i64_e32 vcc_lo, s[34:35], v[16:17]
	v_mov_b32_e32 v16, 0
	s_and_b32 s25, s0, vcc_lo
	s_and_saveexec_b32 s24, s25
	s_cbranch_execz .LBB161_5
; %bb.4:                                ;   in Loop: Header=BB161_3 Depth=1
	flat_load_ushort v16, v[4:5]
	s_waitcnt vmcnt(0) lgkmcnt(0)
	v_lshlrev_b32_e32 v16, 16, v16
.LBB161_5:                              ;   in Loop: Header=BB161_3 Depth=1
	s_or_b32 exec_lo, exec_lo, s24
	v_add_co_u32 v17, s24, v6, s22
	v_add_co_ci_u32_e64 v18, null, 0, s23, s24
	ds_write_b32 v14, v16
	v_cmp_gt_i64_e32 vcc_lo, s[34:35], v[17:18]
	v_mov_b32_e32 v17, 0
	s_and_b32 s25, vcc_lo, s1
	s_and_saveexec_b32 s24, s25
	s_cbranch_execz .LBB161_2
; %bb.6:                                ;   in Loop: Header=BB161_3 Depth=1
	flat_load_ushort v16, v[2:3]
	s_waitcnt vmcnt(0) lgkmcnt(0)
	v_lshlrev_b32_e32 v17, 16, v16
	s_branch .LBB161_2
.LBB161_7:
	s_clause 0x1
	s_load_dword s20, s[4:5], 0x50
	s_load_dword s4, s[4:5], 0x18
	v_add_co_u32 v1, s5, s18, v1
	v_add_co_ci_u32_e64 v2, null, s19, 0, s5
	s_lshl_b64 s[0:1], s[10:11], 1
	s_waitcnt lgkmcnt(0)
	s_add_u32 s5, s2, s0
	v_cmp_gt_i64_e64 s0, s[30:31], v[1:2]
	s_addc_u32 s3, s3, s1
	v_cmp_neq_f32_e64 s10, s20, 0
	s_and_b32 vcc_lo, exec_lo, s10
	s_cbranch_vccnz .LBB161_28
; %bb.8:
	s_and_saveexec_b32 s10, s0
	s_cbranch_execz .LBB161_26
; %bb.9:
	v_mul_lo_u32 v3, v2, s8
	v_mul_lo_u32 v4, v1, s9
	v_mad_u64_u32 v[5:6], null, v1, s8, 0
	v_add3_u32 v6, v6, v4, v3
	v_add_co_u32 v3, s1, s6, v0
	v_add_co_ci_u32_e64 v4, null, s7, 0, s1
	v_lshlrev_b64 v[5:6], 1, v[5:6]
	v_cmp_gt_i64_e32 vcc_lo, s[28:29], v[3:4]
	v_add_co_u32 v5, s1, s5, v5
	v_add_co_ci_u32_e64 v6, null, s3, v6, s1
	s_and_saveexec_b32 s2, vcc_lo
	s_cbranch_execz .LBB161_15
; %bb.10:
	v_mul_f32_e32 v12, s4, v10
	v_and_b32_e32 v11, 0x7f800000, v12
	v_cmp_ne_u32_e64 s1, 0x7f800000, v11
                                        ; implicit-def: $vgpr11
	s_and_saveexec_b32 s11, s1
	s_xor_b32 s1, exec_lo, s11
; %bb.11:
	v_bfe_u32 v11, v12, 16, 1
	v_add3_u32 v11, v12, v11, 0x7fff
                                        ; implicit-def: $vgpr12
; %bb.12:
	s_andn2_saveexec_b32 s11, s1
; %bb.13:
	v_mov_b32_e32 v11, 0
	v_or_b32_e32 v13, 0x10000, v12
	v_cmp_eq_u32_sdwa s1, v12, v11 src0_sel:WORD_0 src1_sel:DWORD
	v_cndmask_b32_e64 v11, v13, v12, s1
; %bb.14:
	s_or_b32 exec_lo, exec_lo, s11
	v_lshlrev_b64 v[12:13], 1, v[3:4]
	v_add_co_u32 v12, s1, v5, v12
	v_add_co_ci_u32_e64 v13, null, v6, v13, s1
	flat_store_short_d16_hi v[12:13], v11
.LBB161_15:
	s_or_b32 exec_lo, exec_lo, s2
	v_add_co_u32 v11, s1, v3, 16
	v_add_co_ci_u32_e64 v12, null, 0, v4, s1
	v_cmp_gt_i64_e64 s1, s[28:29], v[11:12]
	s_and_saveexec_b32 s11, s1
	s_cbranch_execz .LBB161_21
; %bb.16:
	v_mul_f32_e32 v12, s4, v9
	v_and_b32_e32 v11, 0x7f800000, v12
	v_cmp_ne_u32_e64 s2, 0x7f800000, v11
                                        ; implicit-def: $vgpr11
	s_and_saveexec_b32 s18, s2
	s_xor_b32 s2, exec_lo, s18
; %bb.17:
	v_bfe_u32 v11, v12, 16, 1
	v_add3_u32 v11, v12, v11, 0x7fff
                                        ; implicit-def: $vgpr12
; %bb.18:
	s_andn2_saveexec_b32 s18, s2
; %bb.19:
	v_mov_b32_e32 v11, 0
	v_or_b32_e32 v13, 0x10000, v12
	v_cmp_eq_u32_sdwa s2, v12, v11 src0_sel:WORD_0 src1_sel:DWORD
	v_cndmask_b32_e64 v11, v13, v12, s2
; %bb.20:
	s_or_b32 exec_lo, exec_lo, s18
	v_lshlrev_b64 v[12:13], 1, v[3:4]
	v_add_co_u32 v12, s2, v5, v12
	v_add_co_ci_u32_e64 v13, null, v6, v13, s2
	flat_store_short_d16_hi v[12:13], v11 offset:32
.LBB161_21:
	s_or_b32 exec_lo, exec_lo, s11
	v_add_co_u32 v11, s2, v1, 16
	v_add_co_ci_u32_e64 v12, null, 0, v2, s2
	v_cmp_gt_i64_e64 s2, s[30:31], v[11:12]
	s_and_b32 exec_lo, exec_lo, s2
	s_cbranch_execz .LBB161_26
; %bb.22:
	s_lshl_b64 s[18:19], s[8:9], 5
	v_lshlrev_b64 v[3:4], 1, v[3:4]
	v_add_co_u32 v5, s2, v5, s18
	v_add_co_ci_u32_e64 v6, null, s19, v6, s2
	v_add_co_u32 v3, s2, v5, v3
	v_add_co_ci_u32_e64 v4, null, v6, v4, s2
	s_and_saveexec_b32 s2, vcc_lo
	s_cbranch_execz .LBB161_24
; %bb.23:
	v_mul_f32_e32 v5, s4, v8
	v_mov_b32_e32 v11, 0
	v_bfe_u32 v6, v5, 16, 1
	v_or_b32_e32 v12, 0x10000, v5
	v_and_b32_e32 v13, 0x7f800000, v5
	v_cmp_eq_u32_sdwa vcc_lo, v5, v11 src0_sel:WORD_0 src1_sel:DWORD
	v_add3_u32 v6, v5, v6, 0x7fff
	v_cndmask_b32_e32 v5, v12, v5, vcc_lo
	v_cmp_eq_u32_e32 vcc_lo, 0x7f800000, v13
	v_cndmask_b32_e32 v5, v6, v5, vcc_lo
	flat_store_short_d16_hi v[3:4], v5
.LBB161_24:
	s_or_b32 exec_lo, exec_lo, s2
	s_and_b32 exec_lo, exec_lo, s1
	s_cbranch_execz .LBB161_26
; %bb.25:
	v_mul_f32_e32 v5, s4, v7
	v_mov_b32_e32 v11, 0
	v_bfe_u32 v6, v5, 16, 1
	v_or_b32_e32 v12, 0x10000, v5
	v_and_b32_e32 v13, 0x7f800000, v5
	v_cmp_eq_u32_sdwa vcc_lo, v5, v11 src0_sel:WORD_0 src1_sel:DWORD
	v_add3_u32 v6, v5, v6, 0x7fff
	v_cndmask_b32_e32 v5, v12, v5, vcc_lo
	v_cmp_eq_u32_e32 vcc_lo, 0x7f800000, v13
	v_cndmask_b32_e32 v5, v6, v5, vcc_lo
	flat_store_short_d16_hi v[3:4], v5 offset:32
.LBB161_26:
	s_or_b32 exec_lo, exec_lo, s10
	s_cbranch_execz .LBB161_29
.LBB161_27:
	s_endpgm
.LBB161_28:
.LBB161_29:
	s_and_saveexec_b32 s1, s0
	s_cbranch_execz .LBB161_27
; %bb.30:
	v_mul_lo_u32 v5, v2, s14
	v_mul_lo_u32 v6, v1, s15
	v_mad_u64_u32 v[3:4], null, v1, s14, 0
	v_mul_lo_u32 v13, v2, s8
	v_mul_lo_u32 v14, v1, s9
	v_mad_u64_u32 v[11:12], null, v1, s8, 0
	s_lshl_b64 s[0:1], s[16:17], 1
	v_add3_u32 v4, v4, v6, v5
	v_add_co_u32 v5, s2, s6, v0
	v_add_co_ci_u32_e64 v6, null, s7, 0, s2
	v_add3_u32 v12, v12, v14, v13
	v_lshlrev_b64 v[3:4], 1, v[3:4]
	s_add_u32 s0, s12, s0
	s_addc_u32 s1, s13, s1
	v_cmp_gt_i64_e32 vcc_lo, s[28:29], v[5:6]
	v_lshlrev_b64 v[12:13], 1, v[11:12]
	v_add_co_u32 v0, s0, s0, v3
	v_add_co_ci_u32_e64 v11, null, s1, v4, s0
	v_add_co_u32 v12, s0, s5, v12
	v_lshlrev_b64 v[3:4], 1, v[5:6]
	v_add_co_ci_u32_e64 v13, null, s3, v13, s0
	s_and_saveexec_b32 s1, vcc_lo
	s_cbranch_execz .LBB161_40
; %bb.31:
	v_add_co_u32 v14, s0, v0, v3
	v_add_co_ci_u32_e64 v15, null, v11, v4, s0
	flat_load_ushort v14, v[14:15]
	s_waitcnt vmcnt(0) lgkmcnt(0)
	v_lshlrev_b32_e32 v14, 16, v14
	v_mul_f32_e32 v14, s20, v14
	v_and_b32_e32 v15, 0x7f800000, v14
	v_cmp_ne_u32_e64 s0, 0x7f800000, v15
                                        ; implicit-def: $vgpr15
	s_and_saveexec_b32 s2, s0
	s_xor_b32 s0, exec_lo, s2
; %bb.32:
	v_bfe_u32 v15, v14, 16, 1
	v_add3_u32 v15, v14, v15, 0x7fff
                                        ; implicit-def: $vgpr14
; %bb.33:
	s_andn2_saveexec_b32 s2, s0
; %bb.34:
	v_mov_b32_e32 v15, 0
	v_or_b32_e32 v16, 0x10000, v14
	v_cmp_eq_u32_sdwa s0, v14, v15 src0_sel:WORD_0 src1_sel:DWORD
	v_cndmask_b32_e64 v15, v16, v14, s0
; %bb.35:
	s_or_b32 exec_lo, exec_lo, s2
	v_and_b32_e32 v14, 0xffff0000, v15
	v_fmac_f32_e32 v14, s4, v10
	v_and_b32_e32 v10, 0x7f800000, v14
	v_cmp_ne_u32_e64 s0, 0x7f800000, v10
                                        ; implicit-def: $vgpr10
	s_and_saveexec_b32 s2, s0
	s_xor_b32 s0, exec_lo, s2
; %bb.36:
	v_bfe_u32 v10, v14, 16, 1
	v_add3_u32 v10, v14, v10, 0x7fff
                                        ; implicit-def: $vgpr14
; %bb.37:
	s_andn2_saveexec_b32 s2, s0
; %bb.38:
	v_mov_b32_e32 v10, 0
	v_or_b32_e32 v15, 0x10000, v14
	v_cmp_eq_u32_sdwa s0, v14, v10 src0_sel:WORD_0 src1_sel:DWORD
	v_cndmask_b32_e64 v10, v15, v14, s0
; %bb.39:
	s_or_b32 exec_lo, exec_lo, s2
	v_add_co_u32 v14, s0, v12, v3
	v_add_co_ci_u32_e64 v15, null, v13, v4, s0
	flat_store_short_d16_hi v[14:15], v10
.LBB161_40:
	s_or_b32 exec_lo, exec_lo, s1
	v_add_co_u32 v5, s0, v5, 16
	v_add_co_ci_u32_e64 v6, null, 0, v6, s0
	v_cmp_gt_i64_e64 s0, s[28:29], v[5:6]
	s_and_saveexec_b32 s2, s0
	s_cbranch_execz .LBB161_50
; %bb.41:
	v_add_co_u32 v5, s1, v0, v3
	v_add_co_ci_u32_e64 v6, null, v11, v4, s1
	flat_load_ushort v5, v[5:6] offset:32
	s_waitcnt vmcnt(0) lgkmcnt(0)
	v_lshlrev_b32_e32 v5, 16, v5
	v_mul_f32_e32 v5, s20, v5
	v_and_b32_e32 v6, 0x7f800000, v5
	v_cmp_ne_u32_e64 s1, 0x7f800000, v6
                                        ; implicit-def: $vgpr6
	s_and_saveexec_b32 s3, s1
	s_xor_b32 s1, exec_lo, s3
; %bb.42:
	v_bfe_u32 v6, v5, 16, 1
	v_add3_u32 v6, v5, v6, 0x7fff
                                        ; implicit-def: $vgpr5
; %bb.43:
	s_andn2_saveexec_b32 s3, s1
; %bb.44:
	v_mov_b32_e32 v6, 0
	v_or_b32_e32 v10, 0x10000, v5
	v_cmp_eq_u32_sdwa s1, v5, v6 src0_sel:WORD_0 src1_sel:DWORD
	v_cndmask_b32_e64 v6, v10, v5, s1
; %bb.45:
	s_or_b32 exec_lo, exec_lo, s3
	v_and_b32_e32 v5, 0xffff0000, v6
	v_fmac_f32_e32 v5, s4, v9
	v_and_b32_e32 v6, 0x7f800000, v5
	v_cmp_ne_u32_e64 s1, 0x7f800000, v6
                                        ; implicit-def: $vgpr6
	s_and_saveexec_b32 s3, s1
	s_xor_b32 s1, exec_lo, s3
; %bb.46:
	v_bfe_u32 v6, v5, 16, 1
	v_add3_u32 v6, v5, v6, 0x7fff
                                        ; implicit-def: $vgpr5
; %bb.47:
	s_andn2_saveexec_b32 s3, s1
; %bb.48:
	v_mov_b32_e32 v6, 0
	v_or_b32_e32 v9, 0x10000, v5
	v_cmp_eq_u32_sdwa s1, v5, v6 src0_sel:WORD_0 src1_sel:DWORD
	v_cndmask_b32_e64 v6, v9, v5, s1
; %bb.49:
	s_or_b32 exec_lo, exec_lo, s3
	v_add_co_u32 v9, s1, v12, v3
	v_add_co_ci_u32_e64 v10, null, v13, v4, s1
	flat_store_short_d16_hi v[9:10], v6 offset:32
.LBB161_50:
	s_or_b32 exec_lo, exec_lo, s2
	v_add_co_u32 v1, s1, v1, 16
	v_add_co_ci_u32_e64 v2, null, 0, v2, s1
	v_cmp_gt_i64_e64 s1, s[30:31], v[1:2]
	s_and_b32 exec_lo, exec_lo, s1
	s_cbranch_execz .LBB161_27
; %bb.51:
	s_lshl_b64 s[2:3], s[14:15], 5
	v_add_co_u32 v0, s1, v0, s2
	v_add_co_ci_u32_e64 v1, null, s3, v11, s1
	s_lshl_b64 s[2:3], s[8:9], 5
	v_add_co_u32 v2, s1, v12, s2
	v_add_co_ci_u32_e64 v9, null, s3, v13, s1
	v_add_co_u32 v5, s1, v0, v3
	v_add_co_ci_u32_e64 v6, null, v1, v4, s1
	;; [unrolled: 2-line block ×3, first 2 shown]
	s_and_saveexec_b32 s1, vcc_lo
	s_cbranch_execz .LBB161_61
; %bb.52:
	flat_load_ushort v2, v[5:6]
	s_waitcnt vmcnt(0) lgkmcnt(0)
	v_lshlrev_b32_e32 v2, 16, v2
	v_mul_f32_e32 v2, s20, v2
	v_and_b32_e32 v3, 0x7f800000, v2
	v_cmp_ne_u32_e32 vcc_lo, 0x7f800000, v3
                                        ; implicit-def: $vgpr3
	s_and_saveexec_b32 s2, vcc_lo
	s_xor_b32 s2, exec_lo, s2
; %bb.53:
	v_bfe_u32 v3, v2, 16, 1
	v_add3_u32 v3, v2, v3, 0x7fff
                                        ; implicit-def: $vgpr2
; %bb.54:
	s_andn2_saveexec_b32 s2, s2
; %bb.55:
	v_mov_b32_e32 v3, 0
	v_or_b32_e32 v4, 0x10000, v2
	v_cmp_eq_u32_sdwa vcc_lo, v2, v3 src0_sel:WORD_0 src1_sel:DWORD
	v_cndmask_b32_e32 v3, v4, v2, vcc_lo
; %bb.56:
	s_or_b32 exec_lo, exec_lo, s2
	v_and_b32_e32 v2, 0xffff0000, v3
	v_fmac_f32_e32 v2, s4, v8
	v_and_b32_e32 v3, 0x7f800000, v2
	v_cmp_ne_u32_e32 vcc_lo, 0x7f800000, v3
                                        ; implicit-def: $vgpr3
	s_and_saveexec_b32 s2, vcc_lo
	s_xor_b32 s2, exec_lo, s2
; %bb.57:
	v_bfe_u32 v3, v2, 16, 1
	v_add3_u32 v3, v2, v3, 0x7fff
                                        ; implicit-def: $vgpr2
; %bb.58:
	s_andn2_saveexec_b32 s2, s2
; %bb.59:
	v_mov_b32_e32 v3, 0
	v_or_b32_e32 v4, 0x10000, v2
	v_cmp_eq_u32_sdwa vcc_lo, v2, v3 src0_sel:WORD_0 src1_sel:DWORD
	v_cndmask_b32_e32 v3, v4, v2, vcc_lo
; %bb.60:
	s_or_b32 exec_lo, exec_lo, s2
	flat_store_short_d16_hi v[0:1], v3
.LBB161_61:
	s_or_b32 exec_lo, exec_lo, s1
	s_and_b32 exec_lo, exec_lo, s0
	s_cbranch_execz .LBB161_27
; %bb.62:
	flat_load_ushort v2, v[5:6] offset:32
	s_waitcnt vmcnt(0) lgkmcnt(0)
	v_lshlrev_b32_e32 v2, 16, v2
	v_mul_f32_e32 v2, s20, v2
	v_and_b32_e32 v3, 0x7f800000, v2
	v_cmp_ne_u32_e32 vcc_lo, 0x7f800000, v3
                                        ; implicit-def: $vgpr3
	s_and_saveexec_b32 s0, vcc_lo
	s_xor_b32 s0, exec_lo, s0
; %bb.63:
	v_bfe_u32 v3, v2, 16, 1
	v_add3_u32 v3, v2, v3, 0x7fff
                                        ; implicit-def: $vgpr2
; %bb.64:
	s_andn2_saveexec_b32 s0, s0
; %bb.65:
	v_mov_b32_e32 v3, 0
	v_or_b32_e32 v4, 0x10000, v2
	v_cmp_eq_u32_sdwa vcc_lo, v2, v3 src0_sel:WORD_0 src1_sel:DWORD
	v_cndmask_b32_e32 v3, v4, v2, vcc_lo
; %bb.66:
	s_or_b32 exec_lo, exec_lo, s0
	v_and_b32_e32 v2, 0xffff0000, v3
	v_fmac_f32_e32 v2, s4, v7
	v_and_b32_e32 v3, 0x7f800000, v2
	v_cmp_ne_u32_e32 vcc_lo, 0x7f800000, v3
                                        ; implicit-def: $vgpr3
	s_and_saveexec_b32 s0, vcc_lo
	s_xor_b32 s0, exec_lo, s0
; %bb.67:
	v_bfe_u32 v3, v2, 16, 1
	v_add3_u32 v3, v2, v3, 0x7fff
                                        ; implicit-def: $vgpr2
; %bb.68:
	s_andn2_saveexec_b32 s0, s0
; %bb.69:
	v_mov_b32_e32 v3, 0
	v_or_b32_e32 v4, 0x10000, v2
	v_cmp_eq_u32_sdwa vcc_lo, v2, v3 src0_sel:WORD_0 src1_sel:DWORD
	v_cndmask_b32_e32 v3, v4, v2, vcc_lo
; %bb.70:
	s_or_b32 exec_lo, exec_lo, s0
	flat_store_short_d16_hi v[0:1], v3 offset:32
	s_endpgm
	.section	.rodata,"a",@progbits
	.p2align	6, 0x0
	.amdhsa_kernel _ZN12_GLOBAL__N_135rocblas_gemm_batched_general_kernelIfLi16ELi16ELi32ELi32ELi8ELi32ELi8ELi8ELi32ELc84ELc84EKPK16rocblas_bfloat16S4_KPS1_EEvlllT_PT11_llS9_llS7_PT12_llPT13_lli
		.amdhsa_group_segment_fixed_size 2048
		.amdhsa_private_segment_fixed_size 0
		.amdhsa_kernarg_size 140
		.amdhsa_user_sgpr_count 6
		.amdhsa_user_sgpr_private_segment_buffer 1
		.amdhsa_user_sgpr_dispatch_ptr 0
		.amdhsa_user_sgpr_queue_ptr 0
		.amdhsa_user_sgpr_kernarg_segment_ptr 1
		.amdhsa_user_sgpr_dispatch_id 0
		.amdhsa_user_sgpr_flat_scratch_init 0
		.amdhsa_user_sgpr_private_segment_size 0
		.amdhsa_wavefront_size32 1
		.amdhsa_uses_dynamic_stack 0
		.amdhsa_system_sgpr_private_segment_wavefront_offset 0
		.amdhsa_system_sgpr_workgroup_id_x 1
		.amdhsa_system_sgpr_workgroup_id_y 1
		.amdhsa_system_sgpr_workgroup_id_z 1
		.amdhsa_system_sgpr_workgroup_info 0
		.amdhsa_system_vgpr_workitem_id 1
		.amdhsa_next_free_vgpr 44
		.amdhsa_next_free_sgpr 44
		.amdhsa_reserve_vcc 1
		.amdhsa_reserve_flat_scratch 0
		.amdhsa_float_round_mode_32 0
		.amdhsa_float_round_mode_16_64 0
		.amdhsa_float_denorm_mode_32 3
		.amdhsa_float_denorm_mode_16_64 3
		.amdhsa_dx10_clamp 1
		.amdhsa_ieee_mode 1
		.amdhsa_fp16_overflow 0
		.amdhsa_workgroup_processor_mode 1
		.amdhsa_memory_ordered 1
		.amdhsa_forward_progress 1
		.amdhsa_shared_vgpr_count 0
		.amdhsa_exception_fp_ieee_invalid_op 0
		.amdhsa_exception_fp_denorm_src 0
		.amdhsa_exception_fp_ieee_div_zero 0
		.amdhsa_exception_fp_ieee_overflow 0
		.amdhsa_exception_fp_ieee_underflow 0
		.amdhsa_exception_fp_ieee_inexact 0
		.amdhsa_exception_int_div_zero 0
	.end_amdhsa_kernel
	.section	.text._ZN12_GLOBAL__N_135rocblas_gemm_batched_general_kernelIfLi16ELi16ELi32ELi32ELi8ELi32ELi8ELi8ELi32ELc84ELc84EKPK16rocblas_bfloat16S4_KPS1_EEvlllT_PT11_llS9_llS7_PT12_llPT13_lli,"axG",@progbits,_ZN12_GLOBAL__N_135rocblas_gemm_batched_general_kernelIfLi16ELi16ELi32ELi32ELi8ELi32ELi8ELi8ELi32ELc84ELc84EKPK16rocblas_bfloat16S4_KPS1_EEvlllT_PT11_llS9_llS7_PT12_llPT13_lli,comdat
.Lfunc_end161:
	.size	_ZN12_GLOBAL__N_135rocblas_gemm_batched_general_kernelIfLi16ELi16ELi32ELi32ELi8ELi32ELi8ELi8ELi32ELc84ELc84EKPK16rocblas_bfloat16S4_KPS1_EEvlllT_PT11_llS9_llS7_PT12_llPT13_lli, .Lfunc_end161-_ZN12_GLOBAL__N_135rocblas_gemm_batched_general_kernelIfLi16ELi16ELi32ELi32ELi8ELi32ELi8ELi8ELi32ELc84ELc84EKPK16rocblas_bfloat16S4_KPS1_EEvlllT_PT11_llS9_llS7_PT12_llPT13_lli
                                        ; -- End function
	.set _ZN12_GLOBAL__N_135rocblas_gemm_batched_general_kernelIfLi16ELi16ELi32ELi32ELi8ELi32ELi8ELi8ELi32ELc84ELc84EKPK16rocblas_bfloat16S4_KPS1_EEvlllT_PT11_llS9_llS7_PT12_llPT13_lli.num_vgpr, 44
	.set _ZN12_GLOBAL__N_135rocblas_gemm_batched_general_kernelIfLi16ELi16ELi32ELi32ELi8ELi32ELi8ELi8ELi32ELc84ELc84EKPK16rocblas_bfloat16S4_KPS1_EEvlllT_PT11_llS9_llS7_PT12_llPT13_lli.num_agpr, 0
	.set _ZN12_GLOBAL__N_135rocblas_gemm_batched_general_kernelIfLi16ELi16ELi32ELi32ELi8ELi32ELi8ELi8ELi32ELc84ELc84EKPK16rocblas_bfloat16S4_KPS1_EEvlllT_PT11_llS9_llS7_PT12_llPT13_lli.numbered_sgpr, 44
	.set _ZN12_GLOBAL__N_135rocblas_gemm_batched_general_kernelIfLi16ELi16ELi32ELi32ELi8ELi32ELi8ELi8ELi32ELc84ELc84EKPK16rocblas_bfloat16S4_KPS1_EEvlllT_PT11_llS9_llS7_PT12_llPT13_lli.num_named_barrier, 0
	.set _ZN12_GLOBAL__N_135rocblas_gemm_batched_general_kernelIfLi16ELi16ELi32ELi32ELi8ELi32ELi8ELi8ELi32ELc84ELc84EKPK16rocblas_bfloat16S4_KPS1_EEvlllT_PT11_llS9_llS7_PT12_llPT13_lli.private_seg_size, 0
	.set _ZN12_GLOBAL__N_135rocblas_gemm_batched_general_kernelIfLi16ELi16ELi32ELi32ELi8ELi32ELi8ELi8ELi32ELc84ELc84EKPK16rocblas_bfloat16S4_KPS1_EEvlllT_PT11_llS9_llS7_PT12_llPT13_lli.uses_vcc, 1
	.set _ZN12_GLOBAL__N_135rocblas_gemm_batched_general_kernelIfLi16ELi16ELi32ELi32ELi8ELi32ELi8ELi8ELi32ELc84ELc84EKPK16rocblas_bfloat16S4_KPS1_EEvlllT_PT11_llS9_llS7_PT12_llPT13_lli.uses_flat_scratch, 0
	.set _ZN12_GLOBAL__N_135rocblas_gemm_batched_general_kernelIfLi16ELi16ELi32ELi32ELi8ELi32ELi8ELi8ELi32ELc84ELc84EKPK16rocblas_bfloat16S4_KPS1_EEvlllT_PT11_llS9_llS7_PT12_llPT13_lli.has_dyn_sized_stack, 0
	.set _ZN12_GLOBAL__N_135rocblas_gemm_batched_general_kernelIfLi16ELi16ELi32ELi32ELi8ELi32ELi8ELi8ELi32ELc84ELc84EKPK16rocblas_bfloat16S4_KPS1_EEvlllT_PT11_llS9_llS7_PT12_llPT13_lli.has_recursion, 0
	.set _ZN12_GLOBAL__N_135rocblas_gemm_batched_general_kernelIfLi16ELi16ELi32ELi32ELi8ELi32ELi8ELi8ELi32ELc84ELc84EKPK16rocblas_bfloat16S4_KPS1_EEvlllT_PT11_llS9_llS7_PT12_llPT13_lli.has_indirect_call, 0
	.section	.AMDGPU.csdata,"",@progbits
; Kernel info:
; codeLenInByte = 2916
; TotalNumSgprs: 46
; NumVgprs: 44
; ScratchSize: 0
; MemoryBound: 0
; FloatMode: 240
; IeeeMode: 1
; LDSByteSize: 2048 bytes/workgroup (compile time only)
; SGPRBlocks: 0
; VGPRBlocks: 5
; NumSGPRsForWavesPerEU: 46
; NumVGPRsForWavesPerEU: 44
; Occupancy: 16
; WaveLimiterHint : 1
; COMPUTE_PGM_RSRC2:SCRATCH_EN: 0
; COMPUTE_PGM_RSRC2:USER_SGPR: 6
; COMPUTE_PGM_RSRC2:TRAP_HANDLER: 0
; COMPUTE_PGM_RSRC2:TGID_X_EN: 1
; COMPUTE_PGM_RSRC2:TGID_Y_EN: 1
; COMPUTE_PGM_RSRC2:TGID_Z_EN: 1
; COMPUTE_PGM_RSRC2:TIDIG_COMP_CNT: 1
	.section	.text._ZN12_GLOBAL__N_135rocblas_gemm_batched_general_kernelIfLi16ELi16ELi32ELi32ELi8ELi32ELi8ELi8ELi32ELc67ELc67EKPK16rocblas_bfloat16S4_KPS1_EEvlllT_PT11_llS9_llS7_PT12_llPT13_lli,"axG",@progbits,_ZN12_GLOBAL__N_135rocblas_gemm_batched_general_kernelIfLi16ELi16ELi32ELi32ELi8ELi32ELi8ELi8ELi32ELc67ELc67EKPK16rocblas_bfloat16S4_KPS1_EEvlllT_PT11_llS9_llS7_PT12_llPT13_lli,comdat
	.globl	_ZN12_GLOBAL__N_135rocblas_gemm_batched_general_kernelIfLi16ELi16ELi32ELi32ELi8ELi32ELi8ELi8ELi32ELc67ELc67EKPK16rocblas_bfloat16S4_KPS1_EEvlllT_PT11_llS9_llS7_PT12_llPT13_lli ; -- Begin function _ZN12_GLOBAL__N_135rocblas_gemm_batched_general_kernelIfLi16ELi16ELi32ELi32ELi8ELi32ELi8ELi8ELi32ELc67ELc67EKPK16rocblas_bfloat16S4_KPS1_EEvlllT_PT11_llS9_llS7_PT12_llPT13_lli
	.p2align	8
	.type	_ZN12_GLOBAL__N_135rocblas_gemm_batched_general_kernelIfLi16ELi16ELi32ELi32ELi8ELi32ELi8ELi8ELi32ELc67ELc67EKPK16rocblas_bfloat16S4_KPS1_EEvlllT_PT11_llS9_llS7_PT12_llPT13_lli,@function
_ZN12_GLOBAL__N_135rocblas_gemm_batched_general_kernelIfLi16ELi16ELi32ELi32ELi8ELi32ELi8ELi8ELi32ELc67ELc67EKPK16rocblas_bfloat16S4_KPS1_EEvlllT_PT11_llS9_llS7_PT12_llPT13_lli: ; @_ZN12_GLOBAL__N_135rocblas_gemm_batched_general_kernelIfLi16ELi16ELi32ELi32ELi8ELi32ELi8ELi8ELi32ELc67ELc67EKPK16rocblas_bfloat16S4_KPS1_EEvlllT_PT11_llS9_llS7_PT12_llPT13_lli
; %bb.0:
	s_clause 0x1
	s_load_dwordx8 s[12:19], s[4:5], 0x58
	s_load_dwordx2 s[34:35], s[4:5], 0x10
	s_mov_b32 s9, 0
	s_load_dwordx4 s[28:31], s[4:5], 0x0
	s_lshl_b64 s[42:43], s[8:9], 3
	s_load_dwordx4 s[8:11], s[4:5], 0x78
	s_mov_b32 s40, s7
	v_mov_b32_e32 v10, 0
	v_mov_b32_e32 v9, 0
	;; [unrolled: 1-line block ×4, first 2 shown]
	s_waitcnt lgkmcnt(0)
	s_add_u32 s0, s12, s42
	s_addc_u32 s1, s13, s43
	s_add_u32 s2, s18, s42
	s_addc_u32 s3, s19, s43
	s_load_dwordx2 s[12:13], s[0:1], 0x0
	s_load_dwordx2 s[2:3], s[2:3], 0x0
	v_cmp_lt_i64_e64 s0, s[34:35], 1
	s_ashr_i32 s7, s6, 31
	s_ashr_i32 s41, s40, 31
	s_lshl_b64 s[6:7], s[6:7], 5
	s_lshl_b64 s[18:19], s[40:41], 5
	s_and_b32 vcc_lo, exec_lo, s0
	s_cbranch_vccnz .LBB162_7
; %bb.1:
	s_clause 0x1
	s_load_dwordx4 s[36:39], s[4:5], 0x40
	s_load_dwordx8 s[20:27], s[4:5], 0x20
	v_lshl_add_u32 v2, v1, 4, v0
	v_and_b32_e32 v6, 7, v0
	v_mov_b32_e32 v3, s7
	v_mov_b32_e32 v7, 0
	v_lshlrev_b32_e32 v11, 2, v0
	v_and_b32_e32 v14, 31, v2
	v_lshrrev_b32_e32 v10, 3, v2
	v_lshrrev_b32_e32 v13, 5, v2
	v_lshlrev_b32_e32 v15, 2, v6
	v_lshl_add_u32 v12, v1, 5, 0x400
	v_or_b32_e32 v2, s6, v14
	v_add_co_u32 v4, s0, v10, s18
	v_add_co_ci_u32_e64 v5, null, 0, s19, s0
	v_add_co_u32 v17, s0, s6, v14
	v_add_co_ci_u32_e64 v18, null, s7, 0, s0
	s_waitcnt lgkmcnt(0)
	v_mad_u64_u32 v[8:9], null, s36, v6, 0
	v_cmp_gt_i64_e64 s0, s[28:29], v[2:3]
	v_lshlrev_b32_e32 v16, 2, v14
	v_cmp_gt_i64_e64 s1, s[30:31], v[4:5]
	v_mul_lo_u32 v5, s23, v17
	s_add_u32 s26, s26, s42
	s_addc_u32 s27, s27, s43
	v_mov_b32_e32 v2, v9
	v_lshl_or_b32 v14, v13, 7, v16
	v_mul_lo_u32 v16, s22, v18
	s_add_u32 s20, s20, s42
	s_addc_u32 s21, s21, s43
	v_mad_u64_u32 v[2:3], null, s37, v6, v[2:3]
	v_mad_u64_u32 v[3:4], null, s22, v17, 0
	s_load_dwordx2 s[22:23], s[26:27], 0x0
	s_load_dwordx2 s[20:21], s[20:21], 0x0
	s_lshl_b64 s[26:27], s[40:41], 6
	s_lshl_b64 s[38:39], s[38:39], 1
	v_mov_b32_e32 v9, v2
	s_add_u32 s26, s38, s26
	v_add3_u32 v4, v4, v16, v5
	s_addc_u32 s27, s39, s27
	s_lshl_b64 s[24:25], s[24:25], 1
	v_lshlrev_b64 v[8:9], 1, v[8:9]
	v_lshl_or_b32 v15, v10, 5, v15
	v_lshlrev_b64 v[2:3], 1, v[3:4]
	v_add_nc_u32_e32 v15, 0x400, v15
	v_add_co_u32 v4, vcc_lo, s26, v8
	v_lshlrev_b32_e32 v8, 1, v10
	v_add_co_ci_u32_e64 v5, null, s27, v9, vcc_lo
	v_add_co_u32 v2, vcc_lo, v2, s24
	v_lshlrev_b32_e32 v9, 1, v13
	v_add_co_ci_u32_e64 v3, null, s25, v3, vcc_lo
	v_add_co_u32 v4, vcc_lo, v4, v8
	v_add_co_ci_u32_e64 v5, null, 0, v5, vcc_lo
	v_add_co_u32 v8, vcc_lo, v2, v9
	v_add_co_ci_u32_e64 v9, null, 0, v3, vcc_lo
	s_waitcnt lgkmcnt(0)
	v_add_co_u32 v2, vcc_lo, s22, v4
	v_add_co_ci_u32_e64 v3, null, s23, v5, vcc_lo
	v_add_co_u32 v4, vcc_lo, s20, v8
	v_add_co_ci_u32_e64 v5, null, s21, v9, vcc_lo
	v_mov_b32_e32 v8, 0
	v_mov_b32_e32 v9, 0
	;; [unrolled: 1-line block ×3, first 2 shown]
	s_lshl_b64 s[20:21], s[36:37], 4
	s_mov_b64 s[22:23], 0
	s_branch .LBB162_3
.LBB162_2:                              ;   in Loop: Header=BB162_3 Depth=1
	s_or_b32 exec_lo, exec_lo, s24
	ds_write_b32 v15, v17
	s_waitcnt lgkmcnt(0)
	s_barrier
	buffer_gl0_inv
	ds_read_b128 v[16:19], v12
	ds_read2_b32 v[32:33], v11 offset1:16
	ds_read_b128 v[20:23], v12 offset:512
	ds_read2_b32 v[34:35], v11 offset0:32 offset1:48
	ds_read2_b32 v[36:37], v11 offset0:64 offset1:80
	;; [unrolled: 1-line block ×3, first 2 shown]
	ds_read_b128 v[24:27], v12 offset:16
	ds_read2_b32 v[40:41], v11 offset0:128 offset1:144
	ds_read_b128 v[28:31], v12 offset:528
	ds_read2_b32 v[42:43], v11 offset0:160 offset1:176
	s_add_u32 s22, s22, 8
	s_addc_u32 s23, s23, 0
	v_add_co_u32 v2, vcc_lo, v2, s20
	v_cmp_lt_i64_e64 s24, s[22:23], s[34:35]
	v_add_co_ci_u32_e64 v3, null, s21, v3, vcc_lo
	v_add_co_u32 v4, vcc_lo, v4, 16
	v_add_co_ci_u32_e64 v5, null, 0, v5, vcc_lo
	s_waitcnt lgkmcnt(8)
	v_fmac_f32_e32 v10, v32, v16
	v_fmac_f32_e32 v9, v33, v16
	s_waitcnt lgkmcnt(7)
	v_fmac_f32_e32 v8, v32, v20
	v_fmac_f32_e32 v7, v33, v20
	ds_read2_b32 v[32:33], v11 offset0:192 offset1:208
	s_waitcnt lgkmcnt(7)
	v_fmac_f32_e32 v10, v34, v17
	v_fmac_f32_e32 v9, v35, v17
	;; [unrolled: 1-line block ×4, first 2 shown]
	ds_read2_b32 v[16:17], v11 offset0:224 offset1:240
	s_waitcnt lgkmcnt(7)
	v_fmac_f32_e32 v10, v36, v18
	v_fmac_f32_e32 v9, v37, v18
	;; [unrolled: 1-line block ×4, first 2 shown]
	s_and_b32 vcc_lo, exec_lo, s24
	s_waitcnt lgkmcnt(6)
	v_fmac_f32_e32 v10, v38, v19
	v_fmac_f32_e32 v9, v39, v19
	;; [unrolled: 1-line block ×4, first 2 shown]
	s_waitcnt lgkmcnt(0)
	v_fmac_f32_e32 v10, v40, v24
	v_fmac_f32_e32 v9, v41, v24
	;; [unrolled: 1-line block ×4, first 2 shown]
	s_barrier
	v_fmac_f32_e32 v10, v42, v25
	v_fmac_f32_e32 v9, v43, v25
	;; [unrolled: 1-line block ×4, first 2 shown]
	buffer_gl0_inv
	v_fmac_f32_e32 v10, v32, v26
	v_fmac_f32_e32 v9, v33, v26
	;; [unrolled: 1-line block ×8, first 2 shown]
	s_cbranch_vccz .LBB162_7
.LBB162_3:                              ; =>This Inner Loop Header: Depth=1
	v_add_co_u32 v16, s24, v13, s22
	v_add_co_ci_u32_e64 v17, null, 0, s23, s24
	v_cmp_gt_i64_e32 vcc_lo, s[34:35], v[16:17]
	v_mov_b32_e32 v16, 0
	s_and_b32 s25, s0, vcc_lo
	s_and_saveexec_b32 s24, s25
	s_cbranch_execz .LBB162_5
; %bb.4:                                ;   in Loop: Header=BB162_3 Depth=1
	flat_load_ushort v16, v[4:5]
	s_waitcnt vmcnt(0) lgkmcnt(0)
	v_lshlrev_b32_e32 v16, 16, v16
.LBB162_5:                              ;   in Loop: Header=BB162_3 Depth=1
	s_or_b32 exec_lo, exec_lo, s24
	v_add_co_u32 v17, s24, v6, s22
	v_add_co_ci_u32_e64 v18, null, 0, s23, s24
	ds_write_b32 v14, v16
	v_cmp_gt_i64_e32 vcc_lo, s[34:35], v[17:18]
	v_mov_b32_e32 v17, 0
	s_and_b32 s25, vcc_lo, s1
	s_and_saveexec_b32 s24, s25
	s_cbranch_execz .LBB162_2
; %bb.6:                                ;   in Loop: Header=BB162_3 Depth=1
	flat_load_ushort v16, v[2:3]
	s_waitcnt vmcnt(0) lgkmcnt(0)
	v_lshlrev_b32_e32 v17, 16, v16
	s_branch .LBB162_2
.LBB162_7:
	s_clause 0x1
	s_load_dword s20, s[4:5], 0x50
	s_load_dword s4, s[4:5], 0x18
	v_add_co_u32 v1, s5, s18, v1
	v_add_co_ci_u32_e64 v2, null, s19, 0, s5
	s_lshl_b64 s[0:1], s[10:11], 1
	s_waitcnt lgkmcnt(0)
	s_add_u32 s5, s2, s0
	v_cmp_gt_i64_e64 s0, s[30:31], v[1:2]
	s_addc_u32 s3, s3, s1
	v_cmp_neq_f32_e64 s10, s20, 0
	s_and_b32 vcc_lo, exec_lo, s10
	s_cbranch_vccnz .LBB162_28
; %bb.8:
	s_and_saveexec_b32 s10, s0
	s_cbranch_execz .LBB162_26
; %bb.9:
	v_mul_lo_u32 v3, v2, s8
	v_mul_lo_u32 v4, v1, s9
	v_mad_u64_u32 v[5:6], null, v1, s8, 0
	v_add3_u32 v6, v6, v4, v3
	v_add_co_u32 v3, s1, s6, v0
	v_add_co_ci_u32_e64 v4, null, s7, 0, s1
	v_lshlrev_b64 v[5:6], 1, v[5:6]
	v_cmp_gt_i64_e32 vcc_lo, s[28:29], v[3:4]
	v_add_co_u32 v5, s1, s5, v5
	v_add_co_ci_u32_e64 v6, null, s3, v6, s1
	s_and_saveexec_b32 s2, vcc_lo
	s_cbranch_execz .LBB162_15
; %bb.10:
	v_mul_f32_e32 v12, s4, v10
	v_and_b32_e32 v11, 0x7f800000, v12
	v_cmp_ne_u32_e64 s1, 0x7f800000, v11
                                        ; implicit-def: $vgpr11
	s_and_saveexec_b32 s11, s1
	s_xor_b32 s1, exec_lo, s11
; %bb.11:
	v_bfe_u32 v11, v12, 16, 1
	v_add3_u32 v11, v12, v11, 0x7fff
                                        ; implicit-def: $vgpr12
; %bb.12:
	s_andn2_saveexec_b32 s11, s1
; %bb.13:
	v_mov_b32_e32 v11, 0
	v_or_b32_e32 v13, 0x10000, v12
	v_cmp_eq_u32_sdwa s1, v12, v11 src0_sel:WORD_0 src1_sel:DWORD
	v_cndmask_b32_e64 v11, v13, v12, s1
; %bb.14:
	s_or_b32 exec_lo, exec_lo, s11
	v_lshlrev_b64 v[12:13], 1, v[3:4]
	v_add_co_u32 v12, s1, v5, v12
	v_add_co_ci_u32_e64 v13, null, v6, v13, s1
	flat_store_short_d16_hi v[12:13], v11
.LBB162_15:
	s_or_b32 exec_lo, exec_lo, s2
	v_add_co_u32 v11, s1, v3, 16
	v_add_co_ci_u32_e64 v12, null, 0, v4, s1
	v_cmp_gt_i64_e64 s1, s[28:29], v[11:12]
	s_and_saveexec_b32 s11, s1
	s_cbranch_execz .LBB162_21
; %bb.16:
	v_mul_f32_e32 v12, s4, v9
	v_and_b32_e32 v11, 0x7f800000, v12
	v_cmp_ne_u32_e64 s2, 0x7f800000, v11
                                        ; implicit-def: $vgpr11
	s_and_saveexec_b32 s18, s2
	s_xor_b32 s2, exec_lo, s18
; %bb.17:
	v_bfe_u32 v11, v12, 16, 1
	v_add3_u32 v11, v12, v11, 0x7fff
                                        ; implicit-def: $vgpr12
; %bb.18:
	s_andn2_saveexec_b32 s18, s2
; %bb.19:
	v_mov_b32_e32 v11, 0
	v_or_b32_e32 v13, 0x10000, v12
	v_cmp_eq_u32_sdwa s2, v12, v11 src0_sel:WORD_0 src1_sel:DWORD
	v_cndmask_b32_e64 v11, v13, v12, s2
; %bb.20:
	s_or_b32 exec_lo, exec_lo, s18
	v_lshlrev_b64 v[12:13], 1, v[3:4]
	v_add_co_u32 v12, s2, v5, v12
	v_add_co_ci_u32_e64 v13, null, v6, v13, s2
	flat_store_short_d16_hi v[12:13], v11 offset:32
.LBB162_21:
	s_or_b32 exec_lo, exec_lo, s11
	v_add_co_u32 v11, s2, v1, 16
	v_add_co_ci_u32_e64 v12, null, 0, v2, s2
	v_cmp_gt_i64_e64 s2, s[30:31], v[11:12]
	s_and_b32 exec_lo, exec_lo, s2
	s_cbranch_execz .LBB162_26
; %bb.22:
	s_lshl_b64 s[18:19], s[8:9], 5
	v_lshlrev_b64 v[3:4], 1, v[3:4]
	v_add_co_u32 v5, s2, v5, s18
	v_add_co_ci_u32_e64 v6, null, s19, v6, s2
	v_add_co_u32 v3, s2, v5, v3
	v_add_co_ci_u32_e64 v4, null, v6, v4, s2
	s_and_saveexec_b32 s2, vcc_lo
	s_cbranch_execz .LBB162_24
; %bb.23:
	v_mul_f32_e32 v5, s4, v8
	v_mov_b32_e32 v11, 0
	v_bfe_u32 v6, v5, 16, 1
	v_or_b32_e32 v12, 0x10000, v5
	v_and_b32_e32 v13, 0x7f800000, v5
	v_cmp_eq_u32_sdwa vcc_lo, v5, v11 src0_sel:WORD_0 src1_sel:DWORD
	v_add3_u32 v6, v5, v6, 0x7fff
	v_cndmask_b32_e32 v5, v12, v5, vcc_lo
	v_cmp_eq_u32_e32 vcc_lo, 0x7f800000, v13
	v_cndmask_b32_e32 v5, v6, v5, vcc_lo
	flat_store_short_d16_hi v[3:4], v5
.LBB162_24:
	s_or_b32 exec_lo, exec_lo, s2
	s_and_b32 exec_lo, exec_lo, s1
	s_cbranch_execz .LBB162_26
; %bb.25:
	v_mul_f32_e32 v5, s4, v7
	v_mov_b32_e32 v11, 0
	v_bfe_u32 v6, v5, 16, 1
	v_or_b32_e32 v12, 0x10000, v5
	v_and_b32_e32 v13, 0x7f800000, v5
	v_cmp_eq_u32_sdwa vcc_lo, v5, v11 src0_sel:WORD_0 src1_sel:DWORD
	v_add3_u32 v6, v5, v6, 0x7fff
	v_cndmask_b32_e32 v5, v12, v5, vcc_lo
	v_cmp_eq_u32_e32 vcc_lo, 0x7f800000, v13
	v_cndmask_b32_e32 v5, v6, v5, vcc_lo
	flat_store_short_d16_hi v[3:4], v5 offset:32
.LBB162_26:
	s_or_b32 exec_lo, exec_lo, s10
	s_cbranch_execz .LBB162_29
.LBB162_27:
	s_endpgm
.LBB162_28:
.LBB162_29:
	s_and_saveexec_b32 s1, s0
	s_cbranch_execz .LBB162_27
; %bb.30:
	v_mul_lo_u32 v5, v2, s14
	v_mul_lo_u32 v6, v1, s15
	v_mad_u64_u32 v[3:4], null, v1, s14, 0
	v_mul_lo_u32 v13, v2, s8
	v_mul_lo_u32 v14, v1, s9
	v_mad_u64_u32 v[11:12], null, v1, s8, 0
	s_lshl_b64 s[0:1], s[16:17], 1
	v_add3_u32 v4, v4, v6, v5
	v_add_co_u32 v5, s2, s6, v0
	v_add_co_ci_u32_e64 v6, null, s7, 0, s2
	v_add3_u32 v12, v12, v14, v13
	v_lshlrev_b64 v[3:4], 1, v[3:4]
	s_add_u32 s0, s12, s0
	s_addc_u32 s1, s13, s1
	v_cmp_gt_i64_e32 vcc_lo, s[28:29], v[5:6]
	v_lshlrev_b64 v[12:13], 1, v[11:12]
	v_add_co_u32 v0, s0, s0, v3
	v_add_co_ci_u32_e64 v11, null, s1, v4, s0
	v_add_co_u32 v12, s0, s5, v12
	v_lshlrev_b64 v[3:4], 1, v[5:6]
	v_add_co_ci_u32_e64 v13, null, s3, v13, s0
	s_and_saveexec_b32 s1, vcc_lo
	s_cbranch_execz .LBB162_40
; %bb.31:
	v_add_co_u32 v14, s0, v0, v3
	v_add_co_ci_u32_e64 v15, null, v11, v4, s0
	flat_load_ushort v14, v[14:15]
	s_waitcnt vmcnt(0) lgkmcnt(0)
	v_lshlrev_b32_e32 v14, 16, v14
	v_mul_f32_e32 v14, s20, v14
	v_and_b32_e32 v15, 0x7f800000, v14
	v_cmp_ne_u32_e64 s0, 0x7f800000, v15
                                        ; implicit-def: $vgpr15
	s_and_saveexec_b32 s2, s0
	s_xor_b32 s0, exec_lo, s2
; %bb.32:
	v_bfe_u32 v15, v14, 16, 1
	v_add3_u32 v15, v14, v15, 0x7fff
                                        ; implicit-def: $vgpr14
; %bb.33:
	s_andn2_saveexec_b32 s2, s0
; %bb.34:
	v_mov_b32_e32 v15, 0
	v_or_b32_e32 v16, 0x10000, v14
	v_cmp_eq_u32_sdwa s0, v14, v15 src0_sel:WORD_0 src1_sel:DWORD
	v_cndmask_b32_e64 v15, v16, v14, s0
; %bb.35:
	s_or_b32 exec_lo, exec_lo, s2
	v_and_b32_e32 v14, 0xffff0000, v15
	v_fmac_f32_e32 v14, s4, v10
	v_and_b32_e32 v10, 0x7f800000, v14
	v_cmp_ne_u32_e64 s0, 0x7f800000, v10
                                        ; implicit-def: $vgpr10
	s_and_saveexec_b32 s2, s0
	s_xor_b32 s0, exec_lo, s2
; %bb.36:
	v_bfe_u32 v10, v14, 16, 1
	v_add3_u32 v10, v14, v10, 0x7fff
                                        ; implicit-def: $vgpr14
; %bb.37:
	s_andn2_saveexec_b32 s2, s0
; %bb.38:
	v_mov_b32_e32 v10, 0
	v_or_b32_e32 v15, 0x10000, v14
	v_cmp_eq_u32_sdwa s0, v14, v10 src0_sel:WORD_0 src1_sel:DWORD
	v_cndmask_b32_e64 v10, v15, v14, s0
; %bb.39:
	s_or_b32 exec_lo, exec_lo, s2
	v_add_co_u32 v14, s0, v12, v3
	v_add_co_ci_u32_e64 v15, null, v13, v4, s0
	flat_store_short_d16_hi v[14:15], v10
.LBB162_40:
	s_or_b32 exec_lo, exec_lo, s1
	v_add_co_u32 v5, s0, v5, 16
	v_add_co_ci_u32_e64 v6, null, 0, v6, s0
	v_cmp_gt_i64_e64 s0, s[28:29], v[5:6]
	s_and_saveexec_b32 s2, s0
	s_cbranch_execz .LBB162_50
; %bb.41:
	v_add_co_u32 v5, s1, v0, v3
	v_add_co_ci_u32_e64 v6, null, v11, v4, s1
	flat_load_ushort v5, v[5:6] offset:32
	s_waitcnt vmcnt(0) lgkmcnt(0)
	v_lshlrev_b32_e32 v5, 16, v5
	v_mul_f32_e32 v5, s20, v5
	v_and_b32_e32 v6, 0x7f800000, v5
	v_cmp_ne_u32_e64 s1, 0x7f800000, v6
                                        ; implicit-def: $vgpr6
	s_and_saveexec_b32 s3, s1
	s_xor_b32 s1, exec_lo, s3
; %bb.42:
	v_bfe_u32 v6, v5, 16, 1
	v_add3_u32 v6, v5, v6, 0x7fff
                                        ; implicit-def: $vgpr5
; %bb.43:
	s_andn2_saveexec_b32 s3, s1
; %bb.44:
	v_mov_b32_e32 v6, 0
	v_or_b32_e32 v10, 0x10000, v5
	v_cmp_eq_u32_sdwa s1, v5, v6 src0_sel:WORD_0 src1_sel:DWORD
	v_cndmask_b32_e64 v6, v10, v5, s1
; %bb.45:
	s_or_b32 exec_lo, exec_lo, s3
	v_and_b32_e32 v5, 0xffff0000, v6
	v_fmac_f32_e32 v5, s4, v9
	v_and_b32_e32 v6, 0x7f800000, v5
	v_cmp_ne_u32_e64 s1, 0x7f800000, v6
                                        ; implicit-def: $vgpr6
	s_and_saveexec_b32 s3, s1
	s_xor_b32 s1, exec_lo, s3
; %bb.46:
	v_bfe_u32 v6, v5, 16, 1
	v_add3_u32 v6, v5, v6, 0x7fff
                                        ; implicit-def: $vgpr5
; %bb.47:
	s_andn2_saveexec_b32 s3, s1
; %bb.48:
	v_mov_b32_e32 v6, 0
	v_or_b32_e32 v9, 0x10000, v5
	v_cmp_eq_u32_sdwa s1, v5, v6 src0_sel:WORD_0 src1_sel:DWORD
	v_cndmask_b32_e64 v6, v9, v5, s1
; %bb.49:
	s_or_b32 exec_lo, exec_lo, s3
	v_add_co_u32 v9, s1, v12, v3
	v_add_co_ci_u32_e64 v10, null, v13, v4, s1
	flat_store_short_d16_hi v[9:10], v6 offset:32
.LBB162_50:
	s_or_b32 exec_lo, exec_lo, s2
	v_add_co_u32 v1, s1, v1, 16
	v_add_co_ci_u32_e64 v2, null, 0, v2, s1
	v_cmp_gt_i64_e64 s1, s[30:31], v[1:2]
	s_and_b32 exec_lo, exec_lo, s1
	s_cbranch_execz .LBB162_27
; %bb.51:
	s_lshl_b64 s[2:3], s[14:15], 5
	v_add_co_u32 v0, s1, v0, s2
	v_add_co_ci_u32_e64 v1, null, s3, v11, s1
	s_lshl_b64 s[2:3], s[8:9], 5
	v_add_co_u32 v2, s1, v12, s2
	v_add_co_ci_u32_e64 v9, null, s3, v13, s1
	v_add_co_u32 v5, s1, v0, v3
	v_add_co_ci_u32_e64 v6, null, v1, v4, s1
	;; [unrolled: 2-line block ×3, first 2 shown]
	s_and_saveexec_b32 s1, vcc_lo
	s_cbranch_execz .LBB162_61
; %bb.52:
	flat_load_ushort v2, v[5:6]
	s_waitcnt vmcnt(0) lgkmcnt(0)
	v_lshlrev_b32_e32 v2, 16, v2
	v_mul_f32_e32 v2, s20, v2
	v_and_b32_e32 v3, 0x7f800000, v2
	v_cmp_ne_u32_e32 vcc_lo, 0x7f800000, v3
                                        ; implicit-def: $vgpr3
	s_and_saveexec_b32 s2, vcc_lo
	s_xor_b32 s2, exec_lo, s2
; %bb.53:
	v_bfe_u32 v3, v2, 16, 1
	v_add3_u32 v3, v2, v3, 0x7fff
                                        ; implicit-def: $vgpr2
; %bb.54:
	s_andn2_saveexec_b32 s2, s2
; %bb.55:
	v_mov_b32_e32 v3, 0
	v_or_b32_e32 v4, 0x10000, v2
	v_cmp_eq_u32_sdwa vcc_lo, v2, v3 src0_sel:WORD_0 src1_sel:DWORD
	v_cndmask_b32_e32 v3, v4, v2, vcc_lo
; %bb.56:
	s_or_b32 exec_lo, exec_lo, s2
	v_and_b32_e32 v2, 0xffff0000, v3
	v_fmac_f32_e32 v2, s4, v8
	v_and_b32_e32 v3, 0x7f800000, v2
	v_cmp_ne_u32_e32 vcc_lo, 0x7f800000, v3
                                        ; implicit-def: $vgpr3
	s_and_saveexec_b32 s2, vcc_lo
	s_xor_b32 s2, exec_lo, s2
; %bb.57:
	v_bfe_u32 v3, v2, 16, 1
	v_add3_u32 v3, v2, v3, 0x7fff
                                        ; implicit-def: $vgpr2
; %bb.58:
	s_andn2_saveexec_b32 s2, s2
; %bb.59:
	v_mov_b32_e32 v3, 0
	v_or_b32_e32 v4, 0x10000, v2
	v_cmp_eq_u32_sdwa vcc_lo, v2, v3 src0_sel:WORD_0 src1_sel:DWORD
	v_cndmask_b32_e32 v3, v4, v2, vcc_lo
; %bb.60:
	s_or_b32 exec_lo, exec_lo, s2
	flat_store_short_d16_hi v[0:1], v3
.LBB162_61:
	s_or_b32 exec_lo, exec_lo, s1
	s_and_b32 exec_lo, exec_lo, s0
	s_cbranch_execz .LBB162_27
; %bb.62:
	flat_load_ushort v2, v[5:6] offset:32
	s_waitcnt vmcnt(0) lgkmcnt(0)
	v_lshlrev_b32_e32 v2, 16, v2
	v_mul_f32_e32 v2, s20, v2
	v_and_b32_e32 v3, 0x7f800000, v2
	v_cmp_ne_u32_e32 vcc_lo, 0x7f800000, v3
                                        ; implicit-def: $vgpr3
	s_and_saveexec_b32 s0, vcc_lo
	s_xor_b32 s0, exec_lo, s0
; %bb.63:
	v_bfe_u32 v3, v2, 16, 1
	v_add3_u32 v3, v2, v3, 0x7fff
                                        ; implicit-def: $vgpr2
; %bb.64:
	s_andn2_saveexec_b32 s0, s0
; %bb.65:
	v_mov_b32_e32 v3, 0
	v_or_b32_e32 v4, 0x10000, v2
	v_cmp_eq_u32_sdwa vcc_lo, v2, v3 src0_sel:WORD_0 src1_sel:DWORD
	v_cndmask_b32_e32 v3, v4, v2, vcc_lo
; %bb.66:
	s_or_b32 exec_lo, exec_lo, s0
	v_and_b32_e32 v2, 0xffff0000, v3
	v_fmac_f32_e32 v2, s4, v7
	v_and_b32_e32 v3, 0x7f800000, v2
	v_cmp_ne_u32_e32 vcc_lo, 0x7f800000, v3
                                        ; implicit-def: $vgpr3
	s_and_saveexec_b32 s0, vcc_lo
	s_xor_b32 s0, exec_lo, s0
; %bb.67:
	v_bfe_u32 v3, v2, 16, 1
	v_add3_u32 v3, v2, v3, 0x7fff
                                        ; implicit-def: $vgpr2
; %bb.68:
	s_andn2_saveexec_b32 s0, s0
; %bb.69:
	v_mov_b32_e32 v3, 0
	v_or_b32_e32 v4, 0x10000, v2
	v_cmp_eq_u32_sdwa vcc_lo, v2, v3 src0_sel:WORD_0 src1_sel:DWORD
	v_cndmask_b32_e32 v3, v4, v2, vcc_lo
; %bb.70:
	s_or_b32 exec_lo, exec_lo, s0
	flat_store_short_d16_hi v[0:1], v3 offset:32
	s_endpgm
	.section	.rodata,"a",@progbits
	.p2align	6, 0x0
	.amdhsa_kernel _ZN12_GLOBAL__N_135rocblas_gemm_batched_general_kernelIfLi16ELi16ELi32ELi32ELi8ELi32ELi8ELi8ELi32ELc67ELc67EKPK16rocblas_bfloat16S4_KPS1_EEvlllT_PT11_llS9_llS7_PT12_llPT13_lli
		.amdhsa_group_segment_fixed_size 2048
		.amdhsa_private_segment_fixed_size 0
		.amdhsa_kernarg_size 140
		.amdhsa_user_sgpr_count 6
		.amdhsa_user_sgpr_private_segment_buffer 1
		.amdhsa_user_sgpr_dispatch_ptr 0
		.amdhsa_user_sgpr_queue_ptr 0
		.amdhsa_user_sgpr_kernarg_segment_ptr 1
		.amdhsa_user_sgpr_dispatch_id 0
		.amdhsa_user_sgpr_flat_scratch_init 0
		.amdhsa_user_sgpr_private_segment_size 0
		.amdhsa_wavefront_size32 1
		.amdhsa_uses_dynamic_stack 0
		.amdhsa_system_sgpr_private_segment_wavefront_offset 0
		.amdhsa_system_sgpr_workgroup_id_x 1
		.amdhsa_system_sgpr_workgroup_id_y 1
		.amdhsa_system_sgpr_workgroup_id_z 1
		.amdhsa_system_sgpr_workgroup_info 0
		.amdhsa_system_vgpr_workitem_id 1
		.amdhsa_next_free_vgpr 44
		.amdhsa_next_free_sgpr 44
		.amdhsa_reserve_vcc 1
		.amdhsa_reserve_flat_scratch 0
		.amdhsa_float_round_mode_32 0
		.amdhsa_float_round_mode_16_64 0
		.amdhsa_float_denorm_mode_32 3
		.amdhsa_float_denorm_mode_16_64 3
		.amdhsa_dx10_clamp 1
		.amdhsa_ieee_mode 1
		.amdhsa_fp16_overflow 0
		.amdhsa_workgroup_processor_mode 1
		.amdhsa_memory_ordered 1
		.amdhsa_forward_progress 1
		.amdhsa_shared_vgpr_count 0
		.amdhsa_exception_fp_ieee_invalid_op 0
		.amdhsa_exception_fp_denorm_src 0
		.amdhsa_exception_fp_ieee_div_zero 0
		.amdhsa_exception_fp_ieee_overflow 0
		.amdhsa_exception_fp_ieee_underflow 0
		.amdhsa_exception_fp_ieee_inexact 0
		.amdhsa_exception_int_div_zero 0
	.end_amdhsa_kernel
	.section	.text._ZN12_GLOBAL__N_135rocblas_gemm_batched_general_kernelIfLi16ELi16ELi32ELi32ELi8ELi32ELi8ELi8ELi32ELc67ELc67EKPK16rocblas_bfloat16S4_KPS1_EEvlllT_PT11_llS9_llS7_PT12_llPT13_lli,"axG",@progbits,_ZN12_GLOBAL__N_135rocblas_gemm_batched_general_kernelIfLi16ELi16ELi32ELi32ELi8ELi32ELi8ELi8ELi32ELc67ELc67EKPK16rocblas_bfloat16S4_KPS1_EEvlllT_PT11_llS9_llS7_PT12_llPT13_lli,comdat
.Lfunc_end162:
	.size	_ZN12_GLOBAL__N_135rocblas_gemm_batched_general_kernelIfLi16ELi16ELi32ELi32ELi8ELi32ELi8ELi8ELi32ELc67ELc67EKPK16rocblas_bfloat16S4_KPS1_EEvlllT_PT11_llS9_llS7_PT12_llPT13_lli, .Lfunc_end162-_ZN12_GLOBAL__N_135rocblas_gemm_batched_general_kernelIfLi16ELi16ELi32ELi32ELi8ELi32ELi8ELi8ELi32ELc67ELc67EKPK16rocblas_bfloat16S4_KPS1_EEvlllT_PT11_llS9_llS7_PT12_llPT13_lli
                                        ; -- End function
	.set _ZN12_GLOBAL__N_135rocblas_gemm_batched_general_kernelIfLi16ELi16ELi32ELi32ELi8ELi32ELi8ELi8ELi32ELc67ELc67EKPK16rocblas_bfloat16S4_KPS1_EEvlllT_PT11_llS9_llS7_PT12_llPT13_lli.num_vgpr, 44
	.set _ZN12_GLOBAL__N_135rocblas_gemm_batched_general_kernelIfLi16ELi16ELi32ELi32ELi8ELi32ELi8ELi8ELi32ELc67ELc67EKPK16rocblas_bfloat16S4_KPS1_EEvlllT_PT11_llS9_llS7_PT12_llPT13_lli.num_agpr, 0
	.set _ZN12_GLOBAL__N_135rocblas_gemm_batched_general_kernelIfLi16ELi16ELi32ELi32ELi8ELi32ELi8ELi8ELi32ELc67ELc67EKPK16rocblas_bfloat16S4_KPS1_EEvlllT_PT11_llS9_llS7_PT12_llPT13_lli.numbered_sgpr, 44
	.set _ZN12_GLOBAL__N_135rocblas_gemm_batched_general_kernelIfLi16ELi16ELi32ELi32ELi8ELi32ELi8ELi8ELi32ELc67ELc67EKPK16rocblas_bfloat16S4_KPS1_EEvlllT_PT11_llS9_llS7_PT12_llPT13_lli.num_named_barrier, 0
	.set _ZN12_GLOBAL__N_135rocblas_gemm_batched_general_kernelIfLi16ELi16ELi32ELi32ELi8ELi32ELi8ELi8ELi32ELc67ELc67EKPK16rocblas_bfloat16S4_KPS1_EEvlllT_PT11_llS9_llS7_PT12_llPT13_lli.private_seg_size, 0
	.set _ZN12_GLOBAL__N_135rocblas_gemm_batched_general_kernelIfLi16ELi16ELi32ELi32ELi8ELi32ELi8ELi8ELi32ELc67ELc67EKPK16rocblas_bfloat16S4_KPS1_EEvlllT_PT11_llS9_llS7_PT12_llPT13_lli.uses_vcc, 1
	.set _ZN12_GLOBAL__N_135rocblas_gemm_batched_general_kernelIfLi16ELi16ELi32ELi32ELi8ELi32ELi8ELi8ELi32ELc67ELc67EKPK16rocblas_bfloat16S4_KPS1_EEvlllT_PT11_llS9_llS7_PT12_llPT13_lli.uses_flat_scratch, 0
	.set _ZN12_GLOBAL__N_135rocblas_gemm_batched_general_kernelIfLi16ELi16ELi32ELi32ELi8ELi32ELi8ELi8ELi32ELc67ELc67EKPK16rocblas_bfloat16S4_KPS1_EEvlllT_PT11_llS9_llS7_PT12_llPT13_lli.has_dyn_sized_stack, 0
	.set _ZN12_GLOBAL__N_135rocblas_gemm_batched_general_kernelIfLi16ELi16ELi32ELi32ELi8ELi32ELi8ELi8ELi32ELc67ELc67EKPK16rocblas_bfloat16S4_KPS1_EEvlllT_PT11_llS9_llS7_PT12_llPT13_lli.has_recursion, 0
	.set _ZN12_GLOBAL__N_135rocblas_gemm_batched_general_kernelIfLi16ELi16ELi32ELi32ELi8ELi32ELi8ELi8ELi32ELc67ELc67EKPK16rocblas_bfloat16S4_KPS1_EEvlllT_PT11_llS9_llS7_PT12_llPT13_lli.has_indirect_call, 0
	.section	.AMDGPU.csdata,"",@progbits
; Kernel info:
; codeLenInByte = 2916
; TotalNumSgprs: 46
; NumVgprs: 44
; ScratchSize: 0
; MemoryBound: 0
; FloatMode: 240
; IeeeMode: 1
; LDSByteSize: 2048 bytes/workgroup (compile time only)
; SGPRBlocks: 0
; VGPRBlocks: 5
; NumSGPRsForWavesPerEU: 46
; NumVGPRsForWavesPerEU: 44
; Occupancy: 16
; WaveLimiterHint : 1
; COMPUTE_PGM_RSRC2:SCRATCH_EN: 0
; COMPUTE_PGM_RSRC2:USER_SGPR: 6
; COMPUTE_PGM_RSRC2:TRAP_HANDLER: 0
; COMPUTE_PGM_RSRC2:TGID_X_EN: 1
; COMPUTE_PGM_RSRC2:TGID_Y_EN: 1
; COMPUTE_PGM_RSRC2:TGID_Z_EN: 1
; COMPUTE_PGM_RSRC2:TIDIG_COMP_CNT: 1
	.section	.text._ZN12_GLOBAL__N_135rocblas_gemm_batched_general_kernelIfLi16ELi16ELi32ELi32ELi8ELi32ELi8ELi8ELi32ELc67ELc78EKPK16rocblas_bfloat16S4_KPS1_EEvlllT_PT11_llS9_llS7_PT12_llPT13_lli,"axG",@progbits,_ZN12_GLOBAL__N_135rocblas_gemm_batched_general_kernelIfLi16ELi16ELi32ELi32ELi8ELi32ELi8ELi8ELi32ELc67ELc78EKPK16rocblas_bfloat16S4_KPS1_EEvlllT_PT11_llS9_llS7_PT12_llPT13_lli,comdat
	.globl	_ZN12_GLOBAL__N_135rocblas_gemm_batched_general_kernelIfLi16ELi16ELi32ELi32ELi8ELi32ELi8ELi8ELi32ELc67ELc78EKPK16rocblas_bfloat16S4_KPS1_EEvlllT_PT11_llS9_llS7_PT12_llPT13_lli ; -- Begin function _ZN12_GLOBAL__N_135rocblas_gemm_batched_general_kernelIfLi16ELi16ELi32ELi32ELi8ELi32ELi8ELi8ELi32ELc67ELc78EKPK16rocblas_bfloat16S4_KPS1_EEvlllT_PT11_llS9_llS7_PT12_llPT13_lli
	.p2align	8
	.type	_ZN12_GLOBAL__N_135rocblas_gemm_batched_general_kernelIfLi16ELi16ELi32ELi32ELi8ELi32ELi8ELi8ELi32ELc67ELc78EKPK16rocblas_bfloat16S4_KPS1_EEvlllT_PT11_llS9_llS7_PT12_llPT13_lli,@function
_ZN12_GLOBAL__N_135rocblas_gemm_batched_general_kernelIfLi16ELi16ELi32ELi32ELi8ELi32ELi8ELi8ELi32ELc67ELc78EKPK16rocblas_bfloat16S4_KPS1_EEvlllT_PT11_llS9_llS7_PT12_llPT13_lli: ; @_ZN12_GLOBAL__N_135rocblas_gemm_batched_general_kernelIfLi16ELi16ELi32ELi32ELi8ELi32ELi8ELi8ELi32ELc67ELc78EKPK16rocblas_bfloat16S4_KPS1_EEvlllT_PT11_llS9_llS7_PT12_llPT13_lli
; %bb.0:
	s_clause 0x1
	s_load_dwordx8 s[12:19], s[4:5], 0x58
	s_load_dwordx2 s[34:35], s[4:5], 0x10
	s_mov_b32 s9, 0
	s_load_dwordx4 s[28:31], s[4:5], 0x0
	s_lshl_b64 s[38:39], s[8:9], 3
	s_load_dwordx4 s[8:11], s[4:5], 0x78
	s_mov_b32 s0, s7
	v_mov_b32_e32 v10, 0
	v_mov_b32_e32 v9, 0
	;; [unrolled: 1-line block ×4, first 2 shown]
	s_waitcnt lgkmcnt(0)
	s_add_u32 s2, s12, s38
	s_addc_u32 s3, s13, s39
	s_add_u32 s18, s18, s38
	s_addc_u32 s19, s19, s39
	s_load_dwordx2 s[12:13], s[2:3], 0x0
	s_load_dwordx2 s[18:19], s[18:19], 0x0
	v_cmp_lt_i64_e64 s2, s[34:35], 1
	s_ashr_i32 s7, s6, 31
	s_ashr_i32 s1, s0, 31
	s_lshl_b64 s[6:7], s[6:7], 5
	s_lshl_b64 s[36:37], s[0:1], 5
	s_and_b32 vcc_lo, exec_lo, s2
	s_cbranch_vccnz .LBB163_7
; %bb.1:
	s_clause 0x1
	s_load_dwordx8 s[20:27], s[4:5], 0x20
	s_load_dwordx4 s[0:3], s[4:5], 0x40
	v_lshl_add_u32 v2, v1, 4, v0
	v_mov_b32_e32 v3, s7
	v_and_b32_e32 v6, 7, v0
	v_mov_b32_e32 v7, 0
	v_lshrrev_b32_e32 v10, 3, v2
	v_and_b32_e32 v8, 31, v2
	v_lshrrev_b32_e32 v11, 5, v2
	v_lshlrev_b32_e32 v12, 2, v6
	v_add_co_u32 v4, s33, v10, s36
	v_add_co_ci_u32_e64 v5, null, 0, s37, s33
	v_or_b32_e32 v2, s6, v8
	v_lshlrev_b32_e32 v13, 2, v8
	v_lshl_or_b32 v10, v10, 5, v12
	s_waitcnt lgkmcnt(0)
	s_add_u32 s26, s26, s38
	v_mul_lo_u32 v14, s1, v4
	v_add_co_u32 v15, s1, s6, v8
	v_add_co_ci_u32_e64 v16, null, s7, 0, s1
	v_mul_lo_u32 v18, s0, v5
	v_mad_u64_u32 v[8:9], null, s0, v4, 0
	v_mul_lo_u32 v19, s23, v15
	v_mul_lo_u32 v20, s22, v16
	v_mad_u64_u32 v[16:17], null, s22, v15, 0
	s_addc_u32 s27, s27, s39
	s_add_u32 s20, s20, s38
	v_add3_u32 v9, v9, v18, v14
	s_load_dwordx2 s[26:27], s[26:27], 0x0
	s_addc_u32 s21, s21, s39
	v_cmp_gt_i64_e64 s0, s[28:29], v[2:3]
	v_add3_u32 v17, v17, v20, v19
	s_load_dwordx2 s[20:21], s[20:21], 0x0
	v_lshlrev_b64 v[2:3], 1, v[8:9]
	v_cmp_gt_i64_e64 s1, s[30:31], v[4:5]
	s_lshl_b64 s[2:3], s[2:3], 1
	v_lshlrev_b64 v[4:5], 1, v[16:17]
	v_lshlrev_b32_e32 v8, 1, v6
	v_lshlrev_b32_e32 v9, 1, v11
	v_add_co_u32 v2, vcc_lo, v2, s2
	v_add_co_ci_u32_e64 v3, null, s3, v3, vcc_lo
	s_lshl_b64 s[2:3], s[24:25], 1
	v_lshl_or_b32 v12, v11, 7, v13
	v_add_co_u32 v4, vcc_lo, v4, s2
	v_add_co_ci_u32_e64 v5, null, s3, v5, vcc_lo
	v_add_co_u32 v2, vcc_lo, v2, v8
	v_add_co_ci_u32_e64 v3, null, 0, v3, vcc_lo
	;; [unrolled: 2-line block ×3, first 2 shown]
	s_waitcnt lgkmcnt(0)
	v_add_co_u32 v2, vcc_lo, s26, v2
	v_add_co_ci_u32_e64 v3, null, s27, v3, vcc_lo
	v_add_co_u32 v4, vcc_lo, s20, v4
	v_add_nc_u32_e32 v13, 0x400, v10
	v_lshlrev_b32_e32 v14, 2, v0
	v_lshl_add_u32 v15, v1, 5, 0x400
	v_add_co_ci_u32_e64 v5, null, s21, v5, vcc_lo
	v_mov_b32_e32 v8, 0
	v_mov_b32_e32 v9, 0
	;; [unrolled: 1-line block ×3, first 2 shown]
	s_mov_b64 s[2:3], 0
	s_branch .LBB163_3
.LBB163_2:                              ;   in Loop: Header=BB163_3 Depth=1
	s_or_b32 exec_lo, exec_lo, s20
	ds_write_b32 v13, v17
	s_waitcnt lgkmcnt(0)
	s_barrier
	buffer_gl0_inv
	ds_read_b128 v[16:19], v15
	ds_read2_b32 v[32:33], v14 offset1:16
	ds_read_b128 v[20:23], v15 offset:512
	ds_read2_b32 v[34:35], v14 offset0:32 offset1:48
	ds_read2_b32 v[36:37], v14 offset0:64 offset1:80
	;; [unrolled: 1-line block ×3, first 2 shown]
	ds_read_b128 v[24:27], v15 offset:16
	ds_read2_b32 v[40:41], v14 offset0:128 offset1:144
	ds_read_b128 v[28:31], v15 offset:528
	ds_read2_b32 v[42:43], v14 offset0:160 offset1:176
	s_add_u32 s2, s2, 8
	s_addc_u32 s3, s3, 0
	v_add_co_u32 v2, vcc_lo, v2, 16
	v_cmp_lt_i64_e64 s20, s[2:3], s[34:35]
	v_add_co_ci_u32_e64 v3, null, 0, v3, vcc_lo
	v_add_co_u32 v4, vcc_lo, v4, 16
	v_add_co_ci_u32_e64 v5, null, 0, v5, vcc_lo
	s_waitcnt lgkmcnt(8)
	v_fmac_f32_e32 v10, v32, v16
	v_fmac_f32_e32 v9, v33, v16
	s_waitcnt lgkmcnt(7)
	v_fmac_f32_e32 v8, v32, v20
	v_fmac_f32_e32 v7, v33, v20
	ds_read2_b32 v[32:33], v14 offset0:192 offset1:208
	s_waitcnt lgkmcnt(7)
	v_fmac_f32_e32 v10, v34, v17
	v_fmac_f32_e32 v9, v35, v17
	;; [unrolled: 1-line block ×4, first 2 shown]
	ds_read2_b32 v[16:17], v14 offset0:224 offset1:240
	s_waitcnt lgkmcnt(7)
	v_fmac_f32_e32 v10, v36, v18
	v_fmac_f32_e32 v9, v37, v18
	;; [unrolled: 1-line block ×4, first 2 shown]
	s_and_b32 vcc_lo, exec_lo, s20
	s_waitcnt lgkmcnt(6)
	v_fmac_f32_e32 v10, v38, v19
	v_fmac_f32_e32 v9, v39, v19
	;; [unrolled: 1-line block ×4, first 2 shown]
	s_waitcnt lgkmcnt(0)
	v_fmac_f32_e32 v10, v40, v24
	v_fmac_f32_e32 v9, v41, v24
	;; [unrolled: 1-line block ×4, first 2 shown]
	s_barrier
	v_fmac_f32_e32 v10, v42, v25
	v_fmac_f32_e32 v9, v43, v25
	;; [unrolled: 1-line block ×4, first 2 shown]
	buffer_gl0_inv
	v_fmac_f32_e32 v10, v32, v26
	v_fmac_f32_e32 v9, v33, v26
	;; [unrolled: 1-line block ×8, first 2 shown]
	s_cbranch_vccz .LBB163_7
.LBB163_3:                              ; =>This Inner Loop Header: Depth=1
	v_add_co_u32 v16, s20, v11, s2
	v_add_co_ci_u32_e64 v17, null, 0, s3, s20
	v_cmp_gt_i64_e32 vcc_lo, s[34:35], v[16:17]
	v_mov_b32_e32 v16, 0
	s_and_b32 s21, s0, vcc_lo
	s_and_saveexec_b32 s20, s21
	s_cbranch_execz .LBB163_5
; %bb.4:                                ;   in Loop: Header=BB163_3 Depth=1
	flat_load_ushort v16, v[4:5]
	s_waitcnt vmcnt(0) lgkmcnt(0)
	v_lshlrev_b32_e32 v16, 16, v16
.LBB163_5:                              ;   in Loop: Header=BB163_3 Depth=1
	s_or_b32 exec_lo, exec_lo, s20
	v_add_co_u32 v17, s20, v6, s2
	v_add_co_ci_u32_e64 v18, null, 0, s3, s20
	ds_write_b32 v12, v16
	v_cmp_gt_i64_e32 vcc_lo, s[34:35], v[17:18]
	v_mov_b32_e32 v17, 0
	s_and_b32 s21, vcc_lo, s1
	s_and_saveexec_b32 s20, s21
	s_cbranch_execz .LBB163_2
; %bb.6:                                ;   in Loop: Header=BB163_3 Depth=1
	flat_load_ushort v16, v[2:3]
	s_waitcnt vmcnt(0) lgkmcnt(0)
	v_lshlrev_b32_e32 v17, 16, v16
	s_branch .LBB163_2
.LBB163_7:
	s_clause 0x1
	s_load_dword s20, s[4:5], 0x50
	s_load_dword s3, s[4:5], 0x18
	v_add_co_u32 v1, s2, s36, v1
	v_add_co_ci_u32_e64 v2, null, s37, 0, s2
	s_lshl_b64 s[0:1], s[10:11], 1
	s_waitcnt lgkmcnt(0)
	s_add_u32 s4, s18, s0
	v_cmp_gt_i64_e64 s0, s[30:31], v[1:2]
	s_addc_u32 s5, s19, s1
	v_cmp_neq_f32_e64 s2, s20, 0
	s_and_b32 vcc_lo, exec_lo, s2
	s_cbranch_vccnz .LBB163_28
; %bb.8:
	s_and_saveexec_b32 s10, s0
	s_cbranch_execz .LBB163_26
; %bb.9:
	v_mul_lo_u32 v3, v2, s8
	v_mul_lo_u32 v4, v1, s9
	v_mad_u64_u32 v[5:6], null, v1, s8, 0
	v_add3_u32 v6, v6, v4, v3
	v_add_co_u32 v3, s1, s6, v0
	v_add_co_ci_u32_e64 v4, null, s7, 0, s1
	v_lshlrev_b64 v[5:6], 1, v[5:6]
	v_cmp_gt_i64_e32 vcc_lo, s[28:29], v[3:4]
	v_add_co_u32 v5, s1, s4, v5
	v_add_co_ci_u32_e64 v6, null, s5, v6, s1
	s_and_saveexec_b32 s2, vcc_lo
	s_cbranch_execz .LBB163_15
; %bb.10:
	v_mul_f32_e32 v12, s3, v10
	v_and_b32_e32 v11, 0x7f800000, v12
	v_cmp_ne_u32_e64 s1, 0x7f800000, v11
                                        ; implicit-def: $vgpr11
	s_and_saveexec_b32 s11, s1
	s_xor_b32 s1, exec_lo, s11
; %bb.11:
	v_bfe_u32 v11, v12, 16, 1
	v_add3_u32 v11, v12, v11, 0x7fff
                                        ; implicit-def: $vgpr12
; %bb.12:
	s_andn2_saveexec_b32 s11, s1
; %bb.13:
	v_mov_b32_e32 v11, 0
	v_or_b32_e32 v13, 0x10000, v12
	v_cmp_eq_u32_sdwa s1, v12, v11 src0_sel:WORD_0 src1_sel:DWORD
	v_cndmask_b32_e64 v11, v13, v12, s1
; %bb.14:
	s_or_b32 exec_lo, exec_lo, s11
	v_lshlrev_b64 v[12:13], 1, v[3:4]
	v_add_co_u32 v12, s1, v5, v12
	v_add_co_ci_u32_e64 v13, null, v6, v13, s1
	flat_store_short_d16_hi v[12:13], v11
.LBB163_15:
	s_or_b32 exec_lo, exec_lo, s2
	v_add_co_u32 v11, s1, v3, 16
	v_add_co_ci_u32_e64 v12, null, 0, v4, s1
	v_cmp_gt_i64_e64 s1, s[28:29], v[11:12]
	s_and_saveexec_b32 s11, s1
	s_cbranch_execz .LBB163_21
; %bb.16:
	v_mul_f32_e32 v12, s3, v9
	v_and_b32_e32 v11, 0x7f800000, v12
	v_cmp_ne_u32_e64 s2, 0x7f800000, v11
                                        ; implicit-def: $vgpr11
	s_and_saveexec_b32 s18, s2
	s_xor_b32 s2, exec_lo, s18
; %bb.17:
	v_bfe_u32 v11, v12, 16, 1
	v_add3_u32 v11, v12, v11, 0x7fff
                                        ; implicit-def: $vgpr12
; %bb.18:
	s_andn2_saveexec_b32 s18, s2
; %bb.19:
	v_mov_b32_e32 v11, 0
	v_or_b32_e32 v13, 0x10000, v12
	v_cmp_eq_u32_sdwa s2, v12, v11 src0_sel:WORD_0 src1_sel:DWORD
	v_cndmask_b32_e64 v11, v13, v12, s2
; %bb.20:
	s_or_b32 exec_lo, exec_lo, s18
	v_lshlrev_b64 v[12:13], 1, v[3:4]
	v_add_co_u32 v12, s2, v5, v12
	v_add_co_ci_u32_e64 v13, null, v6, v13, s2
	flat_store_short_d16_hi v[12:13], v11 offset:32
.LBB163_21:
	s_or_b32 exec_lo, exec_lo, s11
	v_add_co_u32 v11, s2, v1, 16
	v_add_co_ci_u32_e64 v12, null, 0, v2, s2
	v_cmp_gt_i64_e64 s2, s[30:31], v[11:12]
	s_and_b32 exec_lo, exec_lo, s2
	s_cbranch_execz .LBB163_26
; %bb.22:
	s_lshl_b64 s[18:19], s[8:9], 5
	v_lshlrev_b64 v[3:4], 1, v[3:4]
	v_add_co_u32 v5, s2, v5, s18
	v_add_co_ci_u32_e64 v6, null, s19, v6, s2
	v_add_co_u32 v3, s2, v5, v3
	v_add_co_ci_u32_e64 v4, null, v6, v4, s2
	s_and_saveexec_b32 s2, vcc_lo
	s_cbranch_execz .LBB163_24
; %bb.23:
	v_mul_f32_e32 v5, s3, v8
	v_mov_b32_e32 v11, 0
	v_bfe_u32 v6, v5, 16, 1
	v_or_b32_e32 v12, 0x10000, v5
	v_and_b32_e32 v13, 0x7f800000, v5
	v_cmp_eq_u32_sdwa vcc_lo, v5, v11 src0_sel:WORD_0 src1_sel:DWORD
	v_add3_u32 v6, v5, v6, 0x7fff
	v_cndmask_b32_e32 v5, v12, v5, vcc_lo
	v_cmp_eq_u32_e32 vcc_lo, 0x7f800000, v13
	v_cndmask_b32_e32 v5, v6, v5, vcc_lo
	flat_store_short_d16_hi v[3:4], v5
.LBB163_24:
	s_or_b32 exec_lo, exec_lo, s2
	s_and_b32 exec_lo, exec_lo, s1
	s_cbranch_execz .LBB163_26
; %bb.25:
	v_mul_f32_e32 v5, s3, v7
	v_mov_b32_e32 v11, 0
	v_bfe_u32 v6, v5, 16, 1
	v_or_b32_e32 v12, 0x10000, v5
	v_and_b32_e32 v13, 0x7f800000, v5
	v_cmp_eq_u32_sdwa vcc_lo, v5, v11 src0_sel:WORD_0 src1_sel:DWORD
	v_add3_u32 v6, v5, v6, 0x7fff
	v_cndmask_b32_e32 v5, v12, v5, vcc_lo
	v_cmp_eq_u32_e32 vcc_lo, 0x7f800000, v13
	v_cndmask_b32_e32 v5, v6, v5, vcc_lo
	flat_store_short_d16_hi v[3:4], v5 offset:32
.LBB163_26:
	s_or_b32 exec_lo, exec_lo, s10
	s_cbranch_execz .LBB163_29
.LBB163_27:
	s_endpgm
.LBB163_28:
.LBB163_29:
	s_and_saveexec_b32 s1, s0
	s_cbranch_execz .LBB163_27
; %bb.30:
	v_mul_lo_u32 v5, v2, s14
	v_mul_lo_u32 v6, v1, s15
	v_mad_u64_u32 v[3:4], null, v1, s14, 0
	v_mul_lo_u32 v13, v2, s8
	v_mul_lo_u32 v14, v1, s9
	v_mad_u64_u32 v[11:12], null, v1, s8, 0
	s_lshl_b64 s[0:1], s[16:17], 1
	v_add3_u32 v4, v4, v6, v5
	v_add_co_u32 v5, s2, s6, v0
	v_add_co_ci_u32_e64 v6, null, s7, 0, s2
	v_add3_u32 v12, v12, v14, v13
	v_lshlrev_b64 v[3:4], 1, v[3:4]
	s_add_u32 s0, s12, s0
	s_addc_u32 s1, s13, s1
	v_cmp_gt_i64_e32 vcc_lo, s[28:29], v[5:6]
	v_lshlrev_b64 v[12:13], 1, v[11:12]
	v_add_co_u32 v0, s0, s0, v3
	v_add_co_ci_u32_e64 v11, null, s1, v4, s0
	v_add_co_u32 v12, s0, s4, v12
	v_lshlrev_b64 v[3:4], 1, v[5:6]
	v_add_co_ci_u32_e64 v13, null, s5, v13, s0
	s_and_saveexec_b32 s1, vcc_lo
	s_cbranch_execz .LBB163_40
; %bb.31:
	v_add_co_u32 v14, s0, v0, v3
	v_add_co_ci_u32_e64 v15, null, v11, v4, s0
	flat_load_ushort v14, v[14:15]
	s_waitcnt vmcnt(0) lgkmcnt(0)
	v_lshlrev_b32_e32 v14, 16, v14
	v_mul_f32_e32 v14, s20, v14
	v_and_b32_e32 v15, 0x7f800000, v14
	v_cmp_ne_u32_e64 s0, 0x7f800000, v15
                                        ; implicit-def: $vgpr15
	s_and_saveexec_b32 s2, s0
	s_xor_b32 s0, exec_lo, s2
; %bb.32:
	v_bfe_u32 v15, v14, 16, 1
	v_add3_u32 v15, v14, v15, 0x7fff
                                        ; implicit-def: $vgpr14
; %bb.33:
	s_andn2_saveexec_b32 s2, s0
; %bb.34:
	v_mov_b32_e32 v15, 0
	v_or_b32_e32 v16, 0x10000, v14
	v_cmp_eq_u32_sdwa s0, v14, v15 src0_sel:WORD_0 src1_sel:DWORD
	v_cndmask_b32_e64 v15, v16, v14, s0
; %bb.35:
	s_or_b32 exec_lo, exec_lo, s2
	v_and_b32_e32 v14, 0xffff0000, v15
	v_fmac_f32_e32 v14, s3, v10
	v_and_b32_e32 v10, 0x7f800000, v14
	v_cmp_ne_u32_e64 s0, 0x7f800000, v10
                                        ; implicit-def: $vgpr10
	s_and_saveexec_b32 s2, s0
	s_xor_b32 s0, exec_lo, s2
; %bb.36:
	v_bfe_u32 v10, v14, 16, 1
	v_add3_u32 v10, v14, v10, 0x7fff
                                        ; implicit-def: $vgpr14
; %bb.37:
	s_andn2_saveexec_b32 s2, s0
; %bb.38:
	v_mov_b32_e32 v10, 0
	v_or_b32_e32 v15, 0x10000, v14
	v_cmp_eq_u32_sdwa s0, v14, v10 src0_sel:WORD_0 src1_sel:DWORD
	v_cndmask_b32_e64 v10, v15, v14, s0
; %bb.39:
	s_or_b32 exec_lo, exec_lo, s2
	v_add_co_u32 v14, s0, v12, v3
	v_add_co_ci_u32_e64 v15, null, v13, v4, s0
	flat_store_short_d16_hi v[14:15], v10
.LBB163_40:
	s_or_b32 exec_lo, exec_lo, s1
	v_add_co_u32 v5, s0, v5, 16
	v_add_co_ci_u32_e64 v6, null, 0, v6, s0
	v_cmp_gt_i64_e64 s0, s[28:29], v[5:6]
	s_and_saveexec_b32 s2, s0
	s_cbranch_execz .LBB163_50
; %bb.41:
	v_add_co_u32 v5, s1, v0, v3
	v_add_co_ci_u32_e64 v6, null, v11, v4, s1
	flat_load_ushort v5, v[5:6] offset:32
	s_waitcnt vmcnt(0) lgkmcnt(0)
	v_lshlrev_b32_e32 v5, 16, v5
	v_mul_f32_e32 v5, s20, v5
	v_and_b32_e32 v6, 0x7f800000, v5
	v_cmp_ne_u32_e64 s1, 0x7f800000, v6
                                        ; implicit-def: $vgpr6
	s_and_saveexec_b32 s4, s1
	s_xor_b32 s1, exec_lo, s4
; %bb.42:
	v_bfe_u32 v6, v5, 16, 1
	v_add3_u32 v6, v5, v6, 0x7fff
                                        ; implicit-def: $vgpr5
; %bb.43:
	s_andn2_saveexec_b32 s4, s1
; %bb.44:
	v_mov_b32_e32 v6, 0
	v_or_b32_e32 v10, 0x10000, v5
	v_cmp_eq_u32_sdwa s1, v5, v6 src0_sel:WORD_0 src1_sel:DWORD
	v_cndmask_b32_e64 v6, v10, v5, s1
; %bb.45:
	s_or_b32 exec_lo, exec_lo, s4
	v_and_b32_e32 v5, 0xffff0000, v6
	v_fmac_f32_e32 v5, s3, v9
	v_and_b32_e32 v6, 0x7f800000, v5
	v_cmp_ne_u32_e64 s1, 0x7f800000, v6
                                        ; implicit-def: $vgpr6
	s_and_saveexec_b32 s4, s1
	s_xor_b32 s1, exec_lo, s4
; %bb.46:
	v_bfe_u32 v6, v5, 16, 1
	v_add3_u32 v6, v5, v6, 0x7fff
                                        ; implicit-def: $vgpr5
; %bb.47:
	s_andn2_saveexec_b32 s4, s1
; %bb.48:
	v_mov_b32_e32 v6, 0
	v_or_b32_e32 v9, 0x10000, v5
	v_cmp_eq_u32_sdwa s1, v5, v6 src0_sel:WORD_0 src1_sel:DWORD
	v_cndmask_b32_e64 v6, v9, v5, s1
; %bb.49:
	s_or_b32 exec_lo, exec_lo, s4
	v_add_co_u32 v9, s1, v12, v3
	v_add_co_ci_u32_e64 v10, null, v13, v4, s1
	flat_store_short_d16_hi v[9:10], v6 offset:32
.LBB163_50:
	s_or_b32 exec_lo, exec_lo, s2
	v_add_co_u32 v1, s1, v1, 16
	v_add_co_ci_u32_e64 v2, null, 0, v2, s1
	v_cmp_gt_i64_e64 s1, s[30:31], v[1:2]
	s_and_b32 exec_lo, exec_lo, s1
	s_cbranch_execz .LBB163_27
; %bb.51:
	s_lshl_b64 s[4:5], s[14:15], 5
	v_add_co_u32 v0, s1, v0, s4
	v_add_co_ci_u32_e64 v1, null, s5, v11, s1
	s_lshl_b64 s[4:5], s[8:9], 5
	v_add_co_u32 v2, s1, v12, s4
	v_add_co_ci_u32_e64 v9, null, s5, v13, s1
	v_add_co_u32 v5, s1, v0, v3
	v_add_co_ci_u32_e64 v6, null, v1, v4, s1
	;; [unrolled: 2-line block ×3, first 2 shown]
	s_and_saveexec_b32 s1, vcc_lo
	s_cbranch_execz .LBB163_61
; %bb.52:
	flat_load_ushort v2, v[5:6]
	s_waitcnt vmcnt(0) lgkmcnt(0)
	v_lshlrev_b32_e32 v2, 16, v2
	v_mul_f32_e32 v2, s20, v2
	v_and_b32_e32 v3, 0x7f800000, v2
	v_cmp_ne_u32_e32 vcc_lo, 0x7f800000, v3
                                        ; implicit-def: $vgpr3
	s_and_saveexec_b32 s2, vcc_lo
	s_xor_b32 s2, exec_lo, s2
; %bb.53:
	v_bfe_u32 v3, v2, 16, 1
	v_add3_u32 v3, v2, v3, 0x7fff
                                        ; implicit-def: $vgpr2
; %bb.54:
	s_andn2_saveexec_b32 s2, s2
; %bb.55:
	v_mov_b32_e32 v3, 0
	v_or_b32_e32 v4, 0x10000, v2
	v_cmp_eq_u32_sdwa vcc_lo, v2, v3 src0_sel:WORD_0 src1_sel:DWORD
	v_cndmask_b32_e32 v3, v4, v2, vcc_lo
; %bb.56:
	s_or_b32 exec_lo, exec_lo, s2
	v_and_b32_e32 v2, 0xffff0000, v3
	v_fmac_f32_e32 v2, s3, v8
	v_and_b32_e32 v3, 0x7f800000, v2
	v_cmp_ne_u32_e32 vcc_lo, 0x7f800000, v3
                                        ; implicit-def: $vgpr3
	s_and_saveexec_b32 s2, vcc_lo
	s_xor_b32 s2, exec_lo, s2
; %bb.57:
	v_bfe_u32 v3, v2, 16, 1
	v_add3_u32 v3, v2, v3, 0x7fff
                                        ; implicit-def: $vgpr2
; %bb.58:
	s_andn2_saveexec_b32 s2, s2
; %bb.59:
	v_mov_b32_e32 v3, 0
	v_or_b32_e32 v4, 0x10000, v2
	v_cmp_eq_u32_sdwa vcc_lo, v2, v3 src0_sel:WORD_0 src1_sel:DWORD
	v_cndmask_b32_e32 v3, v4, v2, vcc_lo
; %bb.60:
	s_or_b32 exec_lo, exec_lo, s2
	flat_store_short_d16_hi v[0:1], v3
.LBB163_61:
	s_or_b32 exec_lo, exec_lo, s1
	s_and_b32 exec_lo, exec_lo, s0
	s_cbranch_execz .LBB163_27
; %bb.62:
	flat_load_ushort v2, v[5:6] offset:32
	s_waitcnt vmcnt(0) lgkmcnt(0)
	v_lshlrev_b32_e32 v2, 16, v2
	v_mul_f32_e32 v2, s20, v2
	v_and_b32_e32 v3, 0x7f800000, v2
	v_cmp_ne_u32_e32 vcc_lo, 0x7f800000, v3
                                        ; implicit-def: $vgpr3
	s_and_saveexec_b32 s0, vcc_lo
	s_xor_b32 s0, exec_lo, s0
; %bb.63:
	v_bfe_u32 v3, v2, 16, 1
	v_add3_u32 v3, v2, v3, 0x7fff
                                        ; implicit-def: $vgpr2
; %bb.64:
	s_andn2_saveexec_b32 s0, s0
; %bb.65:
	v_mov_b32_e32 v3, 0
	v_or_b32_e32 v4, 0x10000, v2
	v_cmp_eq_u32_sdwa vcc_lo, v2, v3 src0_sel:WORD_0 src1_sel:DWORD
	v_cndmask_b32_e32 v3, v4, v2, vcc_lo
; %bb.66:
	s_or_b32 exec_lo, exec_lo, s0
	v_and_b32_e32 v2, 0xffff0000, v3
	v_fmac_f32_e32 v2, s3, v7
	v_and_b32_e32 v3, 0x7f800000, v2
	v_cmp_ne_u32_e32 vcc_lo, 0x7f800000, v3
                                        ; implicit-def: $vgpr3
	s_and_saveexec_b32 s0, vcc_lo
	s_xor_b32 s0, exec_lo, s0
; %bb.67:
	v_bfe_u32 v3, v2, 16, 1
	v_add3_u32 v3, v2, v3, 0x7fff
                                        ; implicit-def: $vgpr2
; %bb.68:
	s_andn2_saveexec_b32 s0, s0
; %bb.69:
	v_mov_b32_e32 v3, 0
	v_or_b32_e32 v4, 0x10000, v2
	v_cmp_eq_u32_sdwa vcc_lo, v2, v3 src0_sel:WORD_0 src1_sel:DWORD
	v_cndmask_b32_e32 v3, v4, v2, vcc_lo
; %bb.70:
	s_or_b32 exec_lo, exec_lo, s0
	flat_store_short_d16_hi v[0:1], v3 offset:32
	s_endpgm
	.section	.rodata,"a",@progbits
	.p2align	6, 0x0
	.amdhsa_kernel _ZN12_GLOBAL__N_135rocblas_gemm_batched_general_kernelIfLi16ELi16ELi32ELi32ELi8ELi32ELi8ELi8ELi32ELc67ELc78EKPK16rocblas_bfloat16S4_KPS1_EEvlllT_PT11_llS9_llS7_PT12_llPT13_lli
		.amdhsa_group_segment_fixed_size 2048
		.amdhsa_private_segment_fixed_size 0
		.amdhsa_kernarg_size 140
		.amdhsa_user_sgpr_count 6
		.amdhsa_user_sgpr_private_segment_buffer 1
		.amdhsa_user_sgpr_dispatch_ptr 0
		.amdhsa_user_sgpr_queue_ptr 0
		.amdhsa_user_sgpr_kernarg_segment_ptr 1
		.amdhsa_user_sgpr_dispatch_id 0
		.amdhsa_user_sgpr_flat_scratch_init 0
		.amdhsa_user_sgpr_private_segment_size 0
		.amdhsa_wavefront_size32 1
		.amdhsa_uses_dynamic_stack 0
		.amdhsa_system_sgpr_private_segment_wavefront_offset 0
		.amdhsa_system_sgpr_workgroup_id_x 1
		.amdhsa_system_sgpr_workgroup_id_y 1
		.amdhsa_system_sgpr_workgroup_id_z 1
		.amdhsa_system_sgpr_workgroup_info 0
		.amdhsa_system_vgpr_workitem_id 1
		.amdhsa_next_free_vgpr 44
		.amdhsa_next_free_sgpr 40
		.amdhsa_reserve_vcc 1
		.amdhsa_reserve_flat_scratch 0
		.amdhsa_float_round_mode_32 0
		.amdhsa_float_round_mode_16_64 0
		.amdhsa_float_denorm_mode_32 3
		.amdhsa_float_denorm_mode_16_64 3
		.amdhsa_dx10_clamp 1
		.amdhsa_ieee_mode 1
		.amdhsa_fp16_overflow 0
		.amdhsa_workgroup_processor_mode 1
		.amdhsa_memory_ordered 1
		.amdhsa_forward_progress 1
		.amdhsa_shared_vgpr_count 0
		.amdhsa_exception_fp_ieee_invalid_op 0
		.amdhsa_exception_fp_denorm_src 0
		.amdhsa_exception_fp_ieee_div_zero 0
		.amdhsa_exception_fp_ieee_overflow 0
		.amdhsa_exception_fp_ieee_underflow 0
		.amdhsa_exception_fp_ieee_inexact 0
		.amdhsa_exception_int_div_zero 0
	.end_amdhsa_kernel
	.section	.text._ZN12_GLOBAL__N_135rocblas_gemm_batched_general_kernelIfLi16ELi16ELi32ELi32ELi8ELi32ELi8ELi8ELi32ELc67ELc78EKPK16rocblas_bfloat16S4_KPS1_EEvlllT_PT11_llS9_llS7_PT12_llPT13_lli,"axG",@progbits,_ZN12_GLOBAL__N_135rocblas_gemm_batched_general_kernelIfLi16ELi16ELi32ELi32ELi8ELi32ELi8ELi8ELi32ELc67ELc78EKPK16rocblas_bfloat16S4_KPS1_EEvlllT_PT11_llS9_llS7_PT12_llPT13_lli,comdat
.Lfunc_end163:
	.size	_ZN12_GLOBAL__N_135rocblas_gemm_batched_general_kernelIfLi16ELi16ELi32ELi32ELi8ELi32ELi8ELi8ELi32ELc67ELc78EKPK16rocblas_bfloat16S4_KPS1_EEvlllT_PT11_llS9_llS7_PT12_llPT13_lli, .Lfunc_end163-_ZN12_GLOBAL__N_135rocblas_gemm_batched_general_kernelIfLi16ELi16ELi32ELi32ELi8ELi32ELi8ELi8ELi32ELc67ELc78EKPK16rocblas_bfloat16S4_KPS1_EEvlllT_PT11_llS9_llS7_PT12_llPT13_lli
                                        ; -- End function
	.set _ZN12_GLOBAL__N_135rocblas_gemm_batched_general_kernelIfLi16ELi16ELi32ELi32ELi8ELi32ELi8ELi8ELi32ELc67ELc78EKPK16rocblas_bfloat16S4_KPS1_EEvlllT_PT11_llS9_llS7_PT12_llPT13_lli.num_vgpr, 44
	.set _ZN12_GLOBAL__N_135rocblas_gemm_batched_general_kernelIfLi16ELi16ELi32ELi32ELi8ELi32ELi8ELi8ELi32ELc67ELc78EKPK16rocblas_bfloat16S4_KPS1_EEvlllT_PT11_llS9_llS7_PT12_llPT13_lli.num_agpr, 0
	.set _ZN12_GLOBAL__N_135rocblas_gemm_batched_general_kernelIfLi16ELi16ELi32ELi32ELi8ELi32ELi8ELi8ELi32ELc67ELc78EKPK16rocblas_bfloat16S4_KPS1_EEvlllT_PT11_llS9_llS7_PT12_llPT13_lli.numbered_sgpr, 40
	.set _ZN12_GLOBAL__N_135rocblas_gemm_batched_general_kernelIfLi16ELi16ELi32ELi32ELi8ELi32ELi8ELi8ELi32ELc67ELc78EKPK16rocblas_bfloat16S4_KPS1_EEvlllT_PT11_llS9_llS7_PT12_llPT13_lli.num_named_barrier, 0
	.set _ZN12_GLOBAL__N_135rocblas_gemm_batched_general_kernelIfLi16ELi16ELi32ELi32ELi8ELi32ELi8ELi8ELi32ELc67ELc78EKPK16rocblas_bfloat16S4_KPS1_EEvlllT_PT11_llS9_llS7_PT12_llPT13_lli.private_seg_size, 0
	.set _ZN12_GLOBAL__N_135rocblas_gemm_batched_general_kernelIfLi16ELi16ELi32ELi32ELi8ELi32ELi8ELi8ELi32ELc67ELc78EKPK16rocblas_bfloat16S4_KPS1_EEvlllT_PT11_llS9_llS7_PT12_llPT13_lli.uses_vcc, 1
	.set _ZN12_GLOBAL__N_135rocblas_gemm_batched_general_kernelIfLi16ELi16ELi32ELi32ELi8ELi32ELi8ELi8ELi32ELc67ELc78EKPK16rocblas_bfloat16S4_KPS1_EEvlllT_PT11_llS9_llS7_PT12_llPT13_lli.uses_flat_scratch, 0
	.set _ZN12_GLOBAL__N_135rocblas_gemm_batched_general_kernelIfLi16ELi16ELi32ELi32ELi8ELi32ELi8ELi8ELi32ELc67ELc78EKPK16rocblas_bfloat16S4_KPS1_EEvlllT_PT11_llS9_llS7_PT12_llPT13_lli.has_dyn_sized_stack, 0
	.set _ZN12_GLOBAL__N_135rocblas_gemm_batched_general_kernelIfLi16ELi16ELi32ELi32ELi8ELi32ELi8ELi8ELi32ELc67ELc78EKPK16rocblas_bfloat16S4_KPS1_EEvlllT_PT11_llS9_llS7_PT12_llPT13_lli.has_recursion, 0
	.set _ZN12_GLOBAL__N_135rocblas_gemm_batched_general_kernelIfLi16ELi16ELi32ELi32ELi8ELi32ELi8ELi8ELi32ELc67ELc78EKPK16rocblas_bfloat16S4_KPS1_EEvlllT_PT11_llS9_llS7_PT12_llPT13_lli.has_indirect_call, 0
	.section	.AMDGPU.csdata,"",@progbits
; Kernel info:
; codeLenInByte = 2908
; TotalNumSgprs: 42
; NumVgprs: 44
; ScratchSize: 0
; MemoryBound: 0
; FloatMode: 240
; IeeeMode: 1
; LDSByteSize: 2048 bytes/workgroup (compile time only)
; SGPRBlocks: 0
; VGPRBlocks: 5
; NumSGPRsForWavesPerEU: 42
; NumVGPRsForWavesPerEU: 44
; Occupancy: 16
; WaveLimiterHint : 1
; COMPUTE_PGM_RSRC2:SCRATCH_EN: 0
; COMPUTE_PGM_RSRC2:USER_SGPR: 6
; COMPUTE_PGM_RSRC2:TRAP_HANDLER: 0
; COMPUTE_PGM_RSRC2:TGID_X_EN: 1
; COMPUTE_PGM_RSRC2:TGID_Y_EN: 1
; COMPUTE_PGM_RSRC2:TGID_Z_EN: 1
; COMPUTE_PGM_RSRC2:TIDIG_COMP_CNT: 1
	.section	.text._ZN12_GLOBAL__N_135rocblas_gemm_batched_general_kernelIfLi16ELi16ELi32ELi32ELi8ELi32ELi8ELi8ELi32ELc67ELc84EKPK16rocblas_bfloat16S4_KPS1_EEvlllT_PT11_llS9_llS7_PT12_llPT13_lli,"axG",@progbits,_ZN12_GLOBAL__N_135rocblas_gemm_batched_general_kernelIfLi16ELi16ELi32ELi32ELi8ELi32ELi8ELi8ELi32ELc67ELc84EKPK16rocblas_bfloat16S4_KPS1_EEvlllT_PT11_llS9_llS7_PT12_llPT13_lli,comdat
	.globl	_ZN12_GLOBAL__N_135rocblas_gemm_batched_general_kernelIfLi16ELi16ELi32ELi32ELi8ELi32ELi8ELi8ELi32ELc67ELc84EKPK16rocblas_bfloat16S4_KPS1_EEvlllT_PT11_llS9_llS7_PT12_llPT13_lli ; -- Begin function _ZN12_GLOBAL__N_135rocblas_gemm_batched_general_kernelIfLi16ELi16ELi32ELi32ELi8ELi32ELi8ELi8ELi32ELc67ELc84EKPK16rocblas_bfloat16S4_KPS1_EEvlllT_PT11_llS9_llS7_PT12_llPT13_lli
	.p2align	8
	.type	_ZN12_GLOBAL__N_135rocblas_gemm_batched_general_kernelIfLi16ELi16ELi32ELi32ELi8ELi32ELi8ELi8ELi32ELc67ELc84EKPK16rocblas_bfloat16S4_KPS1_EEvlllT_PT11_llS9_llS7_PT12_llPT13_lli,@function
_ZN12_GLOBAL__N_135rocblas_gemm_batched_general_kernelIfLi16ELi16ELi32ELi32ELi8ELi32ELi8ELi8ELi32ELc67ELc84EKPK16rocblas_bfloat16S4_KPS1_EEvlllT_PT11_llS9_llS7_PT12_llPT13_lli: ; @_ZN12_GLOBAL__N_135rocblas_gemm_batched_general_kernelIfLi16ELi16ELi32ELi32ELi8ELi32ELi8ELi8ELi32ELc67ELc84EKPK16rocblas_bfloat16S4_KPS1_EEvlllT_PT11_llS9_llS7_PT12_llPT13_lli
; %bb.0:
	s_clause 0x1
	s_load_dwordx8 s[12:19], s[4:5], 0x58
	s_load_dwordx2 s[34:35], s[4:5], 0x10
	s_mov_b32 s9, 0
	s_load_dwordx4 s[28:31], s[4:5], 0x0
	s_lshl_b64 s[42:43], s[8:9], 3
	s_load_dwordx4 s[8:11], s[4:5], 0x78
	s_mov_b32 s40, s7
	v_mov_b32_e32 v10, 0
	v_mov_b32_e32 v9, 0
	;; [unrolled: 1-line block ×4, first 2 shown]
	s_waitcnt lgkmcnt(0)
	s_add_u32 s0, s12, s42
	s_addc_u32 s1, s13, s43
	s_add_u32 s2, s18, s42
	s_addc_u32 s3, s19, s43
	s_load_dwordx2 s[12:13], s[0:1], 0x0
	s_load_dwordx2 s[2:3], s[2:3], 0x0
	v_cmp_lt_i64_e64 s0, s[34:35], 1
	s_ashr_i32 s7, s6, 31
	s_ashr_i32 s41, s40, 31
	s_lshl_b64 s[6:7], s[6:7], 5
	s_lshl_b64 s[18:19], s[40:41], 5
	s_and_b32 vcc_lo, exec_lo, s0
	s_cbranch_vccnz .LBB164_7
; %bb.1:
	s_clause 0x1
	s_load_dwordx4 s[36:39], s[4:5], 0x40
	s_load_dwordx8 s[20:27], s[4:5], 0x20
	v_lshl_add_u32 v2, v1, 4, v0
	v_and_b32_e32 v6, 7, v0
	v_mov_b32_e32 v3, s7
	v_mov_b32_e32 v7, 0
	v_lshlrev_b32_e32 v11, 2, v0
	v_and_b32_e32 v14, 31, v2
	v_lshrrev_b32_e32 v10, 3, v2
	v_lshrrev_b32_e32 v13, 5, v2
	v_lshlrev_b32_e32 v15, 2, v6
	v_lshl_add_u32 v12, v1, 5, 0x400
	v_or_b32_e32 v2, s6, v14
	v_add_co_u32 v4, s0, v10, s18
	v_add_co_ci_u32_e64 v5, null, 0, s19, s0
	v_add_co_u32 v17, s0, s6, v14
	v_add_co_ci_u32_e64 v18, null, s7, 0, s0
	s_waitcnt lgkmcnt(0)
	v_mad_u64_u32 v[8:9], null, s36, v6, 0
	v_cmp_gt_i64_e64 s0, s[28:29], v[2:3]
	v_lshlrev_b32_e32 v16, 2, v14
	v_cmp_gt_i64_e64 s1, s[30:31], v[4:5]
	v_mul_lo_u32 v5, s23, v17
	s_add_u32 s26, s26, s42
	s_addc_u32 s27, s27, s43
	v_mov_b32_e32 v2, v9
	v_lshl_or_b32 v14, v13, 7, v16
	v_mul_lo_u32 v16, s22, v18
	s_add_u32 s20, s20, s42
	s_addc_u32 s21, s21, s43
	v_mad_u64_u32 v[2:3], null, s37, v6, v[2:3]
	v_mad_u64_u32 v[3:4], null, s22, v17, 0
	s_load_dwordx2 s[22:23], s[26:27], 0x0
	s_load_dwordx2 s[20:21], s[20:21], 0x0
	s_lshl_b64 s[26:27], s[40:41], 6
	s_lshl_b64 s[38:39], s[38:39], 1
	v_mov_b32_e32 v9, v2
	s_add_u32 s26, s38, s26
	v_add3_u32 v4, v4, v16, v5
	s_addc_u32 s27, s39, s27
	s_lshl_b64 s[24:25], s[24:25], 1
	v_lshlrev_b64 v[8:9], 1, v[8:9]
	v_lshl_or_b32 v15, v10, 5, v15
	v_lshlrev_b64 v[2:3], 1, v[3:4]
	v_add_nc_u32_e32 v15, 0x400, v15
	v_add_co_u32 v4, vcc_lo, s26, v8
	v_lshlrev_b32_e32 v8, 1, v10
	v_add_co_ci_u32_e64 v5, null, s27, v9, vcc_lo
	v_add_co_u32 v2, vcc_lo, v2, s24
	v_lshlrev_b32_e32 v9, 1, v13
	v_add_co_ci_u32_e64 v3, null, s25, v3, vcc_lo
	v_add_co_u32 v4, vcc_lo, v4, v8
	v_add_co_ci_u32_e64 v5, null, 0, v5, vcc_lo
	v_add_co_u32 v8, vcc_lo, v2, v9
	v_add_co_ci_u32_e64 v9, null, 0, v3, vcc_lo
	s_waitcnt lgkmcnt(0)
	v_add_co_u32 v2, vcc_lo, s22, v4
	v_add_co_ci_u32_e64 v3, null, s23, v5, vcc_lo
	v_add_co_u32 v4, vcc_lo, s20, v8
	v_add_co_ci_u32_e64 v5, null, s21, v9, vcc_lo
	v_mov_b32_e32 v8, 0
	v_mov_b32_e32 v9, 0
	;; [unrolled: 1-line block ×3, first 2 shown]
	s_lshl_b64 s[20:21], s[36:37], 4
	s_mov_b64 s[22:23], 0
	s_branch .LBB164_3
.LBB164_2:                              ;   in Loop: Header=BB164_3 Depth=1
	s_or_b32 exec_lo, exec_lo, s24
	ds_write_b32 v15, v17
	s_waitcnt lgkmcnt(0)
	s_barrier
	buffer_gl0_inv
	ds_read_b128 v[16:19], v12
	ds_read2_b32 v[32:33], v11 offset1:16
	ds_read_b128 v[20:23], v12 offset:512
	ds_read2_b32 v[34:35], v11 offset0:32 offset1:48
	ds_read2_b32 v[36:37], v11 offset0:64 offset1:80
	;; [unrolled: 1-line block ×3, first 2 shown]
	ds_read_b128 v[24:27], v12 offset:16
	ds_read2_b32 v[40:41], v11 offset0:128 offset1:144
	ds_read_b128 v[28:31], v12 offset:528
	ds_read2_b32 v[42:43], v11 offset0:160 offset1:176
	s_add_u32 s22, s22, 8
	s_addc_u32 s23, s23, 0
	v_add_co_u32 v2, vcc_lo, v2, s20
	v_cmp_lt_i64_e64 s24, s[22:23], s[34:35]
	v_add_co_ci_u32_e64 v3, null, s21, v3, vcc_lo
	v_add_co_u32 v4, vcc_lo, v4, 16
	v_add_co_ci_u32_e64 v5, null, 0, v5, vcc_lo
	s_waitcnt lgkmcnt(8)
	v_fmac_f32_e32 v10, v32, v16
	v_fmac_f32_e32 v9, v33, v16
	s_waitcnt lgkmcnt(7)
	v_fmac_f32_e32 v8, v32, v20
	v_fmac_f32_e32 v7, v33, v20
	ds_read2_b32 v[32:33], v11 offset0:192 offset1:208
	s_waitcnt lgkmcnt(7)
	v_fmac_f32_e32 v10, v34, v17
	v_fmac_f32_e32 v9, v35, v17
	;; [unrolled: 1-line block ×4, first 2 shown]
	ds_read2_b32 v[16:17], v11 offset0:224 offset1:240
	s_waitcnt lgkmcnt(7)
	v_fmac_f32_e32 v10, v36, v18
	v_fmac_f32_e32 v9, v37, v18
	;; [unrolled: 1-line block ×4, first 2 shown]
	s_and_b32 vcc_lo, exec_lo, s24
	s_waitcnt lgkmcnt(6)
	v_fmac_f32_e32 v10, v38, v19
	v_fmac_f32_e32 v9, v39, v19
	;; [unrolled: 1-line block ×4, first 2 shown]
	s_waitcnt lgkmcnt(0)
	v_fmac_f32_e32 v10, v40, v24
	v_fmac_f32_e32 v9, v41, v24
	;; [unrolled: 1-line block ×4, first 2 shown]
	s_barrier
	v_fmac_f32_e32 v10, v42, v25
	v_fmac_f32_e32 v9, v43, v25
	;; [unrolled: 1-line block ×4, first 2 shown]
	buffer_gl0_inv
	v_fmac_f32_e32 v10, v32, v26
	v_fmac_f32_e32 v9, v33, v26
	;; [unrolled: 1-line block ×8, first 2 shown]
	s_cbranch_vccz .LBB164_7
.LBB164_3:                              ; =>This Inner Loop Header: Depth=1
	v_add_co_u32 v16, s24, v13, s22
	v_add_co_ci_u32_e64 v17, null, 0, s23, s24
	v_cmp_gt_i64_e32 vcc_lo, s[34:35], v[16:17]
	v_mov_b32_e32 v16, 0
	s_and_b32 s25, s0, vcc_lo
	s_and_saveexec_b32 s24, s25
	s_cbranch_execz .LBB164_5
; %bb.4:                                ;   in Loop: Header=BB164_3 Depth=1
	flat_load_ushort v16, v[4:5]
	s_waitcnt vmcnt(0) lgkmcnt(0)
	v_lshlrev_b32_e32 v16, 16, v16
.LBB164_5:                              ;   in Loop: Header=BB164_3 Depth=1
	s_or_b32 exec_lo, exec_lo, s24
	v_add_co_u32 v17, s24, v6, s22
	v_add_co_ci_u32_e64 v18, null, 0, s23, s24
	ds_write_b32 v14, v16
	v_cmp_gt_i64_e32 vcc_lo, s[34:35], v[17:18]
	v_mov_b32_e32 v17, 0
	s_and_b32 s25, vcc_lo, s1
	s_and_saveexec_b32 s24, s25
	s_cbranch_execz .LBB164_2
; %bb.6:                                ;   in Loop: Header=BB164_3 Depth=1
	flat_load_ushort v16, v[2:3]
	s_waitcnt vmcnt(0) lgkmcnt(0)
	v_lshlrev_b32_e32 v17, 16, v16
	s_branch .LBB164_2
.LBB164_7:
	s_clause 0x1
	s_load_dword s20, s[4:5], 0x50
	s_load_dword s4, s[4:5], 0x18
	v_add_co_u32 v1, s5, s18, v1
	v_add_co_ci_u32_e64 v2, null, s19, 0, s5
	s_lshl_b64 s[0:1], s[10:11], 1
	s_waitcnt lgkmcnt(0)
	s_add_u32 s5, s2, s0
	v_cmp_gt_i64_e64 s0, s[30:31], v[1:2]
	s_addc_u32 s3, s3, s1
	v_cmp_neq_f32_e64 s10, s20, 0
	s_and_b32 vcc_lo, exec_lo, s10
	s_cbranch_vccnz .LBB164_28
; %bb.8:
	s_and_saveexec_b32 s10, s0
	s_cbranch_execz .LBB164_26
; %bb.9:
	v_mul_lo_u32 v3, v2, s8
	v_mul_lo_u32 v4, v1, s9
	v_mad_u64_u32 v[5:6], null, v1, s8, 0
	v_add3_u32 v6, v6, v4, v3
	v_add_co_u32 v3, s1, s6, v0
	v_add_co_ci_u32_e64 v4, null, s7, 0, s1
	v_lshlrev_b64 v[5:6], 1, v[5:6]
	v_cmp_gt_i64_e32 vcc_lo, s[28:29], v[3:4]
	v_add_co_u32 v5, s1, s5, v5
	v_add_co_ci_u32_e64 v6, null, s3, v6, s1
	s_and_saveexec_b32 s2, vcc_lo
	s_cbranch_execz .LBB164_15
; %bb.10:
	v_mul_f32_e32 v12, s4, v10
	v_and_b32_e32 v11, 0x7f800000, v12
	v_cmp_ne_u32_e64 s1, 0x7f800000, v11
                                        ; implicit-def: $vgpr11
	s_and_saveexec_b32 s11, s1
	s_xor_b32 s1, exec_lo, s11
; %bb.11:
	v_bfe_u32 v11, v12, 16, 1
	v_add3_u32 v11, v12, v11, 0x7fff
                                        ; implicit-def: $vgpr12
; %bb.12:
	s_andn2_saveexec_b32 s11, s1
; %bb.13:
	v_mov_b32_e32 v11, 0
	v_or_b32_e32 v13, 0x10000, v12
	v_cmp_eq_u32_sdwa s1, v12, v11 src0_sel:WORD_0 src1_sel:DWORD
	v_cndmask_b32_e64 v11, v13, v12, s1
; %bb.14:
	s_or_b32 exec_lo, exec_lo, s11
	v_lshlrev_b64 v[12:13], 1, v[3:4]
	v_add_co_u32 v12, s1, v5, v12
	v_add_co_ci_u32_e64 v13, null, v6, v13, s1
	flat_store_short_d16_hi v[12:13], v11
.LBB164_15:
	s_or_b32 exec_lo, exec_lo, s2
	v_add_co_u32 v11, s1, v3, 16
	v_add_co_ci_u32_e64 v12, null, 0, v4, s1
	v_cmp_gt_i64_e64 s1, s[28:29], v[11:12]
	s_and_saveexec_b32 s11, s1
	s_cbranch_execz .LBB164_21
; %bb.16:
	v_mul_f32_e32 v12, s4, v9
	v_and_b32_e32 v11, 0x7f800000, v12
	v_cmp_ne_u32_e64 s2, 0x7f800000, v11
                                        ; implicit-def: $vgpr11
	s_and_saveexec_b32 s18, s2
	s_xor_b32 s2, exec_lo, s18
; %bb.17:
	v_bfe_u32 v11, v12, 16, 1
	v_add3_u32 v11, v12, v11, 0x7fff
                                        ; implicit-def: $vgpr12
; %bb.18:
	s_andn2_saveexec_b32 s18, s2
; %bb.19:
	v_mov_b32_e32 v11, 0
	v_or_b32_e32 v13, 0x10000, v12
	v_cmp_eq_u32_sdwa s2, v12, v11 src0_sel:WORD_0 src1_sel:DWORD
	v_cndmask_b32_e64 v11, v13, v12, s2
; %bb.20:
	s_or_b32 exec_lo, exec_lo, s18
	v_lshlrev_b64 v[12:13], 1, v[3:4]
	v_add_co_u32 v12, s2, v5, v12
	v_add_co_ci_u32_e64 v13, null, v6, v13, s2
	flat_store_short_d16_hi v[12:13], v11 offset:32
.LBB164_21:
	s_or_b32 exec_lo, exec_lo, s11
	v_add_co_u32 v11, s2, v1, 16
	v_add_co_ci_u32_e64 v12, null, 0, v2, s2
	v_cmp_gt_i64_e64 s2, s[30:31], v[11:12]
	s_and_b32 exec_lo, exec_lo, s2
	s_cbranch_execz .LBB164_26
; %bb.22:
	s_lshl_b64 s[18:19], s[8:9], 5
	v_lshlrev_b64 v[3:4], 1, v[3:4]
	v_add_co_u32 v5, s2, v5, s18
	v_add_co_ci_u32_e64 v6, null, s19, v6, s2
	v_add_co_u32 v3, s2, v5, v3
	v_add_co_ci_u32_e64 v4, null, v6, v4, s2
	s_and_saveexec_b32 s2, vcc_lo
	s_cbranch_execz .LBB164_24
; %bb.23:
	v_mul_f32_e32 v5, s4, v8
	v_mov_b32_e32 v11, 0
	v_bfe_u32 v6, v5, 16, 1
	v_or_b32_e32 v12, 0x10000, v5
	v_and_b32_e32 v13, 0x7f800000, v5
	v_cmp_eq_u32_sdwa vcc_lo, v5, v11 src0_sel:WORD_0 src1_sel:DWORD
	v_add3_u32 v6, v5, v6, 0x7fff
	v_cndmask_b32_e32 v5, v12, v5, vcc_lo
	v_cmp_eq_u32_e32 vcc_lo, 0x7f800000, v13
	v_cndmask_b32_e32 v5, v6, v5, vcc_lo
	flat_store_short_d16_hi v[3:4], v5
.LBB164_24:
	s_or_b32 exec_lo, exec_lo, s2
	s_and_b32 exec_lo, exec_lo, s1
	s_cbranch_execz .LBB164_26
; %bb.25:
	v_mul_f32_e32 v5, s4, v7
	v_mov_b32_e32 v11, 0
	v_bfe_u32 v6, v5, 16, 1
	v_or_b32_e32 v12, 0x10000, v5
	v_and_b32_e32 v13, 0x7f800000, v5
	v_cmp_eq_u32_sdwa vcc_lo, v5, v11 src0_sel:WORD_0 src1_sel:DWORD
	v_add3_u32 v6, v5, v6, 0x7fff
	v_cndmask_b32_e32 v5, v12, v5, vcc_lo
	v_cmp_eq_u32_e32 vcc_lo, 0x7f800000, v13
	v_cndmask_b32_e32 v5, v6, v5, vcc_lo
	flat_store_short_d16_hi v[3:4], v5 offset:32
.LBB164_26:
	s_or_b32 exec_lo, exec_lo, s10
	s_cbranch_execz .LBB164_29
.LBB164_27:
	s_endpgm
.LBB164_28:
.LBB164_29:
	s_and_saveexec_b32 s1, s0
	s_cbranch_execz .LBB164_27
; %bb.30:
	v_mul_lo_u32 v5, v2, s14
	v_mul_lo_u32 v6, v1, s15
	v_mad_u64_u32 v[3:4], null, v1, s14, 0
	v_mul_lo_u32 v13, v2, s8
	v_mul_lo_u32 v14, v1, s9
	v_mad_u64_u32 v[11:12], null, v1, s8, 0
	s_lshl_b64 s[0:1], s[16:17], 1
	v_add3_u32 v4, v4, v6, v5
	v_add_co_u32 v5, s2, s6, v0
	v_add_co_ci_u32_e64 v6, null, s7, 0, s2
	v_add3_u32 v12, v12, v14, v13
	v_lshlrev_b64 v[3:4], 1, v[3:4]
	s_add_u32 s0, s12, s0
	s_addc_u32 s1, s13, s1
	v_cmp_gt_i64_e32 vcc_lo, s[28:29], v[5:6]
	v_lshlrev_b64 v[12:13], 1, v[11:12]
	v_add_co_u32 v0, s0, s0, v3
	v_add_co_ci_u32_e64 v11, null, s1, v4, s0
	v_add_co_u32 v12, s0, s5, v12
	v_lshlrev_b64 v[3:4], 1, v[5:6]
	v_add_co_ci_u32_e64 v13, null, s3, v13, s0
	s_and_saveexec_b32 s1, vcc_lo
	s_cbranch_execz .LBB164_40
; %bb.31:
	v_add_co_u32 v14, s0, v0, v3
	v_add_co_ci_u32_e64 v15, null, v11, v4, s0
	flat_load_ushort v14, v[14:15]
	s_waitcnt vmcnt(0) lgkmcnt(0)
	v_lshlrev_b32_e32 v14, 16, v14
	v_mul_f32_e32 v14, s20, v14
	v_and_b32_e32 v15, 0x7f800000, v14
	v_cmp_ne_u32_e64 s0, 0x7f800000, v15
                                        ; implicit-def: $vgpr15
	s_and_saveexec_b32 s2, s0
	s_xor_b32 s0, exec_lo, s2
; %bb.32:
	v_bfe_u32 v15, v14, 16, 1
	v_add3_u32 v15, v14, v15, 0x7fff
                                        ; implicit-def: $vgpr14
; %bb.33:
	s_andn2_saveexec_b32 s2, s0
; %bb.34:
	v_mov_b32_e32 v15, 0
	v_or_b32_e32 v16, 0x10000, v14
	v_cmp_eq_u32_sdwa s0, v14, v15 src0_sel:WORD_0 src1_sel:DWORD
	v_cndmask_b32_e64 v15, v16, v14, s0
; %bb.35:
	s_or_b32 exec_lo, exec_lo, s2
	v_and_b32_e32 v14, 0xffff0000, v15
	v_fmac_f32_e32 v14, s4, v10
	v_and_b32_e32 v10, 0x7f800000, v14
	v_cmp_ne_u32_e64 s0, 0x7f800000, v10
                                        ; implicit-def: $vgpr10
	s_and_saveexec_b32 s2, s0
	s_xor_b32 s0, exec_lo, s2
; %bb.36:
	v_bfe_u32 v10, v14, 16, 1
	v_add3_u32 v10, v14, v10, 0x7fff
                                        ; implicit-def: $vgpr14
; %bb.37:
	s_andn2_saveexec_b32 s2, s0
; %bb.38:
	v_mov_b32_e32 v10, 0
	v_or_b32_e32 v15, 0x10000, v14
	v_cmp_eq_u32_sdwa s0, v14, v10 src0_sel:WORD_0 src1_sel:DWORD
	v_cndmask_b32_e64 v10, v15, v14, s0
; %bb.39:
	s_or_b32 exec_lo, exec_lo, s2
	v_add_co_u32 v14, s0, v12, v3
	v_add_co_ci_u32_e64 v15, null, v13, v4, s0
	flat_store_short_d16_hi v[14:15], v10
.LBB164_40:
	s_or_b32 exec_lo, exec_lo, s1
	v_add_co_u32 v5, s0, v5, 16
	v_add_co_ci_u32_e64 v6, null, 0, v6, s0
	v_cmp_gt_i64_e64 s0, s[28:29], v[5:6]
	s_and_saveexec_b32 s2, s0
	s_cbranch_execz .LBB164_50
; %bb.41:
	v_add_co_u32 v5, s1, v0, v3
	v_add_co_ci_u32_e64 v6, null, v11, v4, s1
	flat_load_ushort v5, v[5:6] offset:32
	s_waitcnt vmcnt(0) lgkmcnt(0)
	v_lshlrev_b32_e32 v5, 16, v5
	v_mul_f32_e32 v5, s20, v5
	v_and_b32_e32 v6, 0x7f800000, v5
	v_cmp_ne_u32_e64 s1, 0x7f800000, v6
                                        ; implicit-def: $vgpr6
	s_and_saveexec_b32 s3, s1
	s_xor_b32 s1, exec_lo, s3
; %bb.42:
	v_bfe_u32 v6, v5, 16, 1
	v_add3_u32 v6, v5, v6, 0x7fff
                                        ; implicit-def: $vgpr5
; %bb.43:
	s_andn2_saveexec_b32 s3, s1
; %bb.44:
	v_mov_b32_e32 v6, 0
	v_or_b32_e32 v10, 0x10000, v5
	v_cmp_eq_u32_sdwa s1, v5, v6 src0_sel:WORD_0 src1_sel:DWORD
	v_cndmask_b32_e64 v6, v10, v5, s1
; %bb.45:
	s_or_b32 exec_lo, exec_lo, s3
	v_and_b32_e32 v5, 0xffff0000, v6
	v_fmac_f32_e32 v5, s4, v9
	v_and_b32_e32 v6, 0x7f800000, v5
	v_cmp_ne_u32_e64 s1, 0x7f800000, v6
                                        ; implicit-def: $vgpr6
	s_and_saveexec_b32 s3, s1
	s_xor_b32 s1, exec_lo, s3
; %bb.46:
	v_bfe_u32 v6, v5, 16, 1
	v_add3_u32 v6, v5, v6, 0x7fff
                                        ; implicit-def: $vgpr5
; %bb.47:
	s_andn2_saveexec_b32 s3, s1
; %bb.48:
	v_mov_b32_e32 v6, 0
	v_or_b32_e32 v9, 0x10000, v5
	v_cmp_eq_u32_sdwa s1, v5, v6 src0_sel:WORD_0 src1_sel:DWORD
	v_cndmask_b32_e64 v6, v9, v5, s1
; %bb.49:
	s_or_b32 exec_lo, exec_lo, s3
	v_add_co_u32 v9, s1, v12, v3
	v_add_co_ci_u32_e64 v10, null, v13, v4, s1
	flat_store_short_d16_hi v[9:10], v6 offset:32
.LBB164_50:
	s_or_b32 exec_lo, exec_lo, s2
	v_add_co_u32 v1, s1, v1, 16
	v_add_co_ci_u32_e64 v2, null, 0, v2, s1
	v_cmp_gt_i64_e64 s1, s[30:31], v[1:2]
	s_and_b32 exec_lo, exec_lo, s1
	s_cbranch_execz .LBB164_27
; %bb.51:
	s_lshl_b64 s[2:3], s[14:15], 5
	v_add_co_u32 v0, s1, v0, s2
	v_add_co_ci_u32_e64 v1, null, s3, v11, s1
	s_lshl_b64 s[2:3], s[8:9], 5
	v_add_co_u32 v2, s1, v12, s2
	v_add_co_ci_u32_e64 v9, null, s3, v13, s1
	v_add_co_u32 v5, s1, v0, v3
	v_add_co_ci_u32_e64 v6, null, v1, v4, s1
	;; [unrolled: 2-line block ×3, first 2 shown]
	s_and_saveexec_b32 s1, vcc_lo
	s_cbranch_execz .LBB164_61
; %bb.52:
	flat_load_ushort v2, v[5:6]
	s_waitcnt vmcnt(0) lgkmcnt(0)
	v_lshlrev_b32_e32 v2, 16, v2
	v_mul_f32_e32 v2, s20, v2
	v_and_b32_e32 v3, 0x7f800000, v2
	v_cmp_ne_u32_e32 vcc_lo, 0x7f800000, v3
                                        ; implicit-def: $vgpr3
	s_and_saveexec_b32 s2, vcc_lo
	s_xor_b32 s2, exec_lo, s2
; %bb.53:
	v_bfe_u32 v3, v2, 16, 1
	v_add3_u32 v3, v2, v3, 0x7fff
                                        ; implicit-def: $vgpr2
; %bb.54:
	s_andn2_saveexec_b32 s2, s2
; %bb.55:
	v_mov_b32_e32 v3, 0
	v_or_b32_e32 v4, 0x10000, v2
	v_cmp_eq_u32_sdwa vcc_lo, v2, v3 src0_sel:WORD_0 src1_sel:DWORD
	v_cndmask_b32_e32 v3, v4, v2, vcc_lo
; %bb.56:
	s_or_b32 exec_lo, exec_lo, s2
	v_and_b32_e32 v2, 0xffff0000, v3
	v_fmac_f32_e32 v2, s4, v8
	v_and_b32_e32 v3, 0x7f800000, v2
	v_cmp_ne_u32_e32 vcc_lo, 0x7f800000, v3
                                        ; implicit-def: $vgpr3
	s_and_saveexec_b32 s2, vcc_lo
	s_xor_b32 s2, exec_lo, s2
; %bb.57:
	v_bfe_u32 v3, v2, 16, 1
	v_add3_u32 v3, v2, v3, 0x7fff
                                        ; implicit-def: $vgpr2
; %bb.58:
	s_andn2_saveexec_b32 s2, s2
; %bb.59:
	v_mov_b32_e32 v3, 0
	v_or_b32_e32 v4, 0x10000, v2
	v_cmp_eq_u32_sdwa vcc_lo, v2, v3 src0_sel:WORD_0 src1_sel:DWORD
	v_cndmask_b32_e32 v3, v4, v2, vcc_lo
; %bb.60:
	s_or_b32 exec_lo, exec_lo, s2
	flat_store_short_d16_hi v[0:1], v3
.LBB164_61:
	s_or_b32 exec_lo, exec_lo, s1
	s_and_b32 exec_lo, exec_lo, s0
	s_cbranch_execz .LBB164_27
; %bb.62:
	flat_load_ushort v2, v[5:6] offset:32
	s_waitcnt vmcnt(0) lgkmcnt(0)
	v_lshlrev_b32_e32 v2, 16, v2
	v_mul_f32_e32 v2, s20, v2
	v_and_b32_e32 v3, 0x7f800000, v2
	v_cmp_ne_u32_e32 vcc_lo, 0x7f800000, v3
                                        ; implicit-def: $vgpr3
	s_and_saveexec_b32 s0, vcc_lo
	s_xor_b32 s0, exec_lo, s0
; %bb.63:
	v_bfe_u32 v3, v2, 16, 1
	v_add3_u32 v3, v2, v3, 0x7fff
                                        ; implicit-def: $vgpr2
; %bb.64:
	s_andn2_saveexec_b32 s0, s0
; %bb.65:
	v_mov_b32_e32 v3, 0
	v_or_b32_e32 v4, 0x10000, v2
	v_cmp_eq_u32_sdwa vcc_lo, v2, v3 src0_sel:WORD_0 src1_sel:DWORD
	v_cndmask_b32_e32 v3, v4, v2, vcc_lo
; %bb.66:
	s_or_b32 exec_lo, exec_lo, s0
	v_and_b32_e32 v2, 0xffff0000, v3
	v_fmac_f32_e32 v2, s4, v7
	v_and_b32_e32 v3, 0x7f800000, v2
	v_cmp_ne_u32_e32 vcc_lo, 0x7f800000, v3
                                        ; implicit-def: $vgpr3
	s_and_saveexec_b32 s0, vcc_lo
	s_xor_b32 s0, exec_lo, s0
; %bb.67:
	v_bfe_u32 v3, v2, 16, 1
	v_add3_u32 v3, v2, v3, 0x7fff
                                        ; implicit-def: $vgpr2
; %bb.68:
	s_andn2_saveexec_b32 s0, s0
; %bb.69:
	v_mov_b32_e32 v3, 0
	v_or_b32_e32 v4, 0x10000, v2
	v_cmp_eq_u32_sdwa vcc_lo, v2, v3 src0_sel:WORD_0 src1_sel:DWORD
	v_cndmask_b32_e32 v3, v4, v2, vcc_lo
; %bb.70:
	s_or_b32 exec_lo, exec_lo, s0
	flat_store_short_d16_hi v[0:1], v3 offset:32
	s_endpgm
	.section	.rodata,"a",@progbits
	.p2align	6, 0x0
	.amdhsa_kernel _ZN12_GLOBAL__N_135rocblas_gemm_batched_general_kernelIfLi16ELi16ELi32ELi32ELi8ELi32ELi8ELi8ELi32ELc67ELc84EKPK16rocblas_bfloat16S4_KPS1_EEvlllT_PT11_llS9_llS7_PT12_llPT13_lli
		.amdhsa_group_segment_fixed_size 2048
		.amdhsa_private_segment_fixed_size 0
		.amdhsa_kernarg_size 140
		.amdhsa_user_sgpr_count 6
		.amdhsa_user_sgpr_private_segment_buffer 1
		.amdhsa_user_sgpr_dispatch_ptr 0
		.amdhsa_user_sgpr_queue_ptr 0
		.amdhsa_user_sgpr_kernarg_segment_ptr 1
		.amdhsa_user_sgpr_dispatch_id 0
		.amdhsa_user_sgpr_flat_scratch_init 0
		.amdhsa_user_sgpr_private_segment_size 0
		.amdhsa_wavefront_size32 1
		.amdhsa_uses_dynamic_stack 0
		.amdhsa_system_sgpr_private_segment_wavefront_offset 0
		.amdhsa_system_sgpr_workgroup_id_x 1
		.amdhsa_system_sgpr_workgroup_id_y 1
		.amdhsa_system_sgpr_workgroup_id_z 1
		.amdhsa_system_sgpr_workgroup_info 0
		.amdhsa_system_vgpr_workitem_id 1
		.amdhsa_next_free_vgpr 44
		.amdhsa_next_free_sgpr 44
		.amdhsa_reserve_vcc 1
		.amdhsa_reserve_flat_scratch 0
		.amdhsa_float_round_mode_32 0
		.amdhsa_float_round_mode_16_64 0
		.amdhsa_float_denorm_mode_32 3
		.amdhsa_float_denorm_mode_16_64 3
		.amdhsa_dx10_clamp 1
		.amdhsa_ieee_mode 1
		.amdhsa_fp16_overflow 0
		.amdhsa_workgroup_processor_mode 1
		.amdhsa_memory_ordered 1
		.amdhsa_forward_progress 1
		.amdhsa_shared_vgpr_count 0
		.amdhsa_exception_fp_ieee_invalid_op 0
		.amdhsa_exception_fp_denorm_src 0
		.amdhsa_exception_fp_ieee_div_zero 0
		.amdhsa_exception_fp_ieee_overflow 0
		.amdhsa_exception_fp_ieee_underflow 0
		.amdhsa_exception_fp_ieee_inexact 0
		.amdhsa_exception_int_div_zero 0
	.end_amdhsa_kernel
	.section	.text._ZN12_GLOBAL__N_135rocblas_gemm_batched_general_kernelIfLi16ELi16ELi32ELi32ELi8ELi32ELi8ELi8ELi32ELc67ELc84EKPK16rocblas_bfloat16S4_KPS1_EEvlllT_PT11_llS9_llS7_PT12_llPT13_lli,"axG",@progbits,_ZN12_GLOBAL__N_135rocblas_gemm_batched_general_kernelIfLi16ELi16ELi32ELi32ELi8ELi32ELi8ELi8ELi32ELc67ELc84EKPK16rocblas_bfloat16S4_KPS1_EEvlllT_PT11_llS9_llS7_PT12_llPT13_lli,comdat
.Lfunc_end164:
	.size	_ZN12_GLOBAL__N_135rocblas_gemm_batched_general_kernelIfLi16ELi16ELi32ELi32ELi8ELi32ELi8ELi8ELi32ELc67ELc84EKPK16rocblas_bfloat16S4_KPS1_EEvlllT_PT11_llS9_llS7_PT12_llPT13_lli, .Lfunc_end164-_ZN12_GLOBAL__N_135rocblas_gemm_batched_general_kernelIfLi16ELi16ELi32ELi32ELi8ELi32ELi8ELi8ELi32ELc67ELc84EKPK16rocblas_bfloat16S4_KPS1_EEvlllT_PT11_llS9_llS7_PT12_llPT13_lli
                                        ; -- End function
	.set _ZN12_GLOBAL__N_135rocblas_gemm_batched_general_kernelIfLi16ELi16ELi32ELi32ELi8ELi32ELi8ELi8ELi32ELc67ELc84EKPK16rocblas_bfloat16S4_KPS1_EEvlllT_PT11_llS9_llS7_PT12_llPT13_lli.num_vgpr, 44
	.set _ZN12_GLOBAL__N_135rocblas_gemm_batched_general_kernelIfLi16ELi16ELi32ELi32ELi8ELi32ELi8ELi8ELi32ELc67ELc84EKPK16rocblas_bfloat16S4_KPS1_EEvlllT_PT11_llS9_llS7_PT12_llPT13_lli.num_agpr, 0
	.set _ZN12_GLOBAL__N_135rocblas_gemm_batched_general_kernelIfLi16ELi16ELi32ELi32ELi8ELi32ELi8ELi8ELi32ELc67ELc84EKPK16rocblas_bfloat16S4_KPS1_EEvlllT_PT11_llS9_llS7_PT12_llPT13_lli.numbered_sgpr, 44
	.set _ZN12_GLOBAL__N_135rocblas_gemm_batched_general_kernelIfLi16ELi16ELi32ELi32ELi8ELi32ELi8ELi8ELi32ELc67ELc84EKPK16rocblas_bfloat16S4_KPS1_EEvlllT_PT11_llS9_llS7_PT12_llPT13_lli.num_named_barrier, 0
	.set _ZN12_GLOBAL__N_135rocblas_gemm_batched_general_kernelIfLi16ELi16ELi32ELi32ELi8ELi32ELi8ELi8ELi32ELc67ELc84EKPK16rocblas_bfloat16S4_KPS1_EEvlllT_PT11_llS9_llS7_PT12_llPT13_lli.private_seg_size, 0
	.set _ZN12_GLOBAL__N_135rocblas_gemm_batched_general_kernelIfLi16ELi16ELi32ELi32ELi8ELi32ELi8ELi8ELi32ELc67ELc84EKPK16rocblas_bfloat16S4_KPS1_EEvlllT_PT11_llS9_llS7_PT12_llPT13_lli.uses_vcc, 1
	.set _ZN12_GLOBAL__N_135rocblas_gemm_batched_general_kernelIfLi16ELi16ELi32ELi32ELi8ELi32ELi8ELi8ELi32ELc67ELc84EKPK16rocblas_bfloat16S4_KPS1_EEvlllT_PT11_llS9_llS7_PT12_llPT13_lli.uses_flat_scratch, 0
	.set _ZN12_GLOBAL__N_135rocblas_gemm_batched_general_kernelIfLi16ELi16ELi32ELi32ELi8ELi32ELi8ELi8ELi32ELc67ELc84EKPK16rocblas_bfloat16S4_KPS1_EEvlllT_PT11_llS9_llS7_PT12_llPT13_lli.has_dyn_sized_stack, 0
	.set _ZN12_GLOBAL__N_135rocblas_gemm_batched_general_kernelIfLi16ELi16ELi32ELi32ELi8ELi32ELi8ELi8ELi32ELc67ELc84EKPK16rocblas_bfloat16S4_KPS1_EEvlllT_PT11_llS9_llS7_PT12_llPT13_lli.has_recursion, 0
	.set _ZN12_GLOBAL__N_135rocblas_gemm_batched_general_kernelIfLi16ELi16ELi32ELi32ELi8ELi32ELi8ELi8ELi32ELc67ELc84EKPK16rocblas_bfloat16S4_KPS1_EEvlllT_PT11_llS9_llS7_PT12_llPT13_lli.has_indirect_call, 0
	.section	.AMDGPU.csdata,"",@progbits
; Kernel info:
; codeLenInByte = 2916
; TotalNumSgprs: 46
; NumVgprs: 44
; ScratchSize: 0
; MemoryBound: 0
; FloatMode: 240
; IeeeMode: 1
; LDSByteSize: 2048 bytes/workgroup (compile time only)
; SGPRBlocks: 0
; VGPRBlocks: 5
; NumSGPRsForWavesPerEU: 46
; NumVGPRsForWavesPerEU: 44
; Occupancy: 16
; WaveLimiterHint : 1
; COMPUTE_PGM_RSRC2:SCRATCH_EN: 0
; COMPUTE_PGM_RSRC2:USER_SGPR: 6
; COMPUTE_PGM_RSRC2:TRAP_HANDLER: 0
; COMPUTE_PGM_RSRC2:TGID_X_EN: 1
; COMPUTE_PGM_RSRC2:TGID_Y_EN: 1
; COMPUTE_PGM_RSRC2:TGID_Z_EN: 1
; COMPUTE_PGM_RSRC2:TIDIG_COMP_CNT: 1
	.section	.text._ZN12_GLOBAL__N_135rocblas_gemm_batched_general_kernelIfLi16ELi16ELi32ELi32ELi8ELi32ELi8ELi8ELi32ELc78ELc67EKPK16rocblas_bfloat16S4_KPS1_EEvlllT_PT11_llS9_llS7_PT12_llPT13_lli,"axG",@progbits,_ZN12_GLOBAL__N_135rocblas_gemm_batched_general_kernelIfLi16ELi16ELi32ELi32ELi8ELi32ELi8ELi8ELi32ELc78ELc67EKPK16rocblas_bfloat16S4_KPS1_EEvlllT_PT11_llS9_llS7_PT12_llPT13_lli,comdat
	.globl	_ZN12_GLOBAL__N_135rocblas_gemm_batched_general_kernelIfLi16ELi16ELi32ELi32ELi8ELi32ELi8ELi8ELi32ELc78ELc67EKPK16rocblas_bfloat16S4_KPS1_EEvlllT_PT11_llS9_llS7_PT12_llPT13_lli ; -- Begin function _ZN12_GLOBAL__N_135rocblas_gemm_batched_general_kernelIfLi16ELi16ELi32ELi32ELi8ELi32ELi8ELi8ELi32ELc78ELc67EKPK16rocblas_bfloat16S4_KPS1_EEvlllT_PT11_llS9_llS7_PT12_llPT13_lli
	.p2align	8
	.type	_ZN12_GLOBAL__N_135rocblas_gemm_batched_general_kernelIfLi16ELi16ELi32ELi32ELi8ELi32ELi8ELi8ELi32ELc78ELc67EKPK16rocblas_bfloat16S4_KPS1_EEvlllT_PT11_llS9_llS7_PT12_llPT13_lli,@function
_ZN12_GLOBAL__N_135rocblas_gemm_batched_general_kernelIfLi16ELi16ELi32ELi32ELi8ELi32ELi8ELi8ELi32ELc78ELc67EKPK16rocblas_bfloat16S4_KPS1_EEvlllT_PT11_llS9_llS7_PT12_llPT13_lli: ; @_ZN12_GLOBAL__N_135rocblas_gemm_batched_general_kernelIfLi16ELi16ELi32ELi32ELi8ELi32ELi8ELi8ELi32ELc78ELc67EKPK16rocblas_bfloat16S4_KPS1_EEvlllT_PT11_llS9_llS7_PT12_llPT13_lli
; %bb.0:
	s_clause 0x1
	s_load_dwordx8 s[12:19], s[4:5], 0x58
	s_load_dwordx2 s[34:35], s[4:5], 0x10
	s_mov_b32 s9, 0
	s_load_dwordx4 s[28:31], s[4:5], 0x0
	s_lshl_b64 s[44:45], s[8:9], 3
	s_load_dwordx4 s[8:11], s[4:5], 0x78
	s_mov_b32 s42, s7
	v_mov_b32_e32 v10, 0
	v_mov_b32_e32 v9, 0
	v_mov_b32_e32 v8, 0
	v_mov_b32_e32 v7, 0
	s_waitcnt lgkmcnt(0)
	s_add_u32 s0, s12, s44
	s_addc_u32 s1, s13, s45
	s_add_u32 s2, s18, s44
	s_addc_u32 s3, s19, s45
	s_load_dwordx2 s[12:13], s[0:1], 0x0
	s_load_dwordx2 s[2:3], s[2:3], 0x0
	v_cmp_lt_i64_e64 s0, s[34:35], 1
	s_ashr_i32 s7, s6, 31
	s_ashr_i32 s43, s42, 31
	s_lshl_b64 s[18:19], s[6:7], 5
	s_lshl_b64 s[40:41], s[42:43], 5
	s_and_b32 vcc_lo, exec_lo, s0
	s_cbranch_vccnz .LBB165_7
; %bb.1:
	s_clause 0x1
	s_load_dwordx4 s[36:39], s[4:5], 0x40
	s_load_dwordx8 s[20:27], s[4:5], 0x20
	v_lshl_add_u32 v2, v1, 4, v0
	v_and_b32_e32 v6, 7, v0
	v_mov_b32_e32 v3, s19
	v_mov_b32_e32 v7, 0
	v_lshlrev_b32_e32 v11, 2, v0
	v_lshrrev_b32_e32 v13, 5, v2
	v_and_b32_e32 v18, 31, v2
	v_lshrrev_b32_e32 v10, 3, v2
	v_lshlrev_b32_e32 v14, 2, v6
	v_lshl_add_u32 v12, v1, 5, 0x400
	v_or_b32_e32 v2, s18, v18
	v_add_co_u32 v4, s0, v10, s40
	v_add_co_ci_u32_e64 v5, null, 0, s41, s0
	v_cmp_gt_i64_e64 s0, s[28:29], v[2:3]
	v_lshl_or_b32 v19, v10, 5, v14
	s_waitcnt lgkmcnt(0)
	v_mad_u64_u32 v[8:9], null, s36, v6, 0
	v_mad_u64_u32 v[16:17], null, s22, v13, 0
	v_cmp_gt_i64_e64 s1, s[30:31], v[4:5]
	s_add_u32 s26, s26, s44
	s_addc_u32 s27, s27, s45
	s_add_u32 s20, s20, s44
	v_mov_b32_e32 v2, v9
	s_load_dwordx2 s[26:27], s[26:27], 0x0
	v_mov_b32_e32 v3, v17
	s_addc_u32 s21, s21, s45
	s_lshl_b64 s[42:43], s[42:43], 6
	s_load_dwordx2 s[20:21], s[20:21], 0x0
	s_lshl_b64 s[38:39], s[38:39], 1
	v_mad_u64_u32 v[4:5], null, s37, v6, v[2:3]
	s_add_u32 s33, s38, s42
	s_addc_u32 s42, s39, s43
	s_lshl_b64 s[38:39], s[6:7], 6
	s_lshl_b64 s[24:25], s[24:25], 1
	;; [unrolled: 1-line block ×3, first 2 shown]
	v_lshlrev_b32_e32 v10, 1, v10
	v_mad_u64_u32 v[2:3], null, s23, v13, v[3:4]
	v_mov_b32_e32 v9, v4
	s_add_u32 s24, s24, s38
	s_addc_u32 s25, s25, s39
	v_lshlrev_b32_e32 v15, 2, v18
	v_mov_b32_e32 v17, v2
	v_lshlrev_b64 v[2:3], 1, v[8:9]
	v_lshlrev_b32_e32 v8, 1, v18
	v_lshl_or_b32 v14, v13, 7, v15
	v_add_nc_u32_e32 v15, 0x400, v19
	v_lshlrev_b64 v[4:5], 1, v[16:17]
	v_mov_b32_e32 v9, 0
	v_add_co_u32 v2, vcc_lo, s33, v2
	v_add_co_ci_u32_e64 v3, null, s42, v3, vcc_lo
	v_add_co_u32 v4, vcc_lo, s24, v4
	v_add_co_ci_u32_e64 v5, null, s25, v5, vcc_lo
	;; [unrolled: 2-line block ×4, first 2 shown]
	s_waitcnt lgkmcnt(0)
	v_add_co_u32 v2, vcc_lo, s26, v2
	v_add_co_ci_u32_e64 v3, null, s27, v3, vcc_lo
	v_add_co_u32 v4, vcc_lo, s20, v4
	v_add_co_ci_u32_e64 v5, null, s21, v5, vcc_lo
	v_mov_b32_e32 v8, 0
	v_mov_b32_e32 v10, 0
	s_lshl_b64 s[20:21], s[22:23], 4
	s_mov_b64 s[22:23], 0
	s_branch .LBB165_3
.LBB165_2:                              ;   in Loop: Header=BB165_3 Depth=1
	s_or_b32 exec_lo, exec_lo, s24
	ds_write_b32 v15, v17
	s_waitcnt lgkmcnt(0)
	s_barrier
	buffer_gl0_inv
	ds_read_b128 v[16:19], v12
	ds_read2_b32 v[32:33], v11 offset1:16
	ds_read_b128 v[20:23], v12 offset:512
	ds_read2_b32 v[34:35], v11 offset0:32 offset1:48
	ds_read2_b32 v[36:37], v11 offset0:64 offset1:80
	;; [unrolled: 1-line block ×3, first 2 shown]
	ds_read_b128 v[24:27], v12 offset:16
	ds_read2_b32 v[40:41], v11 offset0:128 offset1:144
	ds_read_b128 v[28:31], v12 offset:528
	ds_read2_b32 v[42:43], v11 offset0:160 offset1:176
	s_add_u32 s22, s22, 8
	s_addc_u32 s23, s23, 0
	v_add_co_u32 v2, vcc_lo, v2, s6
	v_cmp_lt_i64_e64 s24, s[22:23], s[34:35]
	v_add_co_ci_u32_e64 v3, null, s7, v3, vcc_lo
	v_add_co_u32 v4, vcc_lo, v4, s20
	v_add_co_ci_u32_e64 v5, null, s21, v5, vcc_lo
	s_waitcnt lgkmcnt(8)
	v_fmac_f32_e32 v10, v32, v16
	v_fmac_f32_e32 v9, v33, v16
	s_waitcnt lgkmcnt(7)
	v_fmac_f32_e32 v8, v32, v20
	v_fmac_f32_e32 v7, v33, v20
	ds_read2_b32 v[32:33], v11 offset0:192 offset1:208
	s_waitcnt lgkmcnt(7)
	v_fmac_f32_e32 v10, v34, v17
	v_fmac_f32_e32 v9, v35, v17
	;; [unrolled: 1-line block ×4, first 2 shown]
	ds_read2_b32 v[16:17], v11 offset0:224 offset1:240
	s_waitcnt lgkmcnt(7)
	v_fmac_f32_e32 v10, v36, v18
	v_fmac_f32_e32 v9, v37, v18
	;; [unrolled: 1-line block ×4, first 2 shown]
	s_and_b32 vcc_lo, exec_lo, s24
	s_waitcnt lgkmcnt(6)
	v_fmac_f32_e32 v10, v38, v19
	v_fmac_f32_e32 v9, v39, v19
	;; [unrolled: 1-line block ×4, first 2 shown]
	s_waitcnt lgkmcnt(0)
	v_fmac_f32_e32 v10, v40, v24
	v_fmac_f32_e32 v9, v41, v24
	;; [unrolled: 1-line block ×4, first 2 shown]
	s_barrier
	v_fmac_f32_e32 v10, v42, v25
	v_fmac_f32_e32 v9, v43, v25
	;; [unrolled: 1-line block ×4, first 2 shown]
	buffer_gl0_inv
	v_fmac_f32_e32 v10, v32, v26
	v_fmac_f32_e32 v9, v33, v26
	v_fmac_f32_e32 v8, v32, v30
	v_fmac_f32_e32 v7, v33, v30
	v_fmac_f32_e32 v10, v16, v27
	v_fmac_f32_e32 v9, v17, v27
	v_fmac_f32_e32 v8, v16, v31
	v_fmac_f32_e32 v7, v17, v31
	s_cbranch_vccz .LBB165_7
.LBB165_3:                              ; =>This Inner Loop Header: Depth=1
	v_add_co_u32 v16, s24, v13, s22
	v_add_co_ci_u32_e64 v17, null, 0, s23, s24
	v_cmp_gt_i64_e32 vcc_lo, s[34:35], v[16:17]
	v_mov_b32_e32 v16, 0
	s_and_b32 s25, s0, vcc_lo
	s_and_saveexec_b32 s24, s25
	s_cbranch_execz .LBB165_5
; %bb.4:                                ;   in Loop: Header=BB165_3 Depth=1
	flat_load_ushort v16, v[4:5]
	s_waitcnt vmcnt(0) lgkmcnt(0)
	v_lshlrev_b32_e32 v16, 16, v16
.LBB165_5:                              ;   in Loop: Header=BB165_3 Depth=1
	s_or_b32 exec_lo, exec_lo, s24
	v_add_co_u32 v17, s24, v6, s22
	v_add_co_ci_u32_e64 v18, null, 0, s23, s24
	ds_write_b32 v14, v16
	v_cmp_gt_i64_e32 vcc_lo, s[34:35], v[17:18]
	v_mov_b32_e32 v17, 0
	s_and_b32 s25, vcc_lo, s1
	s_and_saveexec_b32 s24, s25
	s_cbranch_execz .LBB165_2
; %bb.6:                                ;   in Loop: Header=BB165_3 Depth=1
	flat_load_ushort v16, v[2:3]
	s_waitcnt vmcnt(0) lgkmcnt(0)
	v_lshlrev_b32_e32 v17, 16, v16
	s_branch .LBB165_2
.LBB165_7:
	s_clause 0x1
	s_load_dword s6, s[4:5], 0x50
	s_load_dword s4, s[4:5], 0x18
	v_add_co_u32 v1, s5, s40, v1
	v_add_co_ci_u32_e64 v2, null, s41, 0, s5
	s_lshl_b64 s[0:1], s[10:11], 1
	s_waitcnt lgkmcnt(0)
	s_add_u32 s5, s2, s0
	v_cmp_gt_i64_e64 s0, s[30:31], v[1:2]
	s_addc_u32 s3, s3, s1
	v_cmp_neq_f32_e64 s7, s6, 0
	s_and_b32 vcc_lo, exec_lo, s7
	s_cbranch_vccnz .LBB165_28
; %bb.8:
	s_and_saveexec_b32 s7, s0
	s_cbranch_execz .LBB165_26
; %bb.9:
	v_mul_lo_u32 v3, v2, s8
	v_mul_lo_u32 v4, v1, s9
	v_mad_u64_u32 v[5:6], null, v1, s8, 0
	v_add3_u32 v6, v6, v4, v3
	v_add_co_u32 v3, s1, s18, v0
	v_add_co_ci_u32_e64 v4, null, s19, 0, s1
	v_lshlrev_b64 v[5:6], 1, v[5:6]
	v_cmp_gt_i64_e32 vcc_lo, s[28:29], v[3:4]
	v_add_co_u32 v5, s1, s5, v5
	v_add_co_ci_u32_e64 v6, null, s3, v6, s1
	s_and_saveexec_b32 s2, vcc_lo
	s_cbranch_execz .LBB165_15
; %bb.10:
	v_mul_f32_e32 v12, s4, v10
	v_and_b32_e32 v11, 0x7f800000, v12
	v_cmp_ne_u32_e64 s1, 0x7f800000, v11
                                        ; implicit-def: $vgpr11
	s_and_saveexec_b32 s10, s1
	s_xor_b32 s1, exec_lo, s10
; %bb.11:
	v_bfe_u32 v11, v12, 16, 1
	v_add3_u32 v11, v12, v11, 0x7fff
                                        ; implicit-def: $vgpr12
; %bb.12:
	s_andn2_saveexec_b32 s10, s1
; %bb.13:
	v_mov_b32_e32 v11, 0
	v_or_b32_e32 v13, 0x10000, v12
	v_cmp_eq_u32_sdwa s1, v12, v11 src0_sel:WORD_0 src1_sel:DWORD
	v_cndmask_b32_e64 v11, v13, v12, s1
; %bb.14:
	s_or_b32 exec_lo, exec_lo, s10
	v_lshlrev_b64 v[12:13], 1, v[3:4]
	v_add_co_u32 v12, s1, v5, v12
	v_add_co_ci_u32_e64 v13, null, v6, v13, s1
	flat_store_short_d16_hi v[12:13], v11
.LBB165_15:
	s_or_b32 exec_lo, exec_lo, s2
	v_add_co_u32 v11, s1, v3, 16
	v_add_co_ci_u32_e64 v12, null, 0, v4, s1
	v_cmp_gt_i64_e64 s1, s[28:29], v[11:12]
	s_and_saveexec_b32 s10, s1
	s_cbranch_execz .LBB165_21
; %bb.16:
	v_mul_f32_e32 v12, s4, v9
	v_and_b32_e32 v11, 0x7f800000, v12
	v_cmp_ne_u32_e64 s2, 0x7f800000, v11
                                        ; implicit-def: $vgpr11
	s_and_saveexec_b32 s11, s2
	s_xor_b32 s2, exec_lo, s11
; %bb.17:
	v_bfe_u32 v11, v12, 16, 1
	v_add3_u32 v11, v12, v11, 0x7fff
                                        ; implicit-def: $vgpr12
; %bb.18:
	s_andn2_saveexec_b32 s11, s2
; %bb.19:
	v_mov_b32_e32 v11, 0
	v_or_b32_e32 v13, 0x10000, v12
	v_cmp_eq_u32_sdwa s2, v12, v11 src0_sel:WORD_0 src1_sel:DWORD
	v_cndmask_b32_e64 v11, v13, v12, s2
; %bb.20:
	s_or_b32 exec_lo, exec_lo, s11
	v_lshlrev_b64 v[12:13], 1, v[3:4]
	v_add_co_u32 v12, s2, v5, v12
	v_add_co_ci_u32_e64 v13, null, v6, v13, s2
	flat_store_short_d16_hi v[12:13], v11 offset:32
.LBB165_21:
	s_or_b32 exec_lo, exec_lo, s10
	v_add_co_u32 v11, s2, v1, 16
	v_add_co_ci_u32_e64 v12, null, 0, v2, s2
	v_cmp_gt_i64_e64 s2, s[30:31], v[11:12]
	s_and_b32 exec_lo, exec_lo, s2
	s_cbranch_execz .LBB165_26
; %bb.22:
	s_lshl_b64 s[10:11], s[8:9], 5
	v_lshlrev_b64 v[3:4], 1, v[3:4]
	v_add_co_u32 v5, s2, v5, s10
	v_add_co_ci_u32_e64 v6, null, s11, v6, s2
	v_add_co_u32 v3, s2, v5, v3
	v_add_co_ci_u32_e64 v4, null, v6, v4, s2
	s_and_saveexec_b32 s2, vcc_lo
	s_cbranch_execz .LBB165_24
; %bb.23:
	v_mul_f32_e32 v5, s4, v8
	v_mov_b32_e32 v11, 0
	v_bfe_u32 v6, v5, 16, 1
	v_or_b32_e32 v12, 0x10000, v5
	v_and_b32_e32 v13, 0x7f800000, v5
	v_cmp_eq_u32_sdwa vcc_lo, v5, v11 src0_sel:WORD_0 src1_sel:DWORD
	v_add3_u32 v6, v5, v6, 0x7fff
	v_cndmask_b32_e32 v5, v12, v5, vcc_lo
	v_cmp_eq_u32_e32 vcc_lo, 0x7f800000, v13
	v_cndmask_b32_e32 v5, v6, v5, vcc_lo
	flat_store_short_d16_hi v[3:4], v5
.LBB165_24:
	s_or_b32 exec_lo, exec_lo, s2
	s_and_b32 exec_lo, exec_lo, s1
	s_cbranch_execz .LBB165_26
; %bb.25:
	v_mul_f32_e32 v5, s4, v7
	v_mov_b32_e32 v11, 0
	v_bfe_u32 v6, v5, 16, 1
	v_or_b32_e32 v12, 0x10000, v5
	v_and_b32_e32 v13, 0x7f800000, v5
	v_cmp_eq_u32_sdwa vcc_lo, v5, v11 src0_sel:WORD_0 src1_sel:DWORD
	v_add3_u32 v6, v5, v6, 0x7fff
	v_cndmask_b32_e32 v5, v12, v5, vcc_lo
	v_cmp_eq_u32_e32 vcc_lo, 0x7f800000, v13
	v_cndmask_b32_e32 v5, v6, v5, vcc_lo
	flat_store_short_d16_hi v[3:4], v5 offset:32
.LBB165_26:
	s_or_b32 exec_lo, exec_lo, s7
	s_cbranch_execz .LBB165_29
.LBB165_27:
	s_endpgm
.LBB165_28:
.LBB165_29:
	s_and_saveexec_b32 s1, s0
	s_cbranch_execz .LBB165_27
; %bb.30:
	v_mul_lo_u32 v5, v2, s14
	v_mul_lo_u32 v6, v1, s15
	v_mad_u64_u32 v[3:4], null, v1, s14, 0
	v_mul_lo_u32 v13, v2, s8
	v_mul_lo_u32 v14, v1, s9
	v_mad_u64_u32 v[11:12], null, v1, s8, 0
	s_lshl_b64 s[0:1], s[16:17], 1
	v_add3_u32 v4, v4, v6, v5
	v_add_co_u32 v5, s2, s18, v0
	v_add_co_ci_u32_e64 v6, null, s19, 0, s2
	v_add3_u32 v12, v12, v14, v13
	v_lshlrev_b64 v[3:4], 1, v[3:4]
	s_add_u32 s0, s12, s0
	s_addc_u32 s1, s13, s1
	v_cmp_gt_i64_e32 vcc_lo, s[28:29], v[5:6]
	v_lshlrev_b64 v[12:13], 1, v[11:12]
	v_add_co_u32 v0, s0, s0, v3
	v_add_co_ci_u32_e64 v11, null, s1, v4, s0
	v_add_co_u32 v12, s0, s5, v12
	v_lshlrev_b64 v[3:4], 1, v[5:6]
	v_add_co_ci_u32_e64 v13, null, s3, v13, s0
	s_and_saveexec_b32 s1, vcc_lo
	s_cbranch_execz .LBB165_40
; %bb.31:
	v_add_co_u32 v14, s0, v0, v3
	v_add_co_ci_u32_e64 v15, null, v11, v4, s0
	flat_load_ushort v14, v[14:15]
	s_waitcnt vmcnt(0) lgkmcnt(0)
	v_lshlrev_b32_e32 v14, 16, v14
	v_mul_f32_e32 v14, s6, v14
	v_and_b32_e32 v15, 0x7f800000, v14
	v_cmp_ne_u32_e64 s0, 0x7f800000, v15
                                        ; implicit-def: $vgpr15
	s_and_saveexec_b32 s2, s0
	s_xor_b32 s0, exec_lo, s2
; %bb.32:
	v_bfe_u32 v15, v14, 16, 1
	v_add3_u32 v15, v14, v15, 0x7fff
                                        ; implicit-def: $vgpr14
; %bb.33:
	s_andn2_saveexec_b32 s2, s0
; %bb.34:
	v_mov_b32_e32 v15, 0
	v_or_b32_e32 v16, 0x10000, v14
	v_cmp_eq_u32_sdwa s0, v14, v15 src0_sel:WORD_0 src1_sel:DWORD
	v_cndmask_b32_e64 v15, v16, v14, s0
; %bb.35:
	s_or_b32 exec_lo, exec_lo, s2
	v_and_b32_e32 v14, 0xffff0000, v15
	v_fmac_f32_e32 v14, s4, v10
	v_and_b32_e32 v10, 0x7f800000, v14
	v_cmp_ne_u32_e64 s0, 0x7f800000, v10
                                        ; implicit-def: $vgpr10
	s_and_saveexec_b32 s2, s0
	s_xor_b32 s0, exec_lo, s2
; %bb.36:
	v_bfe_u32 v10, v14, 16, 1
	v_add3_u32 v10, v14, v10, 0x7fff
                                        ; implicit-def: $vgpr14
; %bb.37:
	s_andn2_saveexec_b32 s2, s0
; %bb.38:
	v_mov_b32_e32 v10, 0
	v_or_b32_e32 v15, 0x10000, v14
	v_cmp_eq_u32_sdwa s0, v14, v10 src0_sel:WORD_0 src1_sel:DWORD
	v_cndmask_b32_e64 v10, v15, v14, s0
; %bb.39:
	s_or_b32 exec_lo, exec_lo, s2
	v_add_co_u32 v14, s0, v12, v3
	v_add_co_ci_u32_e64 v15, null, v13, v4, s0
	flat_store_short_d16_hi v[14:15], v10
.LBB165_40:
	s_or_b32 exec_lo, exec_lo, s1
	v_add_co_u32 v5, s0, v5, 16
	v_add_co_ci_u32_e64 v6, null, 0, v6, s0
	v_cmp_gt_i64_e64 s0, s[28:29], v[5:6]
	s_and_saveexec_b32 s2, s0
	s_cbranch_execz .LBB165_50
; %bb.41:
	v_add_co_u32 v5, s1, v0, v3
	v_add_co_ci_u32_e64 v6, null, v11, v4, s1
	flat_load_ushort v5, v[5:6] offset:32
	s_waitcnt vmcnt(0) lgkmcnt(0)
	v_lshlrev_b32_e32 v5, 16, v5
	v_mul_f32_e32 v5, s6, v5
	v_and_b32_e32 v6, 0x7f800000, v5
	v_cmp_ne_u32_e64 s1, 0x7f800000, v6
                                        ; implicit-def: $vgpr6
	s_and_saveexec_b32 s3, s1
	s_xor_b32 s1, exec_lo, s3
; %bb.42:
	v_bfe_u32 v6, v5, 16, 1
	v_add3_u32 v6, v5, v6, 0x7fff
                                        ; implicit-def: $vgpr5
; %bb.43:
	s_andn2_saveexec_b32 s3, s1
; %bb.44:
	v_mov_b32_e32 v6, 0
	v_or_b32_e32 v10, 0x10000, v5
	v_cmp_eq_u32_sdwa s1, v5, v6 src0_sel:WORD_0 src1_sel:DWORD
	v_cndmask_b32_e64 v6, v10, v5, s1
; %bb.45:
	s_or_b32 exec_lo, exec_lo, s3
	v_and_b32_e32 v5, 0xffff0000, v6
	v_fmac_f32_e32 v5, s4, v9
	v_and_b32_e32 v6, 0x7f800000, v5
	v_cmp_ne_u32_e64 s1, 0x7f800000, v6
                                        ; implicit-def: $vgpr6
	s_and_saveexec_b32 s3, s1
	s_xor_b32 s1, exec_lo, s3
; %bb.46:
	v_bfe_u32 v6, v5, 16, 1
	v_add3_u32 v6, v5, v6, 0x7fff
                                        ; implicit-def: $vgpr5
; %bb.47:
	s_andn2_saveexec_b32 s3, s1
; %bb.48:
	v_mov_b32_e32 v6, 0
	v_or_b32_e32 v9, 0x10000, v5
	v_cmp_eq_u32_sdwa s1, v5, v6 src0_sel:WORD_0 src1_sel:DWORD
	v_cndmask_b32_e64 v6, v9, v5, s1
; %bb.49:
	s_or_b32 exec_lo, exec_lo, s3
	v_add_co_u32 v9, s1, v12, v3
	v_add_co_ci_u32_e64 v10, null, v13, v4, s1
	flat_store_short_d16_hi v[9:10], v6 offset:32
.LBB165_50:
	s_or_b32 exec_lo, exec_lo, s2
	v_add_co_u32 v1, s1, v1, 16
	v_add_co_ci_u32_e64 v2, null, 0, v2, s1
	v_cmp_gt_i64_e64 s1, s[30:31], v[1:2]
	s_and_b32 exec_lo, exec_lo, s1
	s_cbranch_execz .LBB165_27
; %bb.51:
	s_lshl_b64 s[2:3], s[14:15], 5
	v_add_co_u32 v0, s1, v0, s2
	v_add_co_ci_u32_e64 v1, null, s3, v11, s1
	s_lshl_b64 s[2:3], s[8:9], 5
	v_add_co_u32 v2, s1, v12, s2
	v_add_co_ci_u32_e64 v9, null, s3, v13, s1
	v_add_co_u32 v5, s1, v0, v3
	v_add_co_ci_u32_e64 v6, null, v1, v4, s1
	;; [unrolled: 2-line block ×3, first 2 shown]
	s_and_saveexec_b32 s1, vcc_lo
	s_cbranch_execz .LBB165_61
; %bb.52:
	flat_load_ushort v2, v[5:6]
	s_waitcnt vmcnt(0) lgkmcnt(0)
	v_lshlrev_b32_e32 v2, 16, v2
	v_mul_f32_e32 v2, s6, v2
	v_and_b32_e32 v3, 0x7f800000, v2
	v_cmp_ne_u32_e32 vcc_lo, 0x7f800000, v3
                                        ; implicit-def: $vgpr3
	s_and_saveexec_b32 s2, vcc_lo
	s_xor_b32 s2, exec_lo, s2
; %bb.53:
	v_bfe_u32 v3, v2, 16, 1
	v_add3_u32 v3, v2, v3, 0x7fff
                                        ; implicit-def: $vgpr2
; %bb.54:
	s_andn2_saveexec_b32 s2, s2
; %bb.55:
	v_mov_b32_e32 v3, 0
	v_or_b32_e32 v4, 0x10000, v2
	v_cmp_eq_u32_sdwa vcc_lo, v2, v3 src0_sel:WORD_0 src1_sel:DWORD
	v_cndmask_b32_e32 v3, v4, v2, vcc_lo
; %bb.56:
	s_or_b32 exec_lo, exec_lo, s2
	v_and_b32_e32 v2, 0xffff0000, v3
	v_fmac_f32_e32 v2, s4, v8
	v_and_b32_e32 v3, 0x7f800000, v2
	v_cmp_ne_u32_e32 vcc_lo, 0x7f800000, v3
                                        ; implicit-def: $vgpr3
	s_and_saveexec_b32 s2, vcc_lo
	s_xor_b32 s2, exec_lo, s2
; %bb.57:
	v_bfe_u32 v3, v2, 16, 1
	v_add3_u32 v3, v2, v3, 0x7fff
                                        ; implicit-def: $vgpr2
; %bb.58:
	s_andn2_saveexec_b32 s2, s2
; %bb.59:
	v_mov_b32_e32 v3, 0
	v_or_b32_e32 v4, 0x10000, v2
	v_cmp_eq_u32_sdwa vcc_lo, v2, v3 src0_sel:WORD_0 src1_sel:DWORD
	v_cndmask_b32_e32 v3, v4, v2, vcc_lo
; %bb.60:
	s_or_b32 exec_lo, exec_lo, s2
	flat_store_short_d16_hi v[0:1], v3
.LBB165_61:
	s_or_b32 exec_lo, exec_lo, s1
	s_and_b32 exec_lo, exec_lo, s0
	s_cbranch_execz .LBB165_27
; %bb.62:
	flat_load_ushort v2, v[5:6] offset:32
	s_waitcnt vmcnt(0) lgkmcnt(0)
	v_lshlrev_b32_e32 v2, 16, v2
	v_mul_f32_e32 v2, s6, v2
	v_and_b32_e32 v3, 0x7f800000, v2
	v_cmp_ne_u32_e32 vcc_lo, 0x7f800000, v3
                                        ; implicit-def: $vgpr3
	s_and_saveexec_b32 s0, vcc_lo
	s_xor_b32 s0, exec_lo, s0
; %bb.63:
	v_bfe_u32 v3, v2, 16, 1
	v_add3_u32 v3, v2, v3, 0x7fff
                                        ; implicit-def: $vgpr2
; %bb.64:
	s_andn2_saveexec_b32 s0, s0
; %bb.65:
	v_mov_b32_e32 v3, 0
	v_or_b32_e32 v4, 0x10000, v2
	v_cmp_eq_u32_sdwa vcc_lo, v2, v3 src0_sel:WORD_0 src1_sel:DWORD
	v_cndmask_b32_e32 v3, v4, v2, vcc_lo
; %bb.66:
	s_or_b32 exec_lo, exec_lo, s0
	v_and_b32_e32 v2, 0xffff0000, v3
	v_fmac_f32_e32 v2, s4, v7
	v_and_b32_e32 v3, 0x7f800000, v2
	v_cmp_ne_u32_e32 vcc_lo, 0x7f800000, v3
                                        ; implicit-def: $vgpr3
	s_and_saveexec_b32 s0, vcc_lo
	s_xor_b32 s0, exec_lo, s0
; %bb.67:
	v_bfe_u32 v3, v2, 16, 1
	v_add3_u32 v3, v2, v3, 0x7fff
                                        ; implicit-def: $vgpr2
; %bb.68:
	s_andn2_saveexec_b32 s0, s0
; %bb.69:
	v_mov_b32_e32 v3, 0
	v_or_b32_e32 v4, 0x10000, v2
	v_cmp_eq_u32_sdwa vcc_lo, v2, v3 src0_sel:WORD_0 src1_sel:DWORD
	v_cndmask_b32_e32 v3, v4, v2, vcc_lo
; %bb.70:
	s_or_b32 exec_lo, exec_lo, s0
	flat_store_short_d16_hi v[0:1], v3 offset:32
	s_endpgm
	.section	.rodata,"a",@progbits
	.p2align	6, 0x0
	.amdhsa_kernel _ZN12_GLOBAL__N_135rocblas_gemm_batched_general_kernelIfLi16ELi16ELi32ELi32ELi8ELi32ELi8ELi8ELi32ELc78ELc67EKPK16rocblas_bfloat16S4_KPS1_EEvlllT_PT11_llS9_llS7_PT12_llPT13_lli
		.amdhsa_group_segment_fixed_size 2048
		.amdhsa_private_segment_fixed_size 0
		.amdhsa_kernarg_size 140
		.amdhsa_user_sgpr_count 6
		.amdhsa_user_sgpr_private_segment_buffer 1
		.amdhsa_user_sgpr_dispatch_ptr 0
		.amdhsa_user_sgpr_queue_ptr 0
		.amdhsa_user_sgpr_kernarg_segment_ptr 1
		.amdhsa_user_sgpr_dispatch_id 0
		.amdhsa_user_sgpr_flat_scratch_init 0
		.amdhsa_user_sgpr_private_segment_size 0
		.amdhsa_wavefront_size32 1
		.amdhsa_uses_dynamic_stack 0
		.amdhsa_system_sgpr_private_segment_wavefront_offset 0
		.amdhsa_system_sgpr_workgroup_id_x 1
		.amdhsa_system_sgpr_workgroup_id_y 1
		.amdhsa_system_sgpr_workgroup_id_z 1
		.amdhsa_system_sgpr_workgroup_info 0
		.amdhsa_system_vgpr_workitem_id 1
		.amdhsa_next_free_vgpr 44
		.amdhsa_next_free_sgpr 46
		.amdhsa_reserve_vcc 1
		.amdhsa_reserve_flat_scratch 0
		.amdhsa_float_round_mode_32 0
		.amdhsa_float_round_mode_16_64 0
		.amdhsa_float_denorm_mode_32 3
		.amdhsa_float_denorm_mode_16_64 3
		.amdhsa_dx10_clamp 1
		.amdhsa_ieee_mode 1
		.amdhsa_fp16_overflow 0
		.amdhsa_workgroup_processor_mode 1
		.amdhsa_memory_ordered 1
		.amdhsa_forward_progress 1
		.amdhsa_shared_vgpr_count 0
		.amdhsa_exception_fp_ieee_invalid_op 0
		.amdhsa_exception_fp_denorm_src 0
		.amdhsa_exception_fp_ieee_div_zero 0
		.amdhsa_exception_fp_ieee_overflow 0
		.amdhsa_exception_fp_ieee_underflow 0
		.amdhsa_exception_fp_ieee_inexact 0
		.amdhsa_exception_int_div_zero 0
	.end_amdhsa_kernel
	.section	.text._ZN12_GLOBAL__N_135rocblas_gemm_batched_general_kernelIfLi16ELi16ELi32ELi32ELi8ELi32ELi8ELi8ELi32ELc78ELc67EKPK16rocblas_bfloat16S4_KPS1_EEvlllT_PT11_llS9_llS7_PT12_llPT13_lli,"axG",@progbits,_ZN12_GLOBAL__N_135rocblas_gemm_batched_general_kernelIfLi16ELi16ELi32ELi32ELi8ELi32ELi8ELi8ELi32ELc78ELc67EKPK16rocblas_bfloat16S4_KPS1_EEvlllT_PT11_llS9_llS7_PT12_llPT13_lli,comdat
.Lfunc_end165:
	.size	_ZN12_GLOBAL__N_135rocblas_gemm_batched_general_kernelIfLi16ELi16ELi32ELi32ELi8ELi32ELi8ELi8ELi32ELc78ELc67EKPK16rocblas_bfloat16S4_KPS1_EEvlllT_PT11_llS9_llS7_PT12_llPT13_lli, .Lfunc_end165-_ZN12_GLOBAL__N_135rocblas_gemm_batched_general_kernelIfLi16ELi16ELi32ELi32ELi8ELi32ELi8ELi8ELi32ELc78ELc67EKPK16rocblas_bfloat16S4_KPS1_EEvlllT_PT11_llS9_llS7_PT12_llPT13_lli
                                        ; -- End function
	.set _ZN12_GLOBAL__N_135rocblas_gemm_batched_general_kernelIfLi16ELi16ELi32ELi32ELi8ELi32ELi8ELi8ELi32ELc78ELc67EKPK16rocblas_bfloat16S4_KPS1_EEvlllT_PT11_llS9_llS7_PT12_llPT13_lli.num_vgpr, 44
	.set _ZN12_GLOBAL__N_135rocblas_gemm_batched_general_kernelIfLi16ELi16ELi32ELi32ELi8ELi32ELi8ELi8ELi32ELc78ELc67EKPK16rocblas_bfloat16S4_KPS1_EEvlllT_PT11_llS9_llS7_PT12_llPT13_lli.num_agpr, 0
	.set _ZN12_GLOBAL__N_135rocblas_gemm_batched_general_kernelIfLi16ELi16ELi32ELi32ELi8ELi32ELi8ELi8ELi32ELc78ELc67EKPK16rocblas_bfloat16S4_KPS1_EEvlllT_PT11_llS9_llS7_PT12_llPT13_lli.numbered_sgpr, 46
	.set _ZN12_GLOBAL__N_135rocblas_gemm_batched_general_kernelIfLi16ELi16ELi32ELi32ELi8ELi32ELi8ELi8ELi32ELc78ELc67EKPK16rocblas_bfloat16S4_KPS1_EEvlllT_PT11_llS9_llS7_PT12_llPT13_lli.num_named_barrier, 0
	.set _ZN12_GLOBAL__N_135rocblas_gemm_batched_general_kernelIfLi16ELi16ELi32ELi32ELi8ELi32ELi8ELi8ELi32ELc78ELc67EKPK16rocblas_bfloat16S4_KPS1_EEvlllT_PT11_llS9_llS7_PT12_llPT13_lli.private_seg_size, 0
	.set _ZN12_GLOBAL__N_135rocblas_gemm_batched_general_kernelIfLi16ELi16ELi32ELi32ELi8ELi32ELi8ELi8ELi32ELc78ELc67EKPK16rocblas_bfloat16S4_KPS1_EEvlllT_PT11_llS9_llS7_PT12_llPT13_lli.uses_vcc, 1
	.set _ZN12_GLOBAL__N_135rocblas_gemm_batched_general_kernelIfLi16ELi16ELi32ELi32ELi8ELi32ELi8ELi8ELi32ELc78ELc67EKPK16rocblas_bfloat16S4_KPS1_EEvlllT_PT11_llS9_llS7_PT12_llPT13_lli.uses_flat_scratch, 0
	.set _ZN12_GLOBAL__N_135rocblas_gemm_batched_general_kernelIfLi16ELi16ELi32ELi32ELi8ELi32ELi8ELi8ELi32ELc78ELc67EKPK16rocblas_bfloat16S4_KPS1_EEvlllT_PT11_llS9_llS7_PT12_llPT13_lli.has_dyn_sized_stack, 0
	.set _ZN12_GLOBAL__N_135rocblas_gemm_batched_general_kernelIfLi16ELi16ELi32ELi32ELi8ELi32ELi8ELi8ELi32ELc78ELc67EKPK16rocblas_bfloat16S4_KPS1_EEvlllT_PT11_llS9_llS7_PT12_llPT13_lli.has_recursion, 0
	.set _ZN12_GLOBAL__N_135rocblas_gemm_batched_general_kernelIfLi16ELi16ELi32ELi32ELi8ELi32ELi8ELi8ELi32ELc78ELc67EKPK16rocblas_bfloat16S4_KPS1_EEvlllT_PT11_llS9_llS7_PT12_llPT13_lli.has_indirect_call, 0
	.section	.AMDGPU.csdata,"",@progbits
; Kernel info:
; codeLenInByte = 2908
; TotalNumSgprs: 48
; NumVgprs: 44
; ScratchSize: 0
; MemoryBound: 0
; FloatMode: 240
; IeeeMode: 1
; LDSByteSize: 2048 bytes/workgroup (compile time only)
; SGPRBlocks: 0
; VGPRBlocks: 5
; NumSGPRsForWavesPerEU: 48
; NumVGPRsForWavesPerEU: 44
; Occupancy: 16
; WaveLimiterHint : 1
; COMPUTE_PGM_RSRC2:SCRATCH_EN: 0
; COMPUTE_PGM_RSRC2:USER_SGPR: 6
; COMPUTE_PGM_RSRC2:TRAP_HANDLER: 0
; COMPUTE_PGM_RSRC2:TGID_X_EN: 1
; COMPUTE_PGM_RSRC2:TGID_Y_EN: 1
; COMPUTE_PGM_RSRC2:TGID_Z_EN: 1
; COMPUTE_PGM_RSRC2:TIDIG_COMP_CNT: 1
	.section	.text._ZN12_GLOBAL__N_135rocblas_gemm_batched_general_kernelIfLi16ELi16ELi32ELi32ELi8ELi32ELi8ELi8ELi32ELc84ELc67EKPK16rocblas_bfloat16S4_KPS1_EEvlllT_PT11_llS9_llS7_PT12_llPT13_lli,"axG",@progbits,_ZN12_GLOBAL__N_135rocblas_gemm_batched_general_kernelIfLi16ELi16ELi32ELi32ELi8ELi32ELi8ELi8ELi32ELc84ELc67EKPK16rocblas_bfloat16S4_KPS1_EEvlllT_PT11_llS9_llS7_PT12_llPT13_lli,comdat
	.globl	_ZN12_GLOBAL__N_135rocblas_gemm_batched_general_kernelIfLi16ELi16ELi32ELi32ELi8ELi32ELi8ELi8ELi32ELc84ELc67EKPK16rocblas_bfloat16S4_KPS1_EEvlllT_PT11_llS9_llS7_PT12_llPT13_lli ; -- Begin function _ZN12_GLOBAL__N_135rocblas_gemm_batched_general_kernelIfLi16ELi16ELi32ELi32ELi8ELi32ELi8ELi8ELi32ELc84ELc67EKPK16rocblas_bfloat16S4_KPS1_EEvlllT_PT11_llS9_llS7_PT12_llPT13_lli
	.p2align	8
	.type	_ZN12_GLOBAL__N_135rocblas_gemm_batched_general_kernelIfLi16ELi16ELi32ELi32ELi8ELi32ELi8ELi8ELi32ELc84ELc67EKPK16rocblas_bfloat16S4_KPS1_EEvlllT_PT11_llS9_llS7_PT12_llPT13_lli,@function
_ZN12_GLOBAL__N_135rocblas_gemm_batched_general_kernelIfLi16ELi16ELi32ELi32ELi8ELi32ELi8ELi8ELi32ELc84ELc67EKPK16rocblas_bfloat16S4_KPS1_EEvlllT_PT11_llS9_llS7_PT12_llPT13_lli: ; @_ZN12_GLOBAL__N_135rocblas_gemm_batched_general_kernelIfLi16ELi16ELi32ELi32ELi8ELi32ELi8ELi8ELi32ELc84ELc67EKPK16rocblas_bfloat16S4_KPS1_EEvlllT_PT11_llS9_llS7_PT12_llPT13_lli
; %bb.0:
	s_clause 0x1
	s_load_dwordx8 s[12:19], s[4:5], 0x58
	s_load_dwordx2 s[34:35], s[4:5], 0x10
	s_mov_b32 s9, 0
	s_load_dwordx4 s[28:31], s[4:5], 0x0
	s_lshl_b64 s[42:43], s[8:9], 3
	s_load_dwordx4 s[8:11], s[4:5], 0x78
	s_mov_b32 s40, s7
	v_mov_b32_e32 v10, 0
	v_mov_b32_e32 v9, 0
	;; [unrolled: 1-line block ×4, first 2 shown]
	s_waitcnt lgkmcnt(0)
	s_add_u32 s0, s12, s42
	s_addc_u32 s1, s13, s43
	s_add_u32 s2, s18, s42
	s_addc_u32 s3, s19, s43
	s_load_dwordx2 s[12:13], s[0:1], 0x0
	s_load_dwordx2 s[2:3], s[2:3], 0x0
	v_cmp_lt_i64_e64 s0, s[34:35], 1
	s_ashr_i32 s7, s6, 31
	s_ashr_i32 s41, s40, 31
	s_lshl_b64 s[6:7], s[6:7], 5
	s_lshl_b64 s[18:19], s[40:41], 5
	s_and_b32 vcc_lo, exec_lo, s0
	s_cbranch_vccnz .LBB166_7
; %bb.1:
	s_clause 0x1
	s_load_dwordx4 s[36:39], s[4:5], 0x40
	s_load_dwordx8 s[20:27], s[4:5], 0x20
	v_lshl_add_u32 v2, v1, 4, v0
	v_and_b32_e32 v6, 7, v0
	v_mov_b32_e32 v3, s7
	v_mov_b32_e32 v7, 0
	v_lshlrev_b32_e32 v11, 2, v0
	v_and_b32_e32 v14, 31, v2
	v_lshrrev_b32_e32 v10, 3, v2
	v_lshrrev_b32_e32 v13, 5, v2
	v_lshlrev_b32_e32 v15, 2, v6
	v_lshl_add_u32 v12, v1, 5, 0x400
	v_or_b32_e32 v2, s6, v14
	v_add_co_u32 v4, s0, v10, s18
	v_add_co_ci_u32_e64 v5, null, 0, s19, s0
	v_add_co_u32 v17, s0, s6, v14
	v_add_co_ci_u32_e64 v18, null, s7, 0, s0
	s_waitcnt lgkmcnt(0)
	v_mad_u64_u32 v[8:9], null, s36, v6, 0
	v_cmp_gt_i64_e64 s0, s[28:29], v[2:3]
	v_lshlrev_b32_e32 v16, 2, v14
	v_cmp_gt_i64_e64 s1, s[30:31], v[4:5]
	v_mul_lo_u32 v5, s23, v17
	s_add_u32 s26, s26, s42
	s_addc_u32 s27, s27, s43
	v_mov_b32_e32 v2, v9
	v_lshl_or_b32 v14, v13, 7, v16
	v_mul_lo_u32 v16, s22, v18
	s_add_u32 s20, s20, s42
	s_addc_u32 s21, s21, s43
	v_mad_u64_u32 v[2:3], null, s37, v6, v[2:3]
	v_mad_u64_u32 v[3:4], null, s22, v17, 0
	s_load_dwordx2 s[22:23], s[26:27], 0x0
	s_load_dwordx2 s[20:21], s[20:21], 0x0
	s_lshl_b64 s[26:27], s[40:41], 6
	s_lshl_b64 s[38:39], s[38:39], 1
	v_mov_b32_e32 v9, v2
	s_add_u32 s26, s38, s26
	v_add3_u32 v4, v4, v16, v5
	s_addc_u32 s27, s39, s27
	s_lshl_b64 s[24:25], s[24:25], 1
	v_lshlrev_b64 v[8:9], 1, v[8:9]
	v_lshl_or_b32 v15, v10, 5, v15
	v_lshlrev_b64 v[2:3], 1, v[3:4]
	v_add_nc_u32_e32 v15, 0x400, v15
	v_add_co_u32 v4, vcc_lo, s26, v8
	v_lshlrev_b32_e32 v8, 1, v10
	v_add_co_ci_u32_e64 v5, null, s27, v9, vcc_lo
	v_add_co_u32 v2, vcc_lo, v2, s24
	v_lshlrev_b32_e32 v9, 1, v13
	v_add_co_ci_u32_e64 v3, null, s25, v3, vcc_lo
	v_add_co_u32 v4, vcc_lo, v4, v8
	v_add_co_ci_u32_e64 v5, null, 0, v5, vcc_lo
	v_add_co_u32 v8, vcc_lo, v2, v9
	v_add_co_ci_u32_e64 v9, null, 0, v3, vcc_lo
	s_waitcnt lgkmcnt(0)
	v_add_co_u32 v2, vcc_lo, s22, v4
	v_add_co_ci_u32_e64 v3, null, s23, v5, vcc_lo
	v_add_co_u32 v4, vcc_lo, s20, v8
	v_add_co_ci_u32_e64 v5, null, s21, v9, vcc_lo
	v_mov_b32_e32 v8, 0
	v_mov_b32_e32 v9, 0
	;; [unrolled: 1-line block ×3, first 2 shown]
	s_lshl_b64 s[20:21], s[36:37], 4
	s_mov_b64 s[22:23], 0
	s_branch .LBB166_3
.LBB166_2:                              ;   in Loop: Header=BB166_3 Depth=1
	s_or_b32 exec_lo, exec_lo, s24
	ds_write_b32 v15, v17
	s_waitcnt lgkmcnt(0)
	s_barrier
	buffer_gl0_inv
	ds_read_b128 v[16:19], v12
	ds_read2_b32 v[32:33], v11 offset1:16
	ds_read_b128 v[20:23], v12 offset:512
	ds_read2_b32 v[34:35], v11 offset0:32 offset1:48
	ds_read2_b32 v[36:37], v11 offset0:64 offset1:80
	;; [unrolled: 1-line block ×3, first 2 shown]
	ds_read_b128 v[24:27], v12 offset:16
	ds_read2_b32 v[40:41], v11 offset0:128 offset1:144
	ds_read_b128 v[28:31], v12 offset:528
	ds_read2_b32 v[42:43], v11 offset0:160 offset1:176
	s_add_u32 s22, s22, 8
	s_addc_u32 s23, s23, 0
	v_add_co_u32 v2, vcc_lo, v2, s20
	v_cmp_lt_i64_e64 s24, s[22:23], s[34:35]
	v_add_co_ci_u32_e64 v3, null, s21, v3, vcc_lo
	v_add_co_u32 v4, vcc_lo, v4, 16
	v_add_co_ci_u32_e64 v5, null, 0, v5, vcc_lo
	s_waitcnt lgkmcnt(8)
	v_fmac_f32_e32 v10, v32, v16
	v_fmac_f32_e32 v9, v33, v16
	s_waitcnt lgkmcnt(7)
	v_fmac_f32_e32 v8, v32, v20
	v_fmac_f32_e32 v7, v33, v20
	ds_read2_b32 v[32:33], v11 offset0:192 offset1:208
	s_waitcnt lgkmcnt(7)
	v_fmac_f32_e32 v10, v34, v17
	v_fmac_f32_e32 v9, v35, v17
	;; [unrolled: 1-line block ×4, first 2 shown]
	ds_read2_b32 v[16:17], v11 offset0:224 offset1:240
	s_waitcnt lgkmcnt(7)
	v_fmac_f32_e32 v10, v36, v18
	v_fmac_f32_e32 v9, v37, v18
	;; [unrolled: 1-line block ×4, first 2 shown]
	s_and_b32 vcc_lo, exec_lo, s24
	s_waitcnt lgkmcnt(6)
	v_fmac_f32_e32 v10, v38, v19
	v_fmac_f32_e32 v9, v39, v19
	;; [unrolled: 1-line block ×4, first 2 shown]
	s_waitcnt lgkmcnt(0)
	v_fmac_f32_e32 v10, v40, v24
	v_fmac_f32_e32 v9, v41, v24
	;; [unrolled: 1-line block ×4, first 2 shown]
	s_barrier
	v_fmac_f32_e32 v10, v42, v25
	v_fmac_f32_e32 v9, v43, v25
	;; [unrolled: 1-line block ×4, first 2 shown]
	buffer_gl0_inv
	v_fmac_f32_e32 v10, v32, v26
	v_fmac_f32_e32 v9, v33, v26
	;; [unrolled: 1-line block ×8, first 2 shown]
	s_cbranch_vccz .LBB166_7
.LBB166_3:                              ; =>This Inner Loop Header: Depth=1
	v_add_co_u32 v16, s24, v13, s22
	v_add_co_ci_u32_e64 v17, null, 0, s23, s24
	v_cmp_gt_i64_e32 vcc_lo, s[34:35], v[16:17]
	v_mov_b32_e32 v16, 0
	s_and_b32 s25, s0, vcc_lo
	s_and_saveexec_b32 s24, s25
	s_cbranch_execz .LBB166_5
; %bb.4:                                ;   in Loop: Header=BB166_3 Depth=1
	flat_load_ushort v16, v[4:5]
	s_waitcnt vmcnt(0) lgkmcnt(0)
	v_lshlrev_b32_e32 v16, 16, v16
.LBB166_5:                              ;   in Loop: Header=BB166_3 Depth=1
	s_or_b32 exec_lo, exec_lo, s24
	v_add_co_u32 v17, s24, v6, s22
	v_add_co_ci_u32_e64 v18, null, 0, s23, s24
	ds_write_b32 v14, v16
	v_cmp_gt_i64_e32 vcc_lo, s[34:35], v[17:18]
	v_mov_b32_e32 v17, 0
	s_and_b32 s25, vcc_lo, s1
	s_and_saveexec_b32 s24, s25
	s_cbranch_execz .LBB166_2
; %bb.6:                                ;   in Loop: Header=BB166_3 Depth=1
	flat_load_ushort v16, v[2:3]
	s_waitcnt vmcnt(0) lgkmcnt(0)
	v_lshlrev_b32_e32 v17, 16, v16
	s_branch .LBB166_2
.LBB166_7:
	s_clause 0x1
	s_load_dword s20, s[4:5], 0x50
	s_load_dword s4, s[4:5], 0x18
	v_add_co_u32 v1, s5, s18, v1
	v_add_co_ci_u32_e64 v2, null, s19, 0, s5
	s_lshl_b64 s[0:1], s[10:11], 1
	s_waitcnt lgkmcnt(0)
	s_add_u32 s5, s2, s0
	v_cmp_gt_i64_e64 s0, s[30:31], v[1:2]
	s_addc_u32 s3, s3, s1
	v_cmp_neq_f32_e64 s10, s20, 0
	s_and_b32 vcc_lo, exec_lo, s10
	s_cbranch_vccnz .LBB166_28
; %bb.8:
	s_and_saveexec_b32 s10, s0
	s_cbranch_execz .LBB166_26
; %bb.9:
	v_mul_lo_u32 v3, v2, s8
	v_mul_lo_u32 v4, v1, s9
	v_mad_u64_u32 v[5:6], null, v1, s8, 0
	v_add3_u32 v6, v6, v4, v3
	v_add_co_u32 v3, s1, s6, v0
	v_add_co_ci_u32_e64 v4, null, s7, 0, s1
	v_lshlrev_b64 v[5:6], 1, v[5:6]
	v_cmp_gt_i64_e32 vcc_lo, s[28:29], v[3:4]
	v_add_co_u32 v5, s1, s5, v5
	v_add_co_ci_u32_e64 v6, null, s3, v6, s1
	s_and_saveexec_b32 s2, vcc_lo
	s_cbranch_execz .LBB166_15
; %bb.10:
	v_mul_f32_e32 v12, s4, v10
	v_and_b32_e32 v11, 0x7f800000, v12
	v_cmp_ne_u32_e64 s1, 0x7f800000, v11
                                        ; implicit-def: $vgpr11
	s_and_saveexec_b32 s11, s1
	s_xor_b32 s1, exec_lo, s11
; %bb.11:
	v_bfe_u32 v11, v12, 16, 1
	v_add3_u32 v11, v12, v11, 0x7fff
                                        ; implicit-def: $vgpr12
; %bb.12:
	s_andn2_saveexec_b32 s11, s1
; %bb.13:
	v_mov_b32_e32 v11, 0
	v_or_b32_e32 v13, 0x10000, v12
	v_cmp_eq_u32_sdwa s1, v12, v11 src0_sel:WORD_0 src1_sel:DWORD
	v_cndmask_b32_e64 v11, v13, v12, s1
; %bb.14:
	s_or_b32 exec_lo, exec_lo, s11
	v_lshlrev_b64 v[12:13], 1, v[3:4]
	v_add_co_u32 v12, s1, v5, v12
	v_add_co_ci_u32_e64 v13, null, v6, v13, s1
	flat_store_short_d16_hi v[12:13], v11
.LBB166_15:
	s_or_b32 exec_lo, exec_lo, s2
	v_add_co_u32 v11, s1, v3, 16
	v_add_co_ci_u32_e64 v12, null, 0, v4, s1
	v_cmp_gt_i64_e64 s1, s[28:29], v[11:12]
	s_and_saveexec_b32 s11, s1
	s_cbranch_execz .LBB166_21
; %bb.16:
	v_mul_f32_e32 v12, s4, v9
	v_and_b32_e32 v11, 0x7f800000, v12
	v_cmp_ne_u32_e64 s2, 0x7f800000, v11
                                        ; implicit-def: $vgpr11
	s_and_saveexec_b32 s18, s2
	s_xor_b32 s2, exec_lo, s18
; %bb.17:
	v_bfe_u32 v11, v12, 16, 1
	v_add3_u32 v11, v12, v11, 0x7fff
                                        ; implicit-def: $vgpr12
; %bb.18:
	s_andn2_saveexec_b32 s18, s2
; %bb.19:
	v_mov_b32_e32 v11, 0
	v_or_b32_e32 v13, 0x10000, v12
	v_cmp_eq_u32_sdwa s2, v12, v11 src0_sel:WORD_0 src1_sel:DWORD
	v_cndmask_b32_e64 v11, v13, v12, s2
; %bb.20:
	s_or_b32 exec_lo, exec_lo, s18
	v_lshlrev_b64 v[12:13], 1, v[3:4]
	v_add_co_u32 v12, s2, v5, v12
	v_add_co_ci_u32_e64 v13, null, v6, v13, s2
	flat_store_short_d16_hi v[12:13], v11 offset:32
.LBB166_21:
	s_or_b32 exec_lo, exec_lo, s11
	v_add_co_u32 v11, s2, v1, 16
	v_add_co_ci_u32_e64 v12, null, 0, v2, s2
	v_cmp_gt_i64_e64 s2, s[30:31], v[11:12]
	s_and_b32 exec_lo, exec_lo, s2
	s_cbranch_execz .LBB166_26
; %bb.22:
	s_lshl_b64 s[18:19], s[8:9], 5
	v_lshlrev_b64 v[3:4], 1, v[3:4]
	v_add_co_u32 v5, s2, v5, s18
	v_add_co_ci_u32_e64 v6, null, s19, v6, s2
	v_add_co_u32 v3, s2, v5, v3
	v_add_co_ci_u32_e64 v4, null, v6, v4, s2
	s_and_saveexec_b32 s2, vcc_lo
	s_cbranch_execz .LBB166_24
; %bb.23:
	v_mul_f32_e32 v5, s4, v8
	v_mov_b32_e32 v11, 0
	v_bfe_u32 v6, v5, 16, 1
	v_or_b32_e32 v12, 0x10000, v5
	v_and_b32_e32 v13, 0x7f800000, v5
	v_cmp_eq_u32_sdwa vcc_lo, v5, v11 src0_sel:WORD_0 src1_sel:DWORD
	v_add3_u32 v6, v5, v6, 0x7fff
	v_cndmask_b32_e32 v5, v12, v5, vcc_lo
	v_cmp_eq_u32_e32 vcc_lo, 0x7f800000, v13
	v_cndmask_b32_e32 v5, v6, v5, vcc_lo
	flat_store_short_d16_hi v[3:4], v5
.LBB166_24:
	s_or_b32 exec_lo, exec_lo, s2
	s_and_b32 exec_lo, exec_lo, s1
	s_cbranch_execz .LBB166_26
; %bb.25:
	v_mul_f32_e32 v5, s4, v7
	v_mov_b32_e32 v11, 0
	v_bfe_u32 v6, v5, 16, 1
	v_or_b32_e32 v12, 0x10000, v5
	v_and_b32_e32 v13, 0x7f800000, v5
	v_cmp_eq_u32_sdwa vcc_lo, v5, v11 src0_sel:WORD_0 src1_sel:DWORD
	v_add3_u32 v6, v5, v6, 0x7fff
	v_cndmask_b32_e32 v5, v12, v5, vcc_lo
	v_cmp_eq_u32_e32 vcc_lo, 0x7f800000, v13
	v_cndmask_b32_e32 v5, v6, v5, vcc_lo
	flat_store_short_d16_hi v[3:4], v5 offset:32
.LBB166_26:
	s_or_b32 exec_lo, exec_lo, s10
	s_cbranch_execz .LBB166_29
.LBB166_27:
	s_endpgm
.LBB166_28:
.LBB166_29:
	s_and_saveexec_b32 s1, s0
	s_cbranch_execz .LBB166_27
; %bb.30:
	v_mul_lo_u32 v5, v2, s14
	v_mul_lo_u32 v6, v1, s15
	v_mad_u64_u32 v[3:4], null, v1, s14, 0
	v_mul_lo_u32 v13, v2, s8
	v_mul_lo_u32 v14, v1, s9
	v_mad_u64_u32 v[11:12], null, v1, s8, 0
	s_lshl_b64 s[0:1], s[16:17], 1
	v_add3_u32 v4, v4, v6, v5
	v_add_co_u32 v5, s2, s6, v0
	v_add_co_ci_u32_e64 v6, null, s7, 0, s2
	v_add3_u32 v12, v12, v14, v13
	v_lshlrev_b64 v[3:4], 1, v[3:4]
	s_add_u32 s0, s12, s0
	s_addc_u32 s1, s13, s1
	v_cmp_gt_i64_e32 vcc_lo, s[28:29], v[5:6]
	v_lshlrev_b64 v[12:13], 1, v[11:12]
	v_add_co_u32 v0, s0, s0, v3
	v_add_co_ci_u32_e64 v11, null, s1, v4, s0
	v_add_co_u32 v12, s0, s5, v12
	v_lshlrev_b64 v[3:4], 1, v[5:6]
	v_add_co_ci_u32_e64 v13, null, s3, v13, s0
	s_and_saveexec_b32 s1, vcc_lo
	s_cbranch_execz .LBB166_40
; %bb.31:
	v_add_co_u32 v14, s0, v0, v3
	v_add_co_ci_u32_e64 v15, null, v11, v4, s0
	flat_load_ushort v14, v[14:15]
	s_waitcnt vmcnt(0) lgkmcnt(0)
	v_lshlrev_b32_e32 v14, 16, v14
	v_mul_f32_e32 v14, s20, v14
	v_and_b32_e32 v15, 0x7f800000, v14
	v_cmp_ne_u32_e64 s0, 0x7f800000, v15
                                        ; implicit-def: $vgpr15
	s_and_saveexec_b32 s2, s0
	s_xor_b32 s0, exec_lo, s2
; %bb.32:
	v_bfe_u32 v15, v14, 16, 1
	v_add3_u32 v15, v14, v15, 0x7fff
                                        ; implicit-def: $vgpr14
; %bb.33:
	s_andn2_saveexec_b32 s2, s0
; %bb.34:
	v_mov_b32_e32 v15, 0
	v_or_b32_e32 v16, 0x10000, v14
	v_cmp_eq_u32_sdwa s0, v14, v15 src0_sel:WORD_0 src1_sel:DWORD
	v_cndmask_b32_e64 v15, v16, v14, s0
; %bb.35:
	s_or_b32 exec_lo, exec_lo, s2
	v_and_b32_e32 v14, 0xffff0000, v15
	v_fmac_f32_e32 v14, s4, v10
	v_and_b32_e32 v10, 0x7f800000, v14
	v_cmp_ne_u32_e64 s0, 0x7f800000, v10
                                        ; implicit-def: $vgpr10
	s_and_saveexec_b32 s2, s0
	s_xor_b32 s0, exec_lo, s2
; %bb.36:
	v_bfe_u32 v10, v14, 16, 1
	v_add3_u32 v10, v14, v10, 0x7fff
                                        ; implicit-def: $vgpr14
; %bb.37:
	s_andn2_saveexec_b32 s2, s0
; %bb.38:
	v_mov_b32_e32 v10, 0
	v_or_b32_e32 v15, 0x10000, v14
	v_cmp_eq_u32_sdwa s0, v14, v10 src0_sel:WORD_0 src1_sel:DWORD
	v_cndmask_b32_e64 v10, v15, v14, s0
; %bb.39:
	s_or_b32 exec_lo, exec_lo, s2
	v_add_co_u32 v14, s0, v12, v3
	v_add_co_ci_u32_e64 v15, null, v13, v4, s0
	flat_store_short_d16_hi v[14:15], v10
.LBB166_40:
	s_or_b32 exec_lo, exec_lo, s1
	v_add_co_u32 v5, s0, v5, 16
	v_add_co_ci_u32_e64 v6, null, 0, v6, s0
	v_cmp_gt_i64_e64 s0, s[28:29], v[5:6]
	s_and_saveexec_b32 s2, s0
	s_cbranch_execz .LBB166_50
; %bb.41:
	v_add_co_u32 v5, s1, v0, v3
	v_add_co_ci_u32_e64 v6, null, v11, v4, s1
	flat_load_ushort v5, v[5:6] offset:32
	s_waitcnt vmcnt(0) lgkmcnt(0)
	v_lshlrev_b32_e32 v5, 16, v5
	v_mul_f32_e32 v5, s20, v5
	v_and_b32_e32 v6, 0x7f800000, v5
	v_cmp_ne_u32_e64 s1, 0x7f800000, v6
                                        ; implicit-def: $vgpr6
	s_and_saveexec_b32 s3, s1
	s_xor_b32 s1, exec_lo, s3
; %bb.42:
	v_bfe_u32 v6, v5, 16, 1
	v_add3_u32 v6, v5, v6, 0x7fff
                                        ; implicit-def: $vgpr5
; %bb.43:
	s_andn2_saveexec_b32 s3, s1
; %bb.44:
	v_mov_b32_e32 v6, 0
	v_or_b32_e32 v10, 0x10000, v5
	v_cmp_eq_u32_sdwa s1, v5, v6 src0_sel:WORD_0 src1_sel:DWORD
	v_cndmask_b32_e64 v6, v10, v5, s1
; %bb.45:
	s_or_b32 exec_lo, exec_lo, s3
	v_and_b32_e32 v5, 0xffff0000, v6
	v_fmac_f32_e32 v5, s4, v9
	v_and_b32_e32 v6, 0x7f800000, v5
	v_cmp_ne_u32_e64 s1, 0x7f800000, v6
                                        ; implicit-def: $vgpr6
	s_and_saveexec_b32 s3, s1
	s_xor_b32 s1, exec_lo, s3
; %bb.46:
	v_bfe_u32 v6, v5, 16, 1
	v_add3_u32 v6, v5, v6, 0x7fff
                                        ; implicit-def: $vgpr5
; %bb.47:
	s_andn2_saveexec_b32 s3, s1
; %bb.48:
	v_mov_b32_e32 v6, 0
	v_or_b32_e32 v9, 0x10000, v5
	v_cmp_eq_u32_sdwa s1, v5, v6 src0_sel:WORD_0 src1_sel:DWORD
	v_cndmask_b32_e64 v6, v9, v5, s1
; %bb.49:
	s_or_b32 exec_lo, exec_lo, s3
	v_add_co_u32 v9, s1, v12, v3
	v_add_co_ci_u32_e64 v10, null, v13, v4, s1
	flat_store_short_d16_hi v[9:10], v6 offset:32
.LBB166_50:
	s_or_b32 exec_lo, exec_lo, s2
	v_add_co_u32 v1, s1, v1, 16
	v_add_co_ci_u32_e64 v2, null, 0, v2, s1
	v_cmp_gt_i64_e64 s1, s[30:31], v[1:2]
	s_and_b32 exec_lo, exec_lo, s1
	s_cbranch_execz .LBB166_27
; %bb.51:
	s_lshl_b64 s[2:3], s[14:15], 5
	v_add_co_u32 v0, s1, v0, s2
	v_add_co_ci_u32_e64 v1, null, s3, v11, s1
	s_lshl_b64 s[2:3], s[8:9], 5
	v_add_co_u32 v2, s1, v12, s2
	v_add_co_ci_u32_e64 v9, null, s3, v13, s1
	v_add_co_u32 v5, s1, v0, v3
	v_add_co_ci_u32_e64 v6, null, v1, v4, s1
	;; [unrolled: 2-line block ×3, first 2 shown]
	s_and_saveexec_b32 s1, vcc_lo
	s_cbranch_execz .LBB166_61
; %bb.52:
	flat_load_ushort v2, v[5:6]
	s_waitcnt vmcnt(0) lgkmcnt(0)
	v_lshlrev_b32_e32 v2, 16, v2
	v_mul_f32_e32 v2, s20, v2
	v_and_b32_e32 v3, 0x7f800000, v2
	v_cmp_ne_u32_e32 vcc_lo, 0x7f800000, v3
                                        ; implicit-def: $vgpr3
	s_and_saveexec_b32 s2, vcc_lo
	s_xor_b32 s2, exec_lo, s2
; %bb.53:
	v_bfe_u32 v3, v2, 16, 1
	v_add3_u32 v3, v2, v3, 0x7fff
                                        ; implicit-def: $vgpr2
; %bb.54:
	s_andn2_saveexec_b32 s2, s2
; %bb.55:
	v_mov_b32_e32 v3, 0
	v_or_b32_e32 v4, 0x10000, v2
	v_cmp_eq_u32_sdwa vcc_lo, v2, v3 src0_sel:WORD_0 src1_sel:DWORD
	v_cndmask_b32_e32 v3, v4, v2, vcc_lo
; %bb.56:
	s_or_b32 exec_lo, exec_lo, s2
	v_and_b32_e32 v2, 0xffff0000, v3
	v_fmac_f32_e32 v2, s4, v8
	v_and_b32_e32 v3, 0x7f800000, v2
	v_cmp_ne_u32_e32 vcc_lo, 0x7f800000, v3
                                        ; implicit-def: $vgpr3
	s_and_saveexec_b32 s2, vcc_lo
	s_xor_b32 s2, exec_lo, s2
; %bb.57:
	v_bfe_u32 v3, v2, 16, 1
	v_add3_u32 v3, v2, v3, 0x7fff
                                        ; implicit-def: $vgpr2
; %bb.58:
	s_andn2_saveexec_b32 s2, s2
; %bb.59:
	v_mov_b32_e32 v3, 0
	v_or_b32_e32 v4, 0x10000, v2
	v_cmp_eq_u32_sdwa vcc_lo, v2, v3 src0_sel:WORD_0 src1_sel:DWORD
	v_cndmask_b32_e32 v3, v4, v2, vcc_lo
; %bb.60:
	s_or_b32 exec_lo, exec_lo, s2
	flat_store_short_d16_hi v[0:1], v3
.LBB166_61:
	s_or_b32 exec_lo, exec_lo, s1
	s_and_b32 exec_lo, exec_lo, s0
	s_cbranch_execz .LBB166_27
; %bb.62:
	flat_load_ushort v2, v[5:6] offset:32
	s_waitcnt vmcnt(0) lgkmcnt(0)
	v_lshlrev_b32_e32 v2, 16, v2
	v_mul_f32_e32 v2, s20, v2
	v_and_b32_e32 v3, 0x7f800000, v2
	v_cmp_ne_u32_e32 vcc_lo, 0x7f800000, v3
                                        ; implicit-def: $vgpr3
	s_and_saveexec_b32 s0, vcc_lo
	s_xor_b32 s0, exec_lo, s0
; %bb.63:
	v_bfe_u32 v3, v2, 16, 1
	v_add3_u32 v3, v2, v3, 0x7fff
                                        ; implicit-def: $vgpr2
; %bb.64:
	s_andn2_saveexec_b32 s0, s0
; %bb.65:
	v_mov_b32_e32 v3, 0
	v_or_b32_e32 v4, 0x10000, v2
	v_cmp_eq_u32_sdwa vcc_lo, v2, v3 src0_sel:WORD_0 src1_sel:DWORD
	v_cndmask_b32_e32 v3, v4, v2, vcc_lo
; %bb.66:
	s_or_b32 exec_lo, exec_lo, s0
	v_and_b32_e32 v2, 0xffff0000, v3
	v_fmac_f32_e32 v2, s4, v7
	v_and_b32_e32 v3, 0x7f800000, v2
	v_cmp_ne_u32_e32 vcc_lo, 0x7f800000, v3
                                        ; implicit-def: $vgpr3
	s_and_saveexec_b32 s0, vcc_lo
	s_xor_b32 s0, exec_lo, s0
; %bb.67:
	v_bfe_u32 v3, v2, 16, 1
	v_add3_u32 v3, v2, v3, 0x7fff
                                        ; implicit-def: $vgpr2
; %bb.68:
	s_andn2_saveexec_b32 s0, s0
; %bb.69:
	v_mov_b32_e32 v3, 0
	v_or_b32_e32 v4, 0x10000, v2
	v_cmp_eq_u32_sdwa vcc_lo, v2, v3 src0_sel:WORD_0 src1_sel:DWORD
	v_cndmask_b32_e32 v3, v4, v2, vcc_lo
; %bb.70:
	s_or_b32 exec_lo, exec_lo, s0
	flat_store_short_d16_hi v[0:1], v3 offset:32
	s_endpgm
	.section	.rodata,"a",@progbits
	.p2align	6, 0x0
	.amdhsa_kernel _ZN12_GLOBAL__N_135rocblas_gemm_batched_general_kernelIfLi16ELi16ELi32ELi32ELi8ELi32ELi8ELi8ELi32ELc84ELc67EKPK16rocblas_bfloat16S4_KPS1_EEvlllT_PT11_llS9_llS7_PT12_llPT13_lli
		.amdhsa_group_segment_fixed_size 2048
		.amdhsa_private_segment_fixed_size 0
		.amdhsa_kernarg_size 140
		.amdhsa_user_sgpr_count 6
		.amdhsa_user_sgpr_private_segment_buffer 1
		.amdhsa_user_sgpr_dispatch_ptr 0
		.amdhsa_user_sgpr_queue_ptr 0
		.amdhsa_user_sgpr_kernarg_segment_ptr 1
		.amdhsa_user_sgpr_dispatch_id 0
		.amdhsa_user_sgpr_flat_scratch_init 0
		.amdhsa_user_sgpr_private_segment_size 0
		.amdhsa_wavefront_size32 1
		.amdhsa_uses_dynamic_stack 0
		.amdhsa_system_sgpr_private_segment_wavefront_offset 0
		.amdhsa_system_sgpr_workgroup_id_x 1
		.amdhsa_system_sgpr_workgroup_id_y 1
		.amdhsa_system_sgpr_workgroup_id_z 1
		.amdhsa_system_sgpr_workgroup_info 0
		.amdhsa_system_vgpr_workitem_id 1
		.amdhsa_next_free_vgpr 44
		.amdhsa_next_free_sgpr 44
		.amdhsa_reserve_vcc 1
		.amdhsa_reserve_flat_scratch 0
		.amdhsa_float_round_mode_32 0
		.amdhsa_float_round_mode_16_64 0
		.amdhsa_float_denorm_mode_32 3
		.amdhsa_float_denorm_mode_16_64 3
		.amdhsa_dx10_clamp 1
		.amdhsa_ieee_mode 1
		.amdhsa_fp16_overflow 0
		.amdhsa_workgroup_processor_mode 1
		.amdhsa_memory_ordered 1
		.amdhsa_forward_progress 1
		.amdhsa_shared_vgpr_count 0
		.amdhsa_exception_fp_ieee_invalid_op 0
		.amdhsa_exception_fp_denorm_src 0
		.amdhsa_exception_fp_ieee_div_zero 0
		.amdhsa_exception_fp_ieee_overflow 0
		.amdhsa_exception_fp_ieee_underflow 0
		.amdhsa_exception_fp_ieee_inexact 0
		.amdhsa_exception_int_div_zero 0
	.end_amdhsa_kernel
	.section	.text._ZN12_GLOBAL__N_135rocblas_gemm_batched_general_kernelIfLi16ELi16ELi32ELi32ELi8ELi32ELi8ELi8ELi32ELc84ELc67EKPK16rocblas_bfloat16S4_KPS1_EEvlllT_PT11_llS9_llS7_PT12_llPT13_lli,"axG",@progbits,_ZN12_GLOBAL__N_135rocblas_gemm_batched_general_kernelIfLi16ELi16ELi32ELi32ELi8ELi32ELi8ELi8ELi32ELc84ELc67EKPK16rocblas_bfloat16S4_KPS1_EEvlllT_PT11_llS9_llS7_PT12_llPT13_lli,comdat
.Lfunc_end166:
	.size	_ZN12_GLOBAL__N_135rocblas_gemm_batched_general_kernelIfLi16ELi16ELi32ELi32ELi8ELi32ELi8ELi8ELi32ELc84ELc67EKPK16rocblas_bfloat16S4_KPS1_EEvlllT_PT11_llS9_llS7_PT12_llPT13_lli, .Lfunc_end166-_ZN12_GLOBAL__N_135rocblas_gemm_batched_general_kernelIfLi16ELi16ELi32ELi32ELi8ELi32ELi8ELi8ELi32ELc84ELc67EKPK16rocblas_bfloat16S4_KPS1_EEvlllT_PT11_llS9_llS7_PT12_llPT13_lli
                                        ; -- End function
	.set _ZN12_GLOBAL__N_135rocblas_gemm_batched_general_kernelIfLi16ELi16ELi32ELi32ELi8ELi32ELi8ELi8ELi32ELc84ELc67EKPK16rocblas_bfloat16S4_KPS1_EEvlllT_PT11_llS9_llS7_PT12_llPT13_lli.num_vgpr, 44
	.set _ZN12_GLOBAL__N_135rocblas_gemm_batched_general_kernelIfLi16ELi16ELi32ELi32ELi8ELi32ELi8ELi8ELi32ELc84ELc67EKPK16rocblas_bfloat16S4_KPS1_EEvlllT_PT11_llS9_llS7_PT12_llPT13_lli.num_agpr, 0
	.set _ZN12_GLOBAL__N_135rocblas_gemm_batched_general_kernelIfLi16ELi16ELi32ELi32ELi8ELi32ELi8ELi8ELi32ELc84ELc67EKPK16rocblas_bfloat16S4_KPS1_EEvlllT_PT11_llS9_llS7_PT12_llPT13_lli.numbered_sgpr, 44
	.set _ZN12_GLOBAL__N_135rocblas_gemm_batched_general_kernelIfLi16ELi16ELi32ELi32ELi8ELi32ELi8ELi8ELi32ELc84ELc67EKPK16rocblas_bfloat16S4_KPS1_EEvlllT_PT11_llS9_llS7_PT12_llPT13_lli.num_named_barrier, 0
	.set _ZN12_GLOBAL__N_135rocblas_gemm_batched_general_kernelIfLi16ELi16ELi32ELi32ELi8ELi32ELi8ELi8ELi32ELc84ELc67EKPK16rocblas_bfloat16S4_KPS1_EEvlllT_PT11_llS9_llS7_PT12_llPT13_lli.private_seg_size, 0
	.set _ZN12_GLOBAL__N_135rocblas_gemm_batched_general_kernelIfLi16ELi16ELi32ELi32ELi8ELi32ELi8ELi8ELi32ELc84ELc67EKPK16rocblas_bfloat16S4_KPS1_EEvlllT_PT11_llS9_llS7_PT12_llPT13_lli.uses_vcc, 1
	.set _ZN12_GLOBAL__N_135rocblas_gemm_batched_general_kernelIfLi16ELi16ELi32ELi32ELi8ELi32ELi8ELi8ELi32ELc84ELc67EKPK16rocblas_bfloat16S4_KPS1_EEvlllT_PT11_llS9_llS7_PT12_llPT13_lli.uses_flat_scratch, 0
	.set _ZN12_GLOBAL__N_135rocblas_gemm_batched_general_kernelIfLi16ELi16ELi32ELi32ELi8ELi32ELi8ELi8ELi32ELc84ELc67EKPK16rocblas_bfloat16S4_KPS1_EEvlllT_PT11_llS9_llS7_PT12_llPT13_lli.has_dyn_sized_stack, 0
	.set _ZN12_GLOBAL__N_135rocblas_gemm_batched_general_kernelIfLi16ELi16ELi32ELi32ELi8ELi32ELi8ELi8ELi32ELc84ELc67EKPK16rocblas_bfloat16S4_KPS1_EEvlllT_PT11_llS9_llS7_PT12_llPT13_lli.has_recursion, 0
	.set _ZN12_GLOBAL__N_135rocblas_gemm_batched_general_kernelIfLi16ELi16ELi32ELi32ELi8ELi32ELi8ELi8ELi32ELc84ELc67EKPK16rocblas_bfloat16S4_KPS1_EEvlllT_PT11_llS9_llS7_PT12_llPT13_lli.has_indirect_call, 0
	.section	.AMDGPU.csdata,"",@progbits
; Kernel info:
; codeLenInByte = 2916
; TotalNumSgprs: 46
; NumVgprs: 44
; ScratchSize: 0
; MemoryBound: 0
; FloatMode: 240
; IeeeMode: 1
; LDSByteSize: 2048 bytes/workgroup (compile time only)
; SGPRBlocks: 0
; VGPRBlocks: 5
; NumSGPRsForWavesPerEU: 46
; NumVGPRsForWavesPerEU: 44
; Occupancy: 16
; WaveLimiterHint : 1
; COMPUTE_PGM_RSRC2:SCRATCH_EN: 0
; COMPUTE_PGM_RSRC2:USER_SGPR: 6
; COMPUTE_PGM_RSRC2:TRAP_HANDLER: 0
; COMPUTE_PGM_RSRC2:TGID_X_EN: 1
; COMPUTE_PGM_RSRC2:TGID_Y_EN: 1
; COMPUTE_PGM_RSRC2:TGID_Z_EN: 1
; COMPUTE_PGM_RSRC2:TIDIG_COMP_CNT: 1
	.section	.text._ZN12_GLOBAL__N_127rocblas_gemm_batched_kernelIfLi16ELi16ELi64ELi64ELi4ELi64ELi4ELi4ELi64ELc78ELc78EKPK16rocblas_bfloat16KPKfKPfEEvlllT_PT11_llSC_llSA_PT12_llPT13_lli,"axG",@progbits,_ZN12_GLOBAL__N_127rocblas_gemm_batched_kernelIfLi16ELi16ELi64ELi64ELi4ELi64ELi4ELi4ELi64ELc78ELc78EKPK16rocblas_bfloat16KPKfKPfEEvlllT_PT11_llSC_llSA_PT12_llPT13_lli,comdat
	.globl	_ZN12_GLOBAL__N_127rocblas_gemm_batched_kernelIfLi16ELi16ELi64ELi64ELi4ELi64ELi4ELi4ELi64ELc78ELc78EKPK16rocblas_bfloat16KPKfKPfEEvlllT_PT11_llSC_llSA_PT12_llPT13_lli ; -- Begin function _ZN12_GLOBAL__N_127rocblas_gemm_batched_kernelIfLi16ELi16ELi64ELi64ELi4ELi64ELi4ELi4ELi64ELc78ELc78EKPK16rocblas_bfloat16KPKfKPfEEvlllT_PT11_llSC_llSA_PT12_llPT13_lli
	.p2align	8
	.type	_ZN12_GLOBAL__N_127rocblas_gemm_batched_kernelIfLi16ELi16ELi64ELi64ELi4ELi64ELi4ELi4ELi64ELc78ELc78EKPK16rocblas_bfloat16KPKfKPfEEvlllT_PT11_llSC_llSA_PT12_llPT13_lli,@function
_ZN12_GLOBAL__N_127rocblas_gemm_batched_kernelIfLi16ELi16ELi64ELi64ELi4ELi64ELi4ELi4ELi64ELc78ELc78EKPK16rocblas_bfloat16KPKfKPfEEvlllT_PT11_llSC_llSA_PT12_llPT13_lli: ; @_ZN12_GLOBAL__N_127rocblas_gemm_batched_kernelIfLi16ELi16ELi64ELi64ELi4ELi64ELi4ELi4ELi64ELc78ELc78EKPK16rocblas_bfloat16KPKfKPfEEvlllT_PT11_llSC_llSA_PT12_llPT13_lli
; %bb.0:
	s_clause 0x1
	s_load_dwordx8 s[12:19], s[4:5], 0x58
	s_load_dwordx2 s[28:29], s[4:5], 0x10
	s_mov_b32 s9, 0
	s_load_dwordx4 s[0:3], s[4:5], 0x78
	s_lshl_b64 s[34:35], s[8:9], 3
	s_mov_b32 s10, s7
	v_mov_b32_e32 v18, 0
	v_mov_b32_e32 v21, 0
	;; [unrolled: 1-line block ×14, first 2 shown]
	s_waitcnt lgkmcnt(0)
	s_add_u32 s8, s12, s34
	s_addc_u32 s9, s13, s35
	s_add_u32 s18, s18, s34
	s_addc_u32 s19, s19, s35
	s_load_dwordx2 s[12:13], s[8:9], 0x0
	s_load_dwordx2 s[18:19], s[18:19], 0x0
	v_cmp_lt_i64_e64 s20, s[28:29], 1
	v_mov_b32_e32 v7, 0
	v_mov_b32_e32 v6, 0
	s_ashr_i32 s7, s6, 31
	s_ashr_i32 s11, s10, 31
	s_lshl_b64 s[6:7], s[6:7], 6
	s_and_b32 vcc_lo, exec_lo, s20
	s_lshl_b64 s[30:31], s[10:11], 6
	s_cbranch_vccnz .LBB167_3
; %bb.1:
	v_lshlrev_b32_e32 v2, 4, v1
	s_clause 0x1
	s_load_dwordx4 s[8:11], s[4:5], 0x40
	s_load_dwordx8 s[20:27], s[4:5], 0x20
	v_and_b32_e32 v9, 3, v0
	v_mov_b32_e32 v6, 0
	v_add_nc_u32_e32 v3, v2, v0
	v_add_nc_u32_e32 v23, 0x400, v2
	v_lshlrev_b32_e32 v22, 2, v0
	v_lshlrev_b32_e32 v5, 2, v9
	;; [unrolled: 1-line block ×3, first 2 shown]
	v_lshrrev_b32_e32 v4, 2, v3
	v_and_b32_e32 v10, 63, v3
	v_lshrrev_b32_e32 v11, 6, v3
	v_mov_b32_e32 v14, 0
	v_mov_b32_e32 v15, 0
	v_add_co_u32 v7, s33, v4, s30
	v_add_co_ci_u32_e64 v8, null, 0, s31, s33
	v_lshlrev_b32_e32 v12, 2, v10
	v_mov_b32_e32 v16, 0
	s_waitcnt lgkmcnt(0)
	v_mul_lo_u32 v13, s9, v7
	v_mul_lo_u32 v8, s8, v8
	v_mad_u64_u32 v[2:3], null, s8, v7, 0
	v_lshl_or_b32 v7, v4, 4, v5
	s_add_u32 s8, s20, s34
	v_mad_u64_u32 v[4:5], null, s22, v11, s[6:7]
	s_addc_u32 s9, s21, s35
	s_add_u32 s20, s26, s34
	v_add3_u32 v3, v3, v8, v13
	s_addc_u32 s21, s27, s35
	s_load_dwordx2 s[8:9], s[8:9], 0x0
	s_load_dwordx2 s[20:21], s[20:21], 0x0
	v_add_nc_u32_e32 v25, 0x400, v7
	v_lshlrev_b64 v[2:3], 1, v[2:3]
	v_mad_u64_u32 v[7:8], null, s23, v11, v[5:6]
	s_lshl_b64 s[10:11], s[10:11], 1
	v_lshl_or_b32 v24, v11, 8, v12
	v_mov_b32_e32 v11, 0
	v_add_co_u32 v5, vcc_lo, v2, s10
	v_add_co_ci_u32_e64 v8, null, s11, v3, vcc_lo
	v_add_co_u32 v2, vcc_lo, v4, v10
	v_add_co_ci_u32_e64 v3, null, 0, v7, vcc_lo
	;; [unrolled: 2-line block ×3, first 2 shown]
	v_lshlrev_b64 v[4:5], 1, v[2:3]
	s_lshl_b64 s[10:11], s[24:25], 1
	s_waitcnt lgkmcnt(0)
	v_add_co_u32 v2, vcc_lo, s20, v7
	s_add_u32 s8, s8, s10
	v_add_co_ci_u32_e64 v3, null, s21, v8, vcc_lo
	s_addc_u32 s9, s9, s11
	v_add_co_u32 v4, vcc_lo, s8, v4
	v_add_co_ci_u32_e64 v5, null, s9, v5, vcc_lo
	v_mov_b32_e32 v7, 0
	v_mov_b32_e32 v8, 0
	;; [unrolled: 1-line block ×11, first 2 shown]
	s_lshl_b64 s[8:9], s[22:23], 3
	s_mov_b64 s[10:11], 0
.LBB167_2:                              ; =>This Inner Loop Header: Depth=1
	flat_load_ushort v26, v[4:5]
	flat_load_ushort v27, v[2:3]
	s_add_u32 s10, s10, 4
	s_addc_u32 s11, s11, 0
	v_add_co_u32 v2, vcc_lo, v2, 8
	v_cmp_lt_i64_e64 s20, s[10:11], s[28:29]
	v_add_co_ci_u32_e64 v3, null, 0, v3, vcc_lo
	v_add_co_u32 v4, vcc_lo, v4, s8
	v_add_co_ci_u32_e64 v5, null, s9, v5, vcc_lo
	s_and_b32 vcc_lo, exec_lo, s20
	s_waitcnt vmcnt(1) lgkmcnt(1)
	v_lshlrev_b32_e32 v26, 16, v26
	s_waitcnt vmcnt(0) lgkmcnt(0)
	v_lshlrev_b32_e32 v27, 16, v27
	ds_write_b32 v24, v26
	ds_write_b32 v25, v27
	s_waitcnt lgkmcnt(0)
	s_barrier
	buffer_gl0_inv
	ds_read_b128 v[26:29], v23
	ds_read2_b32 v[42:43], v22 offset1:16
	ds_read2_b32 v[44:45], v22 offset0:32 offset1:48
	ds_read_b128 v[30:33], v23 offset:256
	ds_read_b128 v[34:37], v23 offset:512
	;; [unrolled: 1-line block ×3, first 2 shown]
	ds_read2_b32 v[46:47], v22 offset0:64 offset1:80
	ds_read2_b32 v[48:49], v22 offset0:96 offset1:112
	ds_read2_b32 v[50:51], v22 offset0:128 offset1:144
	ds_read2_b32 v[52:53], v22 offset0:160 offset1:176
	ds_read2_b32 v[54:55], v22 offset0:192 offset1:208
	ds_read2_b32 v[56:57], v22 offset0:224 offset1:240
	s_waitcnt lgkmcnt(0)
	s_barrier
	buffer_gl0_inv
	v_fmac_f32_e32 v18, v42, v26
	v_fmac_f32_e32 v21, v43, v26
	;; [unrolled: 1-line block ×64, first 2 shown]
	s_cbranch_vccnz .LBB167_2
.LBB167_3:
	s_load_dword s8, s[4:5], 0x50
	s_lshl_b64 s[10:11], s[2:3], 2
	s_load_dword s2, s[4:5], 0x18
	v_add_co_u32 v2, s4, s30, v1
	v_add_co_ci_u32_e64 v5, null, s31, 0, s4
	v_add_co_u32 v0, s4, s6, v0
	v_add_co_ci_u32_e64 v1, null, s7, 0, s4
	v_mul_lo_u32 v3, v5, s0
	v_mul_lo_u32 v4, v2, s1
	s_waitcnt lgkmcnt(0)
	s_add_u32 s3, s18, s10
	v_lshlrev_b64 v[0:1], 2, v[0:1]
	s_addc_u32 s4, s19, s11
	v_cmp_neq_f32_e64 s5, s8, 0
	s_and_b32 vcc_lo, exec_lo, s5
	s_mov_b32 s5, 0
	s_cbranch_vccnz .LBB167_7
; %bb.4:
	v_mad_u64_u32 v[22:23], null, v2, s0, 0
	s_lshl_b64 s[6:7], s[0:1], 6
	v_mul_f32_e32 v26, s2, v18
	v_mul_f32_e32 v27, s2, v21
	;; [unrolled: 1-line block ×5, first 2 shown]
	v_add3_u32 v23, v23, v4, v3
	v_mul_f32_e32 v31, s2, v16
	v_mul_f32_e32 v32, s2, v15
	;; [unrolled: 1-line block ×3, first 2 shown]
	v_lshlrev_b64 v[22:23], 2, v[22:23]
	v_add_co_u32 v22, vcc_lo, s3, v22
	v_add_co_ci_u32_e64 v23, null, s4, v23, vcc_lo
	v_add_co_u32 v34, vcc_lo, v22, s6
	v_add_co_ci_u32_e64 v35, null, s7, v23, vcc_lo
	;; [unrolled: 2-line block ×4, first 2 shown]
	flat_store_dword v[22:23], v26
	flat_store_dword v[22:23], v27 offset:64
	flat_store_dword v[22:23], v28 offset:128
	;; [unrolled: 1-line block ×3, first 2 shown]
	flat_store_dword v[24:25], v30
	flat_store_dword v[24:25], v31 offset:64
	v_add_co_u32 v26, vcc_lo, v34, s6
	v_add_co_ci_u32_e64 v27, null, s7, v35, vcc_lo
	v_mul_f32_e32 v28, s2, v13
	v_add_co_u32 v22, vcc_lo, v26, v0
	v_add_co_ci_u32_e64 v23, null, v27, v1, vcc_lo
	v_mul_f32_e32 v29, s2, v12
	v_mul_f32_e32 v30, s2, v11
	flat_store_dword v[24:25], v32 offset:128
	flat_store_dword v[24:25], v33 offset:192
	flat_store_dword v[22:23], v28
	flat_store_dword v[22:23], v29 offset:64
	flat_store_dword v[22:23], v30 offset:128
	v_add_co_u32 v24, vcc_lo, v26, s6
	v_add_co_ci_u32_e64 v25, null, s7, v27, vcc_lo
	v_mul_f32_e32 v28, s2, v10
	v_add_co_u32 v24, vcc_lo, v24, v0
	v_mul_f32_e32 v26, s2, v9
	v_add_co_ci_u32_e64 v25, null, v25, v1, vcc_lo
	v_mul_f32_e32 v27, s2, v8
	v_mul_f32_e32 v29, s2, v7
	;; [unrolled: 1-line block ×3, first 2 shown]
	flat_store_dword v[22:23], v28 offset:192
	flat_store_dword v[24:25], v26
	flat_store_dword v[24:25], v27 offset:64
	flat_store_dword v[24:25], v29 offset:128
	;; [unrolled: 1-line block ×3, first 2 shown]
	s_andn2_b32 vcc_lo, exec_lo, s5
	s_cbranch_vccnz .LBB167_6
.LBB167_5:
	v_mul_lo_u32 v5, v5, s14
	v_mul_lo_u32 v24, v2, s15
	v_mad_u64_u32 v[22:23], null, v2, s14, 0
	s_lshl_b64 s[6:7], s[16:17], 2
	s_add_u32 s5, s12, s6
	s_addc_u32 s6, s13, s7
	v_add3_u32 v23, v23, v24, v5
	v_mad_u64_u32 v[24:25], null, v2, s0, 0
	s_lshl_b64 s[0:1], s[0:1], 6
	v_lshlrev_b64 v[22:23], 2, v[22:23]
	v_add3_u32 v25, v25, v4, v3
	v_add_co_u32 v5, vcc_lo, s5, v22
	v_add_co_ci_u32_e64 v26, null, s6, v23, vcc_lo
	v_lshlrev_b64 v[2:3], 2, v[24:25]
	v_add_co_u32 v22, vcc_lo, v5, v0
	v_add_co_ci_u32_e64 v23, null, v26, v1, vcc_lo
	v_add_co_u32 v24, vcc_lo, s3, v2
	flat_load_dword v27, v[22:23]
	v_add_co_ci_u32_e64 v25, null, s4, v3, vcc_lo
	v_add_co_u32 v2, vcc_lo, v24, v0
	s_lshl_b64 s[4:5], s[14:15], 6
	v_add_co_ci_u32_e64 v3, null, v25, v1, vcc_lo
	s_waitcnt vmcnt(0) lgkmcnt(0)
	v_mul_f32_e32 v4, s8, v27
	v_fmac_f32_e32 v4, s2, v18
	flat_store_dword v[2:3], v4
	flat_load_dword v4, v[22:23] offset:64
	s_waitcnt vmcnt(0) lgkmcnt(0)
	v_mul_f32_e32 v4, s8, v4
	v_fmac_f32_e32 v4, s2, v21
	flat_store_dword v[2:3], v4 offset:64
	flat_load_dword v4, v[22:23] offset:128
	s_waitcnt vmcnt(0) lgkmcnt(0)
	v_mul_f32_e32 v4, s8, v4
	v_fmac_f32_e32 v4, s2, v20
	v_add_co_u32 v20, vcc_lo, v5, s4
	v_add_co_ci_u32_e64 v21, null, s5, v26, vcc_lo
	flat_store_dword v[2:3], v4 offset:128
	flat_load_dword v4, v[22:23] offset:192
	s_waitcnt vmcnt(0) lgkmcnt(0)
	v_mul_f32_e32 v18, s8, v4
	v_add_co_u32 v4, vcc_lo, v20, v0
	v_add_co_ci_u32_e64 v5, null, v21, v1, vcc_lo
	v_fmac_f32_e32 v18, s2, v19
	flat_store_dword v[2:3], v18 offset:192
	flat_load_dword v2, v[4:5]
	v_add_co_u32 v18, vcc_lo, v24, s0
	v_add_co_ci_u32_e64 v19, null, s1, v25, vcc_lo
	s_waitcnt vmcnt(0) lgkmcnt(0)
	v_mul_f32_e32 v22, s8, v2
	v_add_co_u32 v2, vcc_lo, v18, v0
	v_add_co_ci_u32_e64 v3, null, v19, v1, vcc_lo
	v_fmac_f32_e32 v22, s2, v17
	flat_store_dword v[2:3], v22
	flat_load_dword v17, v[4:5] offset:64
	s_waitcnt vmcnt(0) lgkmcnt(0)
	v_mul_f32_e32 v17, s8, v17
	v_fmac_f32_e32 v17, s2, v16
	flat_store_dword v[2:3], v17 offset:64
	flat_load_dword v16, v[4:5] offset:128
	s_waitcnt vmcnt(0) lgkmcnt(0)
	v_mul_f32_e32 v16, s8, v16
	v_fmac_f32_e32 v16, s2, v15
	flat_store_dword v[2:3], v16 offset:128
	flat_load_dword v4, v[4:5] offset:192
	v_add_co_u32 v16, vcc_lo, v20, s4
	v_add_co_ci_u32_e64 v17, null, s5, v21, vcc_lo
	s_waitcnt vmcnt(0) lgkmcnt(0)
	v_mul_f32_e32 v15, s8, v4
	v_add_co_u32 v4, vcc_lo, v16, v0
	v_add_co_ci_u32_e64 v5, null, v17, v1, vcc_lo
	v_fmac_f32_e32 v15, s2, v14
	v_add_co_u32 v14, vcc_lo, v18, s0
	flat_store_dword v[2:3], v15 offset:192
	flat_load_dword v2, v[4:5]
	v_add_co_ci_u32_e64 v15, null, s1, v19, vcc_lo
	s_waitcnt vmcnt(0) lgkmcnt(0)
	v_mul_f32_e32 v18, s8, v2
	v_add_co_u32 v2, vcc_lo, v14, v0
	v_add_co_ci_u32_e64 v3, null, v15, v1, vcc_lo
	v_fmac_f32_e32 v18, s2, v13
	flat_store_dword v[2:3], v18
	flat_load_dword v13, v[4:5] offset:64
	s_waitcnt vmcnt(0) lgkmcnt(0)
	v_mul_f32_e32 v13, s8, v13
	v_fmac_f32_e32 v13, s2, v12
	flat_store_dword v[2:3], v13 offset:64
	flat_load_dword v12, v[4:5] offset:128
	s_waitcnt vmcnt(0) lgkmcnt(0)
	v_mul_f32_e32 v12, s8, v12
	v_fmac_f32_e32 v12, s2, v11
	flat_store_dword v[2:3], v12 offset:128
	flat_load_dword v4, v[4:5] offset:192
	s_waitcnt vmcnt(0) lgkmcnt(0)
	v_mul_f32_e32 v11, s8, v4
	v_add_co_u32 v4, vcc_lo, v16, s4
	v_add_co_ci_u32_e64 v5, null, s5, v17, vcc_lo
	v_fmac_f32_e32 v11, s2, v10
	v_add_co_u32 v4, vcc_lo, v4, v0
	v_add_co_ci_u32_e64 v5, null, v5, v1, vcc_lo
	flat_store_dword v[2:3], v11 offset:192
	v_add_co_u32 v3, vcc_lo, v14, s0
	flat_load_dword v2, v[4:5]
	v_add_co_ci_u32_e64 v10, null, s1, v15, vcc_lo
	v_add_co_u32 v0, vcc_lo, v3, v0
	v_add_co_ci_u32_e64 v1, null, v10, v1, vcc_lo
	s_waitcnt vmcnt(0) lgkmcnt(0)
	v_mul_f32_e32 v2, s8, v2
	v_fmac_f32_e32 v2, s2, v9
	flat_store_dword v[0:1], v2
	flat_load_dword v2, v[4:5] offset:64
	s_waitcnt vmcnt(0) lgkmcnt(0)
	v_mul_f32_e32 v2, s8, v2
	v_fmac_f32_e32 v2, s2, v8
	flat_store_dword v[0:1], v2 offset:64
	flat_load_dword v2, v[4:5] offset:128
	s_waitcnt vmcnt(0) lgkmcnt(0)
	v_mul_f32_e32 v2, s8, v2
	v_fmac_f32_e32 v2, s2, v7
	flat_store_dword v[0:1], v2 offset:128
	;; [unrolled: 5-line block ×3, first 2 shown]
.LBB167_6:
	s_endpgm
.LBB167_7:
	s_branch .LBB167_5
	.section	.rodata,"a",@progbits
	.p2align	6, 0x0
	.amdhsa_kernel _ZN12_GLOBAL__N_127rocblas_gemm_batched_kernelIfLi16ELi16ELi64ELi64ELi4ELi64ELi4ELi4ELi64ELc78ELc78EKPK16rocblas_bfloat16KPKfKPfEEvlllT_PT11_llSC_llSA_PT12_llPT13_lli
		.amdhsa_group_segment_fixed_size 2048
		.amdhsa_private_segment_fixed_size 0
		.amdhsa_kernarg_size 140
		.amdhsa_user_sgpr_count 6
		.amdhsa_user_sgpr_private_segment_buffer 1
		.amdhsa_user_sgpr_dispatch_ptr 0
		.amdhsa_user_sgpr_queue_ptr 0
		.amdhsa_user_sgpr_kernarg_segment_ptr 1
		.amdhsa_user_sgpr_dispatch_id 0
		.amdhsa_user_sgpr_flat_scratch_init 0
		.amdhsa_user_sgpr_private_segment_size 0
		.amdhsa_wavefront_size32 1
		.amdhsa_uses_dynamic_stack 0
		.amdhsa_system_sgpr_private_segment_wavefront_offset 0
		.amdhsa_system_sgpr_workgroup_id_x 1
		.amdhsa_system_sgpr_workgroup_id_y 1
		.amdhsa_system_sgpr_workgroup_id_z 1
		.amdhsa_system_sgpr_workgroup_info 0
		.amdhsa_system_vgpr_workitem_id 1
		.amdhsa_next_free_vgpr 58
		.amdhsa_next_free_sgpr 36
		.amdhsa_reserve_vcc 1
		.amdhsa_reserve_flat_scratch 0
		.amdhsa_float_round_mode_32 0
		.amdhsa_float_round_mode_16_64 0
		.amdhsa_float_denorm_mode_32 3
		.amdhsa_float_denorm_mode_16_64 3
		.amdhsa_dx10_clamp 1
		.amdhsa_ieee_mode 1
		.amdhsa_fp16_overflow 0
		.amdhsa_workgroup_processor_mode 1
		.amdhsa_memory_ordered 1
		.amdhsa_forward_progress 1
		.amdhsa_shared_vgpr_count 0
		.amdhsa_exception_fp_ieee_invalid_op 0
		.amdhsa_exception_fp_denorm_src 0
		.amdhsa_exception_fp_ieee_div_zero 0
		.amdhsa_exception_fp_ieee_overflow 0
		.amdhsa_exception_fp_ieee_underflow 0
		.amdhsa_exception_fp_ieee_inexact 0
		.amdhsa_exception_int_div_zero 0
	.end_amdhsa_kernel
	.section	.text._ZN12_GLOBAL__N_127rocblas_gemm_batched_kernelIfLi16ELi16ELi64ELi64ELi4ELi64ELi4ELi4ELi64ELc78ELc78EKPK16rocblas_bfloat16KPKfKPfEEvlllT_PT11_llSC_llSA_PT12_llPT13_lli,"axG",@progbits,_ZN12_GLOBAL__N_127rocblas_gemm_batched_kernelIfLi16ELi16ELi64ELi64ELi4ELi64ELi4ELi4ELi64ELc78ELc78EKPK16rocblas_bfloat16KPKfKPfEEvlllT_PT11_llSC_llSA_PT12_llPT13_lli,comdat
.Lfunc_end167:
	.size	_ZN12_GLOBAL__N_127rocblas_gemm_batched_kernelIfLi16ELi16ELi64ELi64ELi4ELi64ELi4ELi4ELi64ELc78ELc78EKPK16rocblas_bfloat16KPKfKPfEEvlllT_PT11_llSC_llSA_PT12_llPT13_lli, .Lfunc_end167-_ZN12_GLOBAL__N_127rocblas_gemm_batched_kernelIfLi16ELi16ELi64ELi64ELi4ELi64ELi4ELi4ELi64ELc78ELc78EKPK16rocblas_bfloat16KPKfKPfEEvlllT_PT11_llSC_llSA_PT12_llPT13_lli
                                        ; -- End function
	.set _ZN12_GLOBAL__N_127rocblas_gemm_batched_kernelIfLi16ELi16ELi64ELi64ELi4ELi64ELi4ELi4ELi64ELc78ELc78EKPK16rocblas_bfloat16KPKfKPfEEvlllT_PT11_llSC_llSA_PT12_llPT13_lli.num_vgpr, 58
	.set _ZN12_GLOBAL__N_127rocblas_gemm_batched_kernelIfLi16ELi16ELi64ELi64ELi4ELi64ELi4ELi4ELi64ELc78ELc78EKPK16rocblas_bfloat16KPKfKPfEEvlllT_PT11_llSC_llSA_PT12_llPT13_lli.num_agpr, 0
	.set _ZN12_GLOBAL__N_127rocblas_gemm_batched_kernelIfLi16ELi16ELi64ELi64ELi4ELi64ELi4ELi4ELi64ELc78ELc78EKPK16rocblas_bfloat16KPKfKPfEEvlllT_PT11_llSC_llSA_PT12_llPT13_lli.numbered_sgpr, 36
	.set _ZN12_GLOBAL__N_127rocblas_gemm_batched_kernelIfLi16ELi16ELi64ELi64ELi4ELi64ELi4ELi4ELi64ELc78ELc78EKPK16rocblas_bfloat16KPKfKPfEEvlllT_PT11_llSC_llSA_PT12_llPT13_lli.num_named_barrier, 0
	.set _ZN12_GLOBAL__N_127rocblas_gemm_batched_kernelIfLi16ELi16ELi64ELi64ELi4ELi64ELi4ELi4ELi64ELc78ELc78EKPK16rocblas_bfloat16KPKfKPfEEvlllT_PT11_llSC_llSA_PT12_llPT13_lli.private_seg_size, 0
	.set _ZN12_GLOBAL__N_127rocblas_gemm_batched_kernelIfLi16ELi16ELi64ELi64ELi4ELi64ELi4ELi4ELi64ELc78ELc78EKPK16rocblas_bfloat16KPKfKPfEEvlllT_PT11_llSC_llSA_PT12_llPT13_lli.uses_vcc, 1
	.set _ZN12_GLOBAL__N_127rocblas_gemm_batched_kernelIfLi16ELi16ELi64ELi64ELi4ELi64ELi4ELi4ELi64ELc78ELc78EKPK16rocblas_bfloat16KPKfKPfEEvlllT_PT11_llSC_llSA_PT12_llPT13_lli.uses_flat_scratch, 0
	.set _ZN12_GLOBAL__N_127rocblas_gemm_batched_kernelIfLi16ELi16ELi64ELi64ELi4ELi64ELi4ELi4ELi64ELc78ELc78EKPK16rocblas_bfloat16KPKfKPfEEvlllT_PT11_llSC_llSA_PT12_llPT13_lli.has_dyn_sized_stack, 0
	.set _ZN12_GLOBAL__N_127rocblas_gemm_batched_kernelIfLi16ELi16ELi64ELi64ELi4ELi64ELi4ELi4ELi64ELc78ELc78EKPK16rocblas_bfloat16KPKfKPfEEvlllT_PT11_llSC_llSA_PT12_llPT13_lli.has_recursion, 0
	.set _ZN12_GLOBAL__N_127rocblas_gemm_batched_kernelIfLi16ELi16ELi64ELi64ELi4ELi64ELi4ELi4ELi64ELc78ELc78EKPK16rocblas_bfloat16KPKfKPfEEvlllT_PT11_llSC_llSA_PT12_llPT13_lli.has_indirect_call, 0
	.section	.AMDGPU.csdata,"",@progbits
; Kernel info:
; codeLenInByte = 2300
; TotalNumSgprs: 38
; NumVgprs: 58
; ScratchSize: 0
; MemoryBound: 0
; FloatMode: 240
; IeeeMode: 1
; LDSByteSize: 2048 bytes/workgroup (compile time only)
; SGPRBlocks: 0
; VGPRBlocks: 7
; NumSGPRsForWavesPerEU: 38
; NumVGPRsForWavesPerEU: 58
; Occupancy: 16
; WaveLimiterHint : 1
; COMPUTE_PGM_RSRC2:SCRATCH_EN: 0
; COMPUTE_PGM_RSRC2:USER_SGPR: 6
; COMPUTE_PGM_RSRC2:TRAP_HANDLER: 0
; COMPUTE_PGM_RSRC2:TGID_X_EN: 1
; COMPUTE_PGM_RSRC2:TGID_Y_EN: 1
; COMPUTE_PGM_RSRC2:TGID_Z_EN: 1
; COMPUTE_PGM_RSRC2:TIDIG_COMP_CNT: 1
	.section	.text._ZN12_GLOBAL__N_127rocblas_gemm_batched_kernelIfLi16ELi16ELi64ELi64ELi4ELi64ELi4ELi4ELi64ELc84ELc78EKPK16rocblas_bfloat16KPKfKPfEEvlllT_PT11_llSC_llSA_PT12_llPT13_lli,"axG",@progbits,_ZN12_GLOBAL__N_127rocblas_gemm_batched_kernelIfLi16ELi16ELi64ELi64ELi4ELi64ELi4ELi4ELi64ELc84ELc78EKPK16rocblas_bfloat16KPKfKPfEEvlllT_PT11_llSC_llSA_PT12_llPT13_lli,comdat
	.globl	_ZN12_GLOBAL__N_127rocblas_gemm_batched_kernelIfLi16ELi16ELi64ELi64ELi4ELi64ELi4ELi4ELi64ELc84ELc78EKPK16rocblas_bfloat16KPKfKPfEEvlllT_PT11_llSC_llSA_PT12_llPT13_lli ; -- Begin function _ZN12_GLOBAL__N_127rocblas_gemm_batched_kernelIfLi16ELi16ELi64ELi64ELi4ELi64ELi4ELi4ELi64ELc84ELc78EKPK16rocblas_bfloat16KPKfKPfEEvlllT_PT11_llSC_llSA_PT12_llPT13_lli
	.p2align	8
	.type	_ZN12_GLOBAL__N_127rocblas_gemm_batched_kernelIfLi16ELi16ELi64ELi64ELi4ELi64ELi4ELi4ELi64ELc84ELc78EKPK16rocblas_bfloat16KPKfKPfEEvlllT_PT11_llSC_llSA_PT12_llPT13_lli,@function
_ZN12_GLOBAL__N_127rocblas_gemm_batched_kernelIfLi16ELi16ELi64ELi64ELi4ELi64ELi4ELi4ELi64ELc84ELc78EKPK16rocblas_bfloat16KPKfKPfEEvlllT_PT11_llSC_llSA_PT12_llPT13_lli: ; @_ZN12_GLOBAL__N_127rocblas_gemm_batched_kernelIfLi16ELi16ELi64ELi64ELi4ELi64ELi4ELi4ELi64ELc84ELc78EKPK16rocblas_bfloat16KPKfKPfEEvlllT_PT11_llSC_llSA_PT12_llPT13_lli
; %bb.0:
	s_clause 0x1
	s_load_dwordx8 s[12:19], s[4:5], 0x58
	s_load_dwordx2 s[28:29], s[4:5], 0x10
	s_mov_b32 s9, 0
	s_load_dwordx4 s[0:3], s[4:5], 0x78
	s_lshl_b64 s[34:35], s[8:9], 3
	s_mov_b32 s10, s7
	v_mov_b32_e32 v18, 0
	v_mov_b32_e32 v21, 0
	;; [unrolled: 1-line block ×14, first 2 shown]
	s_waitcnt lgkmcnt(0)
	s_add_u32 s8, s12, s34
	s_addc_u32 s9, s13, s35
	s_add_u32 s18, s18, s34
	s_addc_u32 s19, s19, s35
	s_load_dwordx2 s[12:13], s[8:9], 0x0
	s_load_dwordx2 s[18:19], s[18:19], 0x0
	v_cmp_lt_i64_e64 s20, s[28:29], 1
	v_mov_b32_e32 v7, 0
	v_mov_b32_e32 v6, 0
	s_ashr_i32 s7, s6, 31
	s_ashr_i32 s11, s10, 31
	s_lshl_b64 s[6:7], s[6:7], 6
	s_and_b32 vcc_lo, exec_lo, s20
	s_lshl_b64 s[30:31], s[10:11], 6
	s_cbranch_vccnz .LBB168_3
; %bb.1:
	v_lshlrev_b32_e32 v7, 4, v1
	s_clause 0x1
	s_load_dwordx8 s[20:27], s[4:5], 0x20
	s_load_dwordx4 s[8:11], s[4:5], 0x40
	v_and_b32_e32 v8, 3, v0
	v_lshlrev_b32_e32 v24, 2, v0
	v_mov_b32_e32 v16, 0
	v_add_nc_u32_e32 v2, v7, v0
	v_add_nc_u32_e32 v25, 0x400, v7
	v_lshlrev_b32_e32 v7, 1, v8
	v_lshlrev_b32_e32 v9, 2, v8
	v_mov_b32_e32 v17, 0
	v_lshrrev_b32_e32 v6, 2, v2
	v_and_b32_e32 v10, 63, v2
	v_lshrrev_b32_e32 v11, 6, v2
	v_mov_b32_e32 v19, 0
	v_mov_b32_e32 v20, 0
	v_add_co_u32 v2, s33, v6, s30
	v_add_co_ci_u32_e64 v3, null, 0, s31, s33
	v_add_co_u32 v4, s33, s6, v10
	v_add_co_ci_u32_e64 v5, null, s7, 0, s33
	s_waitcnt lgkmcnt(0)
	v_mul_lo_u32 v12, s9, v2
	v_mul_lo_u32 v13, s8, v3
	v_mad_u64_u32 v[2:3], null, s8, v2, 0
	v_mul_lo_u32 v14, s23, v4
	v_mul_lo_u32 v15, s22, v5
	v_mad_u64_u32 v[4:5], null, s22, v4, 0
	s_add_u32 s20, s20, s34
	s_addc_u32 s21, s21, s35
	s_add_u32 s26, s26, s34
	v_add3_u32 v3, v3, v13, v12
	s_addc_u32 s27, s27, s35
	s_load_dwordx2 s[20:21], s[20:21], 0x0
	s_load_dwordx2 s[8:9], s[26:27], 0x0
	v_add3_u32 v5, v5, v15, v14
	v_lshlrev_b64 v[2:3], 1, v[2:3]
	s_lshl_b64 s[10:11], s[10:11], 1
	v_lshlrev_b32_e32 v8, 1, v11
	v_lshlrev_b32_e32 v10, 2, v10
	v_lshlrev_b64 v[4:5], 1, v[4:5]
	v_lshl_or_b32 v9, v6, 4, v9
	v_add_co_u32 v2, vcc_lo, v2, s10
	v_add_co_ci_u32_e64 v3, null, s11, v3, vcc_lo
	s_lshl_b64 s[10:11], s[24:25], 1
	v_mov_b32_e32 v6, 0
	v_add_co_u32 v4, vcc_lo, v4, s10
	v_add_co_ci_u32_e64 v5, null, s11, v5, vcc_lo
	v_add_co_u32 v2, vcc_lo, v2, v7
	v_add_co_ci_u32_e64 v3, null, 0, v3, vcc_lo
	;; [unrolled: 2-line block ×3, first 2 shown]
	s_waitcnt lgkmcnt(0)
	v_add_co_u32 v2, vcc_lo, s8, v2
	v_add_co_ci_u32_e64 v3, null, s9, v3, vcc_lo
	v_add_co_u32 v4, vcc_lo, s20, v4
	v_lshl_or_b32 v22, v11, 8, v10
	v_add_nc_u32_e32 v23, 0x400, v9
	v_add_co_ci_u32_e64 v5, null, s21, v5, vcc_lo
	v_mov_b32_e32 v7, 0
	v_mov_b32_e32 v8, 0
	;; [unrolled: 1-line block ×11, first 2 shown]
	s_mov_b64 s[8:9], 0
.LBB168_2:                              ; =>This Inner Loop Header: Depth=1
	flat_load_ushort v26, v[4:5]
	flat_load_ushort v27, v[2:3]
	s_add_u32 s8, s8, 4
	s_addc_u32 s9, s9, 0
	v_add_co_u32 v2, vcc_lo, v2, 8
	v_cmp_lt_i64_e64 s10, s[8:9], s[28:29]
	v_add_co_ci_u32_e64 v3, null, 0, v3, vcc_lo
	v_add_co_u32 v4, vcc_lo, v4, 8
	v_add_co_ci_u32_e64 v5, null, 0, v5, vcc_lo
	s_and_b32 vcc_lo, exec_lo, s10
	s_waitcnt vmcnt(1) lgkmcnt(1)
	v_lshlrev_b32_e32 v26, 16, v26
	s_waitcnt vmcnt(0) lgkmcnt(0)
	v_lshlrev_b32_e32 v27, 16, v27
	ds_write_b32 v22, v26
	ds_write_b32 v23, v27
	s_waitcnt lgkmcnt(0)
	s_barrier
	buffer_gl0_inv
	ds_read_b128 v[26:29], v25
	ds_read2_b32 v[42:43], v24 offset1:16
	ds_read2_b32 v[44:45], v24 offset0:32 offset1:48
	ds_read_b128 v[30:33], v25 offset:256
	ds_read_b128 v[34:37], v25 offset:512
	;; [unrolled: 1-line block ×3, first 2 shown]
	ds_read2_b32 v[46:47], v24 offset0:64 offset1:80
	ds_read2_b32 v[48:49], v24 offset0:96 offset1:112
	;; [unrolled: 1-line block ×6, first 2 shown]
	s_waitcnt lgkmcnt(0)
	s_barrier
	buffer_gl0_inv
	v_fmac_f32_e32 v18, v42, v26
	v_fmac_f32_e32 v21, v43, v26
	;; [unrolled: 1-line block ×64, first 2 shown]
	s_cbranch_vccnz .LBB168_2
.LBB168_3:
	s_load_dword s8, s[4:5], 0x50
	s_lshl_b64 s[10:11], s[2:3], 2
	s_load_dword s2, s[4:5], 0x18
	v_add_co_u32 v2, s4, s30, v1
	v_add_co_ci_u32_e64 v5, null, s31, 0, s4
	v_add_co_u32 v0, s4, s6, v0
	v_add_co_ci_u32_e64 v1, null, s7, 0, s4
	v_mul_lo_u32 v3, v5, s0
	v_mul_lo_u32 v4, v2, s1
	s_waitcnt lgkmcnt(0)
	s_add_u32 s3, s18, s10
	v_lshlrev_b64 v[0:1], 2, v[0:1]
	s_addc_u32 s4, s19, s11
	v_cmp_neq_f32_e64 s5, s8, 0
	s_and_b32 vcc_lo, exec_lo, s5
	s_mov_b32 s5, 0
	s_cbranch_vccnz .LBB168_7
; %bb.4:
	v_mad_u64_u32 v[22:23], null, v2, s0, 0
	s_lshl_b64 s[6:7], s[0:1], 6
	v_mul_f32_e32 v26, s2, v18
	v_mul_f32_e32 v27, s2, v21
	;; [unrolled: 1-line block ×5, first 2 shown]
	v_add3_u32 v23, v23, v4, v3
	v_mul_f32_e32 v31, s2, v16
	v_mul_f32_e32 v32, s2, v15
	;; [unrolled: 1-line block ×3, first 2 shown]
	v_lshlrev_b64 v[22:23], 2, v[22:23]
	v_add_co_u32 v22, vcc_lo, s3, v22
	v_add_co_ci_u32_e64 v23, null, s4, v23, vcc_lo
	v_add_co_u32 v34, vcc_lo, v22, s6
	v_add_co_ci_u32_e64 v35, null, s7, v23, vcc_lo
	;; [unrolled: 2-line block ×4, first 2 shown]
	flat_store_dword v[22:23], v26
	flat_store_dword v[22:23], v27 offset:64
	flat_store_dword v[22:23], v28 offset:128
	;; [unrolled: 1-line block ×3, first 2 shown]
	flat_store_dword v[24:25], v30
	flat_store_dword v[24:25], v31 offset:64
	v_add_co_u32 v26, vcc_lo, v34, s6
	v_add_co_ci_u32_e64 v27, null, s7, v35, vcc_lo
	v_mul_f32_e32 v28, s2, v13
	v_add_co_u32 v22, vcc_lo, v26, v0
	v_add_co_ci_u32_e64 v23, null, v27, v1, vcc_lo
	v_mul_f32_e32 v29, s2, v12
	v_mul_f32_e32 v30, s2, v11
	flat_store_dword v[24:25], v32 offset:128
	flat_store_dword v[24:25], v33 offset:192
	flat_store_dword v[22:23], v28
	flat_store_dword v[22:23], v29 offset:64
	flat_store_dword v[22:23], v30 offset:128
	v_add_co_u32 v24, vcc_lo, v26, s6
	v_add_co_ci_u32_e64 v25, null, s7, v27, vcc_lo
	v_mul_f32_e32 v28, s2, v10
	v_add_co_u32 v24, vcc_lo, v24, v0
	v_mul_f32_e32 v26, s2, v9
	v_add_co_ci_u32_e64 v25, null, v25, v1, vcc_lo
	v_mul_f32_e32 v27, s2, v8
	v_mul_f32_e32 v29, s2, v7
	;; [unrolled: 1-line block ×3, first 2 shown]
	flat_store_dword v[22:23], v28 offset:192
	flat_store_dword v[24:25], v26
	flat_store_dword v[24:25], v27 offset:64
	flat_store_dword v[24:25], v29 offset:128
	;; [unrolled: 1-line block ×3, first 2 shown]
	s_andn2_b32 vcc_lo, exec_lo, s5
	s_cbranch_vccnz .LBB168_6
.LBB168_5:
	v_mul_lo_u32 v5, v5, s14
	v_mul_lo_u32 v24, v2, s15
	v_mad_u64_u32 v[22:23], null, v2, s14, 0
	s_lshl_b64 s[6:7], s[16:17], 2
	s_add_u32 s5, s12, s6
	s_addc_u32 s6, s13, s7
	v_add3_u32 v23, v23, v24, v5
	v_mad_u64_u32 v[24:25], null, v2, s0, 0
	s_lshl_b64 s[0:1], s[0:1], 6
	v_lshlrev_b64 v[22:23], 2, v[22:23]
	v_add3_u32 v25, v25, v4, v3
	v_add_co_u32 v5, vcc_lo, s5, v22
	v_add_co_ci_u32_e64 v26, null, s6, v23, vcc_lo
	v_lshlrev_b64 v[2:3], 2, v[24:25]
	v_add_co_u32 v22, vcc_lo, v5, v0
	v_add_co_ci_u32_e64 v23, null, v26, v1, vcc_lo
	v_add_co_u32 v24, vcc_lo, s3, v2
	flat_load_dword v27, v[22:23]
	v_add_co_ci_u32_e64 v25, null, s4, v3, vcc_lo
	v_add_co_u32 v2, vcc_lo, v24, v0
	s_lshl_b64 s[4:5], s[14:15], 6
	v_add_co_ci_u32_e64 v3, null, v25, v1, vcc_lo
	s_waitcnt vmcnt(0) lgkmcnt(0)
	v_mul_f32_e32 v4, s8, v27
	v_fmac_f32_e32 v4, s2, v18
	flat_store_dword v[2:3], v4
	flat_load_dword v4, v[22:23] offset:64
	s_waitcnt vmcnt(0) lgkmcnt(0)
	v_mul_f32_e32 v4, s8, v4
	v_fmac_f32_e32 v4, s2, v21
	flat_store_dword v[2:3], v4 offset:64
	flat_load_dword v4, v[22:23] offset:128
	s_waitcnt vmcnt(0) lgkmcnt(0)
	v_mul_f32_e32 v4, s8, v4
	v_fmac_f32_e32 v4, s2, v20
	v_add_co_u32 v20, vcc_lo, v5, s4
	v_add_co_ci_u32_e64 v21, null, s5, v26, vcc_lo
	flat_store_dword v[2:3], v4 offset:128
	flat_load_dword v4, v[22:23] offset:192
	s_waitcnt vmcnt(0) lgkmcnt(0)
	v_mul_f32_e32 v18, s8, v4
	v_add_co_u32 v4, vcc_lo, v20, v0
	v_add_co_ci_u32_e64 v5, null, v21, v1, vcc_lo
	v_fmac_f32_e32 v18, s2, v19
	flat_store_dword v[2:3], v18 offset:192
	flat_load_dword v2, v[4:5]
	v_add_co_u32 v18, vcc_lo, v24, s0
	v_add_co_ci_u32_e64 v19, null, s1, v25, vcc_lo
	s_waitcnt vmcnt(0) lgkmcnt(0)
	v_mul_f32_e32 v22, s8, v2
	v_add_co_u32 v2, vcc_lo, v18, v0
	v_add_co_ci_u32_e64 v3, null, v19, v1, vcc_lo
	v_fmac_f32_e32 v22, s2, v17
	flat_store_dword v[2:3], v22
	flat_load_dword v17, v[4:5] offset:64
	s_waitcnt vmcnt(0) lgkmcnt(0)
	v_mul_f32_e32 v17, s8, v17
	v_fmac_f32_e32 v17, s2, v16
	flat_store_dword v[2:3], v17 offset:64
	flat_load_dword v16, v[4:5] offset:128
	s_waitcnt vmcnt(0) lgkmcnt(0)
	v_mul_f32_e32 v16, s8, v16
	v_fmac_f32_e32 v16, s2, v15
	flat_store_dword v[2:3], v16 offset:128
	flat_load_dword v4, v[4:5] offset:192
	v_add_co_u32 v16, vcc_lo, v20, s4
	v_add_co_ci_u32_e64 v17, null, s5, v21, vcc_lo
	s_waitcnt vmcnt(0) lgkmcnt(0)
	v_mul_f32_e32 v15, s8, v4
	v_add_co_u32 v4, vcc_lo, v16, v0
	v_add_co_ci_u32_e64 v5, null, v17, v1, vcc_lo
	v_fmac_f32_e32 v15, s2, v14
	v_add_co_u32 v14, vcc_lo, v18, s0
	flat_store_dword v[2:3], v15 offset:192
	flat_load_dword v2, v[4:5]
	v_add_co_ci_u32_e64 v15, null, s1, v19, vcc_lo
	s_waitcnt vmcnt(0) lgkmcnt(0)
	v_mul_f32_e32 v18, s8, v2
	v_add_co_u32 v2, vcc_lo, v14, v0
	v_add_co_ci_u32_e64 v3, null, v15, v1, vcc_lo
	v_fmac_f32_e32 v18, s2, v13
	flat_store_dword v[2:3], v18
	flat_load_dword v13, v[4:5] offset:64
	s_waitcnt vmcnt(0) lgkmcnt(0)
	v_mul_f32_e32 v13, s8, v13
	v_fmac_f32_e32 v13, s2, v12
	flat_store_dword v[2:3], v13 offset:64
	flat_load_dword v12, v[4:5] offset:128
	s_waitcnt vmcnt(0) lgkmcnt(0)
	v_mul_f32_e32 v12, s8, v12
	v_fmac_f32_e32 v12, s2, v11
	flat_store_dword v[2:3], v12 offset:128
	flat_load_dword v4, v[4:5] offset:192
	s_waitcnt vmcnt(0) lgkmcnt(0)
	v_mul_f32_e32 v11, s8, v4
	v_add_co_u32 v4, vcc_lo, v16, s4
	v_add_co_ci_u32_e64 v5, null, s5, v17, vcc_lo
	v_fmac_f32_e32 v11, s2, v10
	v_add_co_u32 v4, vcc_lo, v4, v0
	v_add_co_ci_u32_e64 v5, null, v5, v1, vcc_lo
	flat_store_dword v[2:3], v11 offset:192
	v_add_co_u32 v3, vcc_lo, v14, s0
	flat_load_dword v2, v[4:5]
	v_add_co_ci_u32_e64 v10, null, s1, v15, vcc_lo
	v_add_co_u32 v0, vcc_lo, v3, v0
	v_add_co_ci_u32_e64 v1, null, v10, v1, vcc_lo
	s_waitcnt vmcnt(0) lgkmcnt(0)
	v_mul_f32_e32 v2, s8, v2
	v_fmac_f32_e32 v2, s2, v9
	flat_store_dword v[0:1], v2
	flat_load_dword v2, v[4:5] offset:64
	s_waitcnt vmcnt(0) lgkmcnt(0)
	v_mul_f32_e32 v2, s8, v2
	v_fmac_f32_e32 v2, s2, v8
	flat_store_dword v[0:1], v2 offset:64
	flat_load_dword v2, v[4:5] offset:128
	s_waitcnt vmcnt(0) lgkmcnt(0)
	v_mul_f32_e32 v2, s8, v2
	v_fmac_f32_e32 v2, s2, v7
	flat_store_dword v[0:1], v2 offset:128
	;; [unrolled: 5-line block ×3, first 2 shown]
.LBB168_6:
	s_endpgm
.LBB168_7:
	s_branch .LBB168_5
	.section	.rodata,"a",@progbits
	.p2align	6, 0x0
	.amdhsa_kernel _ZN12_GLOBAL__N_127rocblas_gemm_batched_kernelIfLi16ELi16ELi64ELi64ELi4ELi64ELi4ELi4ELi64ELc84ELc78EKPK16rocblas_bfloat16KPKfKPfEEvlllT_PT11_llSC_llSA_PT12_llPT13_lli
		.amdhsa_group_segment_fixed_size 2048
		.amdhsa_private_segment_fixed_size 0
		.amdhsa_kernarg_size 140
		.amdhsa_user_sgpr_count 6
		.amdhsa_user_sgpr_private_segment_buffer 1
		.amdhsa_user_sgpr_dispatch_ptr 0
		.amdhsa_user_sgpr_queue_ptr 0
		.amdhsa_user_sgpr_kernarg_segment_ptr 1
		.amdhsa_user_sgpr_dispatch_id 0
		.amdhsa_user_sgpr_flat_scratch_init 0
		.amdhsa_user_sgpr_private_segment_size 0
		.amdhsa_wavefront_size32 1
		.amdhsa_uses_dynamic_stack 0
		.amdhsa_system_sgpr_private_segment_wavefront_offset 0
		.amdhsa_system_sgpr_workgroup_id_x 1
		.amdhsa_system_sgpr_workgroup_id_y 1
		.amdhsa_system_sgpr_workgroup_id_z 1
		.amdhsa_system_sgpr_workgroup_info 0
		.amdhsa_system_vgpr_workitem_id 1
		.amdhsa_next_free_vgpr 58
		.amdhsa_next_free_sgpr 36
		.amdhsa_reserve_vcc 1
		.amdhsa_reserve_flat_scratch 0
		.amdhsa_float_round_mode_32 0
		.amdhsa_float_round_mode_16_64 0
		.amdhsa_float_denorm_mode_32 3
		.amdhsa_float_denorm_mode_16_64 3
		.amdhsa_dx10_clamp 1
		.amdhsa_ieee_mode 1
		.amdhsa_fp16_overflow 0
		.amdhsa_workgroup_processor_mode 1
		.amdhsa_memory_ordered 1
		.amdhsa_forward_progress 1
		.amdhsa_shared_vgpr_count 0
		.amdhsa_exception_fp_ieee_invalid_op 0
		.amdhsa_exception_fp_denorm_src 0
		.amdhsa_exception_fp_ieee_div_zero 0
		.amdhsa_exception_fp_ieee_overflow 0
		.amdhsa_exception_fp_ieee_underflow 0
		.amdhsa_exception_fp_ieee_inexact 0
		.amdhsa_exception_int_div_zero 0
	.end_amdhsa_kernel
	.section	.text._ZN12_GLOBAL__N_127rocblas_gemm_batched_kernelIfLi16ELi16ELi64ELi64ELi4ELi64ELi4ELi4ELi64ELc84ELc78EKPK16rocblas_bfloat16KPKfKPfEEvlllT_PT11_llSC_llSA_PT12_llPT13_lli,"axG",@progbits,_ZN12_GLOBAL__N_127rocblas_gemm_batched_kernelIfLi16ELi16ELi64ELi64ELi4ELi64ELi4ELi4ELi64ELc84ELc78EKPK16rocblas_bfloat16KPKfKPfEEvlllT_PT11_llSC_llSA_PT12_llPT13_lli,comdat
.Lfunc_end168:
	.size	_ZN12_GLOBAL__N_127rocblas_gemm_batched_kernelIfLi16ELi16ELi64ELi64ELi4ELi64ELi4ELi4ELi64ELc84ELc78EKPK16rocblas_bfloat16KPKfKPfEEvlllT_PT11_llSC_llSA_PT12_llPT13_lli, .Lfunc_end168-_ZN12_GLOBAL__N_127rocblas_gemm_batched_kernelIfLi16ELi16ELi64ELi64ELi4ELi64ELi4ELi4ELi64ELc84ELc78EKPK16rocblas_bfloat16KPKfKPfEEvlllT_PT11_llSC_llSA_PT12_llPT13_lli
                                        ; -- End function
	.set _ZN12_GLOBAL__N_127rocblas_gemm_batched_kernelIfLi16ELi16ELi64ELi64ELi4ELi64ELi4ELi4ELi64ELc84ELc78EKPK16rocblas_bfloat16KPKfKPfEEvlllT_PT11_llSC_llSA_PT12_llPT13_lli.num_vgpr, 58
	.set _ZN12_GLOBAL__N_127rocblas_gemm_batched_kernelIfLi16ELi16ELi64ELi64ELi4ELi64ELi4ELi4ELi64ELc84ELc78EKPK16rocblas_bfloat16KPKfKPfEEvlllT_PT11_llSC_llSA_PT12_llPT13_lli.num_agpr, 0
	.set _ZN12_GLOBAL__N_127rocblas_gemm_batched_kernelIfLi16ELi16ELi64ELi64ELi4ELi64ELi4ELi4ELi64ELc84ELc78EKPK16rocblas_bfloat16KPKfKPfEEvlllT_PT11_llSC_llSA_PT12_llPT13_lli.numbered_sgpr, 36
	.set _ZN12_GLOBAL__N_127rocblas_gemm_batched_kernelIfLi16ELi16ELi64ELi64ELi4ELi64ELi4ELi4ELi64ELc84ELc78EKPK16rocblas_bfloat16KPKfKPfEEvlllT_PT11_llSC_llSA_PT12_llPT13_lli.num_named_barrier, 0
	.set _ZN12_GLOBAL__N_127rocblas_gemm_batched_kernelIfLi16ELi16ELi64ELi64ELi4ELi64ELi4ELi4ELi64ELc84ELc78EKPK16rocblas_bfloat16KPKfKPfEEvlllT_PT11_llSC_llSA_PT12_llPT13_lli.private_seg_size, 0
	.set _ZN12_GLOBAL__N_127rocblas_gemm_batched_kernelIfLi16ELi16ELi64ELi64ELi4ELi64ELi4ELi4ELi64ELc84ELc78EKPK16rocblas_bfloat16KPKfKPfEEvlllT_PT11_llSC_llSA_PT12_llPT13_lli.uses_vcc, 1
	.set _ZN12_GLOBAL__N_127rocblas_gemm_batched_kernelIfLi16ELi16ELi64ELi64ELi4ELi64ELi4ELi4ELi64ELc84ELc78EKPK16rocblas_bfloat16KPKfKPfEEvlllT_PT11_llSC_llSA_PT12_llPT13_lli.uses_flat_scratch, 0
	.set _ZN12_GLOBAL__N_127rocblas_gemm_batched_kernelIfLi16ELi16ELi64ELi64ELi4ELi64ELi4ELi4ELi64ELc84ELc78EKPK16rocblas_bfloat16KPKfKPfEEvlllT_PT11_llSC_llSA_PT12_llPT13_lli.has_dyn_sized_stack, 0
	.set _ZN12_GLOBAL__N_127rocblas_gemm_batched_kernelIfLi16ELi16ELi64ELi64ELi4ELi64ELi4ELi4ELi64ELc84ELc78EKPK16rocblas_bfloat16KPKfKPfEEvlllT_PT11_llSC_llSA_PT12_llPT13_lli.has_recursion, 0
	.set _ZN12_GLOBAL__N_127rocblas_gemm_batched_kernelIfLi16ELi16ELi64ELi64ELi4ELi64ELi4ELi4ELi64ELc84ELc78EKPK16rocblas_bfloat16KPKfKPfEEvlllT_PT11_llSC_llSA_PT12_llPT13_lli.has_indirect_call, 0
	.section	.AMDGPU.csdata,"",@progbits
; Kernel info:
; codeLenInByte = 2340
; TotalNumSgprs: 38
; NumVgprs: 58
; ScratchSize: 0
; MemoryBound: 0
; FloatMode: 240
; IeeeMode: 1
; LDSByteSize: 2048 bytes/workgroup (compile time only)
; SGPRBlocks: 0
; VGPRBlocks: 7
; NumSGPRsForWavesPerEU: 38
; NumVGPRsForWavesPerEU: 58
; Occupancy: 16
; WaveLimiterHint : 1
; COMPUTE_PGM_RSRC2:SCRATCH_EN: 0
; COMPUTE_PGM_RSRC2:USER_SGPR: 6
; COMPUTE_PGM_RSRC2:TRAP_HANDLER: 0
; COMPUTE_PGM_RSRC2:TGID_X_EN: 1
; COMPUTE_PGM_RSRC2:TGID_Y_EN: 1
; COMPUTE_PGM_RSRC2:TGID_Z_EN: 1
; COMPUTE_PGM_RSRC2:TIDIG_COMP_CNT: 1
	.section	.text._ZN12_GLOBAL__N_127rocblas_gemm_batched_kernelIfLi16ELi16ELi64ELi64ELi4ELi64ELi4ELi4ELi64ELc78ELc84EKPK16rocblas_bfloat16KPKfKPfEEvlllT_PT11_llSC_llSA_PT12_llPT13_lli,"axG",@progbits,_ZN12_GLOBAL__N_127rocblas_gemm_batched_kernelIfLi16ELi16ELi64ELi64ELi4ELi64ELi4ELi4ELi64ELc78ELc84EKPK16rocblas_bfloat16KPKfKPfEEvlllT_PT11_llSC_llSA_PT12_llPT13_lli,comdat
	.globl	_ZN12_GLOBAL__N_127rocblas_gemm_batched_kernelIfLi16ELi16ELi64ELi64ELi4ELi64ELi4ELi4ELi64ELc78ELc84EKPK16rocblas_bfloat16KPKfKPfEEvlllT_PT11_llSC_llSA_PT12_llPT13_lli ; -- Begin function _ZN12_GLOBAL__N_127rocblas_gemm_batched_kernelIfLi16ELi16ELi64ELi64ELi4ELi64ELi4ELi4ELi64ELc78ELc84EKPK16rocblas_bfloat16KPKfKPfEEvlllT_PT11_llSC_llSA_PT12_llPT13_lli
	.p2align	8
	.type	_ZN12_GLOBAL__N_127rocblas_gemm_batched_kernelIfLi16ELi16ELi64ELi64ELi4ELi64ELi4ELi4ELi64ELc78ELc84EKPK16rocblas_bfloat16KPKfKPfEEvlllT_PT11_llSC_llSA_PT12_llPT13_lli,@function
_ZN12_GLOBAL__N_127rocblas_gemm_batched_kernelIfLi16ELi16ELi64ELi64ELi4ELi64ELi4ELi4ELi64ELc78ELc84EKPK16rocblas_bfloat16KPKfKPfEEvlllT_PT11_llSC_llSA_PT12_llPT13_lli: ; @_ZN12_GLOBAL__N_127rocblas_gemm_batched_kernelIfLi16ELi16ELi64ELi64ELi4ELi64ELi4ELi4ELi64ELc78ELc84EKPK16rocblas_bfloat16KPKfKPfEEvlllT_PT11_llSC_llSA_PT12_llPT13_lli
; %bb.0:
	s_clause 0x1
	s_load_dwordx8 s[12:19], s[4:5], 0x58
	s_load_dwordx2 s[28:29], s[4:5], 0x10
	s_mov_b32 s9, 0
	s_load_dwordx4 s[0:3], s[4:5], 0x78
	s_lshl_b64 s[34:35], s[8:9], 3
	s_mov_b32 s10, s7
	v_mov_b32_e32 v18, 0
	v_mov_b32_e32 v21, 0
	v_mov_b32_e32 v20, 0
	v_mov_b32_e32 v19, 0
	v_mov_b32_e32 v17, 0
	v_mov_b32_e32 v16, 0
	v_mov_b32_e32 v15, 0
	v_mov_b32_e32 v14, 0
	v_mov_b32_e32 v13, 0
	v_mov_b32_e32 v12, 0
	v_mov_b32_e32 v11, 0
	v_mov_b32_e32 v10, 0
	v_mov_b32_e32 v9, 0
	v_mov_b32_e32 v8, 0
	s_waitcnt lgkmcnt(0)
	s_add_u32 s8, s12, s34
	s_addc_u32 s9, s13, s35
	s_add_u32 s18, s18, s34
	s_addc_u32 s19, s19, s35
	s_load_dwordx2 s[12:13], s[8:9], 0x0
	s_load_dwordx2 s[18:19], s[18:19], 0x0
	v_cmp_lt_i64_e64 s20, s[28:29], 1
	v_mov_b32_e32 v2, 0
	v_mov_b32_e32 v3, 0
	s_ashr_i32 s7, s6, 31
	s_ashr_i32 s11, s10, 31
	s_lshl_b64 s[6:7], s[6:7], 6
	s_and_b32 vcc_lo, exec_lo, s20
	s_lshl_b64 s[30:31], s[10:11], 6
	s_cbranch_vccnz .LBB169_3
; %bb.1:
	s_clause 0x1
	s_load_dwordx8 s[20:27], s[4:5], 0x20
	s_load_dwordx4 s[8:11], s[4:5], 0x40
	v_lshlrev_b32_e32 v8, 4, v1
	v_and_b32_e32 v9, 3, v0
	v_mov_b32_e32 v3, 0
	v_lshlrev_b32_e32 v22, 2, v0
	v_add_nc_u32_e32 v4, v8, v0
	v_lshlrev_b32_e32 v11, 2, v9
	v_add_nc_u32_e32 v23, 0x400, v8
	v_mov_b32_e32 v14, v3
	v_mov_b32_e32 v15, v3
	v_lshrrev_b32_e32 v2, 2, v4
	v_lshrrev_b32_e32 v12, 6, v4
	v_and_b32_e32 v10, 63, v4
	v_mov_b32_e32 v16, v3
	v_mov_b32_e32 v17, v3
	v_lshl_or_b32 v11, v2, 4, v11
	v_mov_b32_e32 v19, v3
	v_lshlrev_b32_e32 v13, 2, v10
	s_waitcnt lgkmcnt(0)
	v_mad_u64_u32 v[6:7], null, s22, v12, s[6:7]
	v_mad_u64_u32 v[4:5], null, s8, v9, v[2:3]
	s_add_u32 s20, s20, s34
	s_addc_u32 s21, s21, s35
	s_add_u32 s26, s26, s34
	s_addc_u32 s27, s27, s35
	s_load_dwordx2 s[20:21], s[20:21], 0x0
	s_load_dwordx2 s[26:27], s[26:27], 0x0
	v_mov_b32_e32 v2, v5
	v_mov_b32_e32 v5, v7
	v_add_co_u32 v4, vcc_lo, v4, s30
	s_lshl_b64 s[10:11], s[10:11], 1
	v_mad_u64_u32 v[7:8], null, s9, v9, v[2:3]
	v_mad_u64_u32 v[8:9], null, s23, v12, v[5:6]
	v_lshl_or_b32 v24, v12, 8, v13
	v_add_nc_u32_e32 v25, 0x400, v11
	v_mov_b32_e32 v2, v3
	v_mov_b32_e32 v9, v3
	v_add_co_ci_u32_e64 v5, null, s31, v7, vcc_lo
	v_add_co_u32 v6, vcc_lo, v6, v10
	v_add_co_ci_u32_e64 v7, null, 0, v8, vcc_lo
	v_lshlrev_b64 v[4:5], 1, v[4:5]
	s_waitcnt lgkmcnt(0)
	s_add_u32 s26, s26, s10
	s_addc_u32 s27, s27, s11
	v_lshlrev_b64 v[6:7], 1, v[6:7]
	s_lshl_b64 s[10:11], s[24:25], 1
	s_lshl_b64 s[8:9], s[8:9], 3
	s_add_u32 s10, s20, s10
	v_add_co_u32 v4, vcc_lo, s26, v4
	s_addc_u32 s11, s21, s11
	v_add_co_ci_u32_e64 v5, null, s27, v5, vcc_lo
	v_add_co_u32 v6, vcc_lo, s10, v6
	v_add_co_ci_u32_e64 v7, null, s11, v7, vcc_lo
	v_mov_b32_e32 v8, v3
	v_mov_b32_e32 v10, v3
	;; [unrolled: 1-line block ×8, first 2 shown]
	s_lshl_b64 s[10:11], s[22:23], 3
	s_mov_b64 s[20:21], 0
.LBB169_2:                              ; =>This Inner Loop Header: Depth=1
	flat_load_ushort v26, v[6:7]
	flat_load_ushort v27, v[4:5]
	s_add_u32 s20, s20, 4
	s_addc_u32 s21, s21, 0
	v_add_co_u32 v4, vcc_lo, v4, s8
	v_cmp_lt_i64_e64 s22, s[20:21], s[28:29]
	v_add_co_ci_u32_e64 v5, null, s9, v5, vcc_lo
	v_add_co_u32 v6, vcc_lo, v6, s10
	v_add_co_ci_u32_e64 v7, null, s11, v7, vcc_lo
	s_and_b32 vcc_lo, exec_lo, s22
	s_waitcnt vmcnt(1) lgkmcnt(1)
	v_lshlrev_b32_e32 v26, 16, v26
	s_waitcnt vmcnt(0) lgkmcnt(0)
	v_lshlrev_b32_e32 v27, 16, v27
	ds_write_b32 v24, v26
	ds_write_b32 v25, v27
	s_waitcnt lgkmcnt(0)
	s_barrier
	buffer_gl0_inv
	ds_read_b128 v[26:29], v23
	ds_read2_b32 v[42:43], v22 offset1:16
	ds_read2_b32 v[44:45], v22 offset0:32 offset1:48
	ds_read_b128 v[30:33], v23 offset:256
	ds_read_b128 v[34:37], v23 offset:512
	;; [unrolled: 1-line block ×3, first 2 shown]
	ds_read2_b32 v[46:47], v22 offset0:64 offset1:80
	ds_read2_b32 v[48:49], v22 offset0:96 offset1:112
	;; [unrolled: 1-line block ×6, first 2 shown]
	s_waitcnt lgkmcnt(0)
	s_barrier
	buffer_gl0_inv
	v_fmac_f32_e32 v18, v42, v26
	v_fmac_f32_e32 v21, v43, v26
	;; [unrolled: 1-line block ×64, first 2 shown]
	s_cbranch_vccnz .LBB169_2
.LBB169_3:
	s_load_dword s8, s[4:5], 0x50
	s_lshl_b64 s[10:11], s[2:3], 2
	s_load_dword s2, s[4:5], 0x18
	v_add_co_u32 v4, s4, s30, v1
	v_add_co_ci_u32_e64 v7, null, s31, 0, s4
	v_add_co_u32 v0, s4, s6, v0
	v_add_co_ci_u32_e64 v1, null, s7, 0, s4
	v_mul_lo_u32 v5, v7, s0
	v_mul_lo_u32 v6, v4, s1
	s_waitcnt lgkmcnt(0)
	s_add_u32 s3, s18, s10
	v_lshlrev_b64 v[0:1], 2, v[0:1]
	s_addc_u32 s4, s19, s11
	v_cmp_neq_f32_e64 s5, s8, 0
	s_and_b32 vcc_lo, exec_lo, s5
	s_mov_b32 s5, 0
	s_cbranch_vccnz .LBB169_7
; %bb.4:
	v_mad_u64_u32 v[22:23], null, v4, s0, 0
	s_lshl_b64 s[6:7], s[0:1], 6
	v_mul_f32_e32 v26, s2, v18
	v_mul_f32_e32 v27, s2, v21
	;; [unrolled: 1-line block ×5, first 2 shown]
	v_add3_u32 v23, v23, v6, v5
	v_mul_f32_e32 v31, s2, v16
	v_mul_f32_e32 v32, s2, v15
	;; [unrolled: 1-line block ×3, first 2 shown]
	v_lshlrev_b64 v[22:23], 2, v[22:23]
	v_add_co_u32 v22, vcc_lo, s3, v22
	v_add_co_ci_u32_e64 v23, null, s4, v23, vcc_lo
	v_add_co_u32 v34, vcc_lo, v22, s6
	v_add_co_ci_u32_e64 v35, null, s7, v23, vcc_lo
	;; [unrolled: 2-line block ×4, first 2 shown]
	flat_store_dword v[22:23], v26
	flat_store_dword v[22:23], v27 offset:64
	flat_store_dword v[22:23], v28 offset:128
	;; [unrolled: 1-line block ×3, first 2 shown]
	flat_store_dword v[24:25], v30
	flat_store_dword v[24:25], v31 offset:64
	v_add_co_u32 v26, vcc_lo, v34, s6
	v_add_co_ci_u32_e64 v27, null, s7, v35, vcc_lo
	v_mul_f32_e32 v28, s2, v13
	v_add_co_u32 v22, vcc_lo, v26, v0
	v_add_co_ci_u32_e64 v23, null, v27, v1, vcc_lo
	v_mul_f32_e32 v29, s2, v12
	v_mul_f32_e32 v30, s2, v11
	flat_store_dword v[24:25], v32 offset:128
	flat_store_dword v[24:25], v33 offset:192
	flat_store_dword v[22:23], v28
	flat_store_dword v[22:23], v29 offset:64
	flat_store_dword v[22:23], v30 offset:128
	v_add_co_u32 v24, vcc_lo, v26, s6
	v_add_co_ci_u32_e64 v25, null, s7, v27, vcc_lo
	v_mul_f32_e32 v28, s2, v10
	v_add_co_u32 v24, vcc_lo, v24, v0
	v_mul_f32_e32 v26, s2, v9
	v_add_co_ci_u32_e64 v25, null, v25, v1, vcc_lo
	v_mul_f32_e32 v27, s2, v8
	v_mul_f32_e32 v29, s2, v2
	;; [unrolled: 1-line block ×3, first 2 shown]
	flat_store_dword v[22:23], v28 offset:192
	flat_store_dword v[24:25], v26
	flat_store_dword v[24:25], v27 offset:64
	flat_store_dword v[24:25], v29 offset:128
	;; [unrolled: 1-line block ×3, first 2 shown]
	s_andn2_b32 vcc_lo, exec_lo, s5
	s_cbranch_vccnz .LBB169_6
.LBB169_5:
	v_mul_lo_u32 v7, v7, s14
	v_mul_lo_u32 v24, v4, s15
	v_mad_u64_u32 v[22:23], null, v4, s14, 0
	s_lshl_b64 s[6:7], s[16:17], 2
	s_add_u32 s5, s12, s6
	s_addc_u32 s6, s13, s7
	v_add3_u32 v23, v23, v24, v7
	v_mad_u64_u32 v[24:25], null, v4, s0, 0
	s_lshl_b64 s[0:1], s[0:1], 6
	v_lshlrev_b64 v[22:23], 2, v[22:23]
	v_add3_u32 v25, v25, v6, v5
	v_add_co_u32 v7, vcc_lo, s5, v22
	v_add_co_ci_u32_e64 v26, null, s6, v23, vcc_lo
	v_lshlrev_b64 v[4:5], 2, v[24:25]
	v_add_co_u32 v22, vcc_lo, v7, v0
	v_add_co_ci_u32_e64 v23, null, v26, v1, vcc_lo
	v_add_co_u32 v24, vcc_lo, s3, v4
	flat_load_dword v27, v[22:23]
	v_add_co_ci_u32_e64 v25, null, s4, v5, vcc_lo
	v_add_co_u32 v4, vcc_lo, v24, v0
	s_lshl_b64 s[4:5], s[14:15], 6
	v_add_co_ci_u32_e64 v5, null, v25, v1, vcc_lo
	s_waitcnt vmcnt(0) lgkmcnt(0)
	v_mul_f32_e32 v6, s8, v27
	v_fmac_f32_e32 v6, s2, v18
	flat_store_dword v[4:5], v6
	flat_load_dword v6, v[22:23] offset:64
	s_waitcnt vmcnt(0) lgkmcnt(0)
	v_mul_f32_e32 v6, s8, v6
	v_fmac_f32_e32 v6, s2, v21
	flat_store_dword v[4:5], v6 offset:64
	flat_load_dword v6, v[22:23] offset:128
	s_waitcnt vmcnt(0) lgkmcnt(0)
	v_mul_f32_e32 v6, s8, v6
	v_fmac_f32_e32 v6, s2, v20
	v_add_co_u32 v20, vcc_lo, v7, s4
	v_add_co_ci_u32_e64 v21, null, s5, v26, vcc_lo
	flat_store_dword v[4:5], v6 offset:128
	flat_load_dword v6, v[22:23] offset:192
	s_waitcnt vmcnt(0) lgkmcnt(0)
	v_mul_f32_e32 v18, s8, v6
	v_add_co_u32 v6, vcc_lo, v20, v0
	v_add_co_ci_u32_e64 v7, null, v21, v1, vcc_lo
	v_fmac_f32_e32 v18, s2, v19
	flat_store_dword v[4:5], v18 offset:192
	flat_load_dword v4, v[6:7]
	v_add_co_u32 v18, vcc_lo, v24, s0
	v_add_co_ci_u32_e64 v19, null, s1, v25, vcc_lo
	s_waitcnt vmcnt(0) lgkmcnt(0)
	v_mul_f32_e32 v22, s8, v4
	v_add_co_u32 v4, vcc_lo, v18, v0
	v_add_co_ci_u32_e64 v5, null, v19, v1, vcc_lo
	v_fmac_f32_e32 v22, s2, v17
	flat_store_dword v[4:5], v22
	flat_load_dword v17, v[6:7] offset:64
	s_waitcnt vmcnt(0) lgkmcnt(0)
	v_mul_f32_e32 v17, s8, v17
	v_fmac_f32_e32 v17, s2, v16
	flat_store_dword v[4:5], v17 offset:64
	flat_load_dword v16, v[6:7] offset:128
	s_waitcnt vmcnt(0) lgkmcnt(0)
	v_mul_f32_e32 v16, s8, v16
	v_fmac_f32_e32 v16, s2, v15
	flat_store_dword v[4:5], v16 offset:128
	flat_load_dword v6, v[6:7] offset:192
	v_add_co_u32 v16, vcc_lo, v20, s4
	v_add_co_ci_u32_e64 v17, null, s5, v21, vcc_lo
	s_waitcnt vmcnt(0) lgkmcnt(0)
	v_mul_f32_e32 v15, s8, v6
	v_add_co_u32 v6, vcc_lo, v16, v0
	v_add_co_ci_u32_e64 v7, null, v17, v1, vcc_lo
	v_fmac_f32_e32 v15, s2, v14
	v_add_co_u32 v14, vcc_lo, v18, s0
	flat_store_dword v[4:5], v15 offset:192
	flat_load_dword v4, v[6:7]
	v_add_co_ci_u32_e64 v15, null, s1, v19, vcc_lo
	s_waitcnt vmcnt(0) lgkmcnt(0)
	v_mul_f32_e32 v18, s8, v4
	v_add_co_u32 v4, vcc_lo, v14, v0
	v_add_co_ci_u32_e64 v5, null, v15, v1, vcc_lo
	v_fmac_f32_e32 v18, s2, v13
	flat_store_dword v[4:5], v18
	flat_load_dword v13, v[6:7] offset:64
	s_waitcnt vmcnt(0) lgkmcnt(0)
	v_mul_f32_e32 v13, s8, v13
	v_fmac_f32_e32 v13, s2, v12
	flat_store_dword v[4:5], v13 offset:64
	flat_load_dword v12, v[6:7] offset:128
	s_waitcnt vmcnt(0) lgkmcnt(0)
	v_mul_f32_e32 v12, s8, v12
	v_fmac_f32_e32 v12, s2, v11
	flat_store_dword v[4:5], v12 offset:128
	flat_load_dword v6, v[6:7] offset:192
	s_waitcnt vmcnt(0) lgkmcnt(0)
	v_mul_f32_e32 v11, s8, v6
	v_add_co_u32 v6, vcc_lo, v16, s4
	v_add_co_ci_u32_e64 v7, null, s5, v17, vcc_lo
	v_fmac_f32_e32 v11, s2, v10
	v_add_co_u32 v6, vcc_lo, v6, v0
	v_add_co_ci_u32_e64 v7, null, v7, v1, vcc_lo
	flat_store_dword v[4:5], v11 offset:192
	v_add_co_u32 v5, vcc_lo, v14, s0
	flat_load_dword v4, v[6:7]
	v_add_co_ci_u32_e64 v10, null, s1, v15, vcc_lo
	v_add_co_u32 v0, vcc_lo, v5, v0
	v_add_co_ci_u32_e64 v1, null, v10, v1, vcc_lo
	s_waitcnt vmcnt(0) lgkmcnt(0)
	v_mul_f32_e32 v4, s8, v4
	v_fmac_f32_e32 v4, s2, v9
	flat_store_dword v[0:1], v4
	flat_load_dword v4, v[6:7] offset:64
	s_waitcnt vmcnt(0) lgkmcnt(0)
	v_mul_f32_e32 v4, s8, v4
	v_fmac_f32_e32 v4, s2, v8
	flat_store_dword v[0:1], v4 offset:64
	flat_load_dword v4, v[6:7] offset:128
	s_waitcnt vmcnt(0) lgkmcnt(0)
	v_mul_f32_e32 v4, s8, v4
	v_fmac_f32_e32 v4, s2, v2
	flat_store_dword v[0:1], v4 offset:128
	;; [unrolled: 5-line block ×3, first 2 shown]
.LBB169_6:
	s_endpgm
.LBB169_7:
	s_branch .LBB169_5
	.section	.rodata,"a",@progbits
	.p2align	6, 0x0
	.amdhsa_kernel _ZN12_GLOBAL__N_127rocblas_gemm_batched_kernelIfLi16ELi16ELi64ELi64ELi4ELi64ELi4ELi4ELi64ELc78ELc84EKPK16rocblas_bfloat16KPKfKPfEEvlllT_PT11_llSC_llSA_PT12_llPT13_lli
		.amdhsa_group_segment_fixed_size 2048
		.amdhsa_private_segment_fixed_size 0
		.amdhsa_kernarg_size 140
		.amdhsa_user_sgpr_count 6
		.amdhsa_user_sgpr_private_segment_buffer 1
		.amdhsa_user_sgpr_dispatch_ptr 0
		.amdhsa_user_sgpr_queue_ptr 0
		.amdhsa_user_sgpr_kernarg_segment_ptr 1
		.amdhsa_user_sgpr_dispatch_id 0
		.amdhsa_user_sgpr_flat_scratch_init 0
		.amdhsa_user_sgpr_private_segment_size 0
		.amdhsa_wavefront_size32 1
		.amdhsa_uses_dynamic_stack 0
		.amdhsa_system_sgpr_private_segment_wavefront_offset 0
		.amdhsa_system_sgpr_workgroup_id_x 1
		.amdhsa_system_sgpr_workgroup_id_y 1
		.amdhsa_system_sgpr_workgroup_id_z 1
		.amdhsa_system_sgpr_workgroup_info 0
		.amdhsa_system_vgpr_workitem_id 1
		.amdhsa_next_free_vgpr 58
		.amdhsa_next_free_sgpr 36
		.amdhsa_reserve_vcc 1
		.amdhsa_reserve_flat_scratch 0
		.amdhsa_float_round_mode_32 0
		.amdhsa_float_round_mode_16_64 0
		.amdhsa_float_denorm_mode_32 3
		.amdhsa_float_denorm_mode_16_64 3
		.amdhsa_dx10_clamp 1
		.amdhsa_ieee_mode 1
		.amdhsa_fp16_overflow 0
		.amdhsa_workgroup_processor_mode 1
		.amdhsa_memory_ordered 1
		.amdhsa_forward_progress 1
		.amdhsa_shared_vgpr_count 0
		.amdhsa_exception_fp_ieee_invalid_op 0
		.amdhsa_exception_fp_denorm_src 0
		.amdhsa_exception_fp_ieee_div_zero 0
		.amdhsa_exception_fp_ieee_overflow 0
		.amdhsa_exception_fp_ieee_underflow 0
		.amdhsa_exception_fp_ieee_inexact 0
		.amdhsa_exception_int_div_zero 0
	.end_amdhsa_kernel
	.section	.text._ZN12_GLOBAL__N_127rocblas_gemm_batched_kernelIfLi16ELi16ELi64ELi64ELi4ELi64ELi4ELi4ELi64ELc78ELc84EKPK16rocblas_bfloat16KPKfKPfEEvlllT_PT11_llSC_llSA_PT12_llPT13_lli,"axG",@progbits,_ZN12_GLOBAL__N_127rocblas_gemm_batched_kernelIfLi16ELi16ELi64ELi64ELi4ELi64ELi4ELi4ELi64ELc78ELc84EKPK16rocblas_bfloat16KPKfKPfEEvlllT_PT11_llSC_llSA_PT12_llPT13_lli,comdat
.Lfunc_end169:
	.size	_ZN12_GLOBAL__N_127rocblas_gemm_batched_kernelIfLi16ELi16ELi64ELi64ELi4ELi64ELi4ELi4ELi64ELc78ELc84EKPK16rocblas_bfloat16KPKfKPfEEvlllT_PT11_llSC_llSA_PT12_llPT13_lli, .Lfunc_end169-_ZN12_GLOBAL__N_127rocblas_gemm_batched_kernelIfLi16ELi16ELi64ELi64ELi4ELi64ELi4ELi4ELi64ELc78ELc84EKPK16rocblas_bfloat16KPKfKPfEEvlllT_PT11_llSC_llSA_PT12_llPT13_lli
                                        ; -- End function
	.set _ZN12_GLOBAL__N_127rocblas_gemm_batched_kernelIfLi16ELi16ELi64ELi64ELi4ELi64ELi4ELi4ELi64ELc78ELc84EKPK16rocblas_bfloat16KPKfKPfEEvlllT_PT11_llSC_llSA_PT12_llPT13_lli.num_vgpr, 58
	.set _ZN12_GLOBAL__N_127rocblas_gemm_batched_kernelIfLi16ELi16ELi64ELi64ELi4ELi64ELi4ELi4ELi64ELc78ELc84EKPK16rocblas_bfloat16KPKfKPfEEvlllT_PT11_llSC_llSA_PT12_llPT13_lli.num_agpr, 0
	.set _ZN12_GLOBAL__N_127rocblas_gemm_batched_kernelIfLi16ELi16ELi64ELi64ELi4ELi64ELi4ELi4ELi64ELc78ELc84EKPK16rocblas_bfloat16KPKfKPfEEvlllT_PT11_llSC_llSA_PT12_llPT13_lli.numbered_sgpr, 36
	.set _ZN12_GLOBAL__N_127rocblas_gemm_batched_kernelIfLi16ELi16ELi64ELi64ELi4ELi64ELi4ELi4ELi64ELc78ELc84EKPK16rocblas_bfloat16KPKfKPfEEvlllT_PT11_llSC_llSA_PT12_llPT13_lli.num_named_barrier, 0
	.set _ZN12_GLOBAL__N_127rocblas_gemm_batched_kernelIfLi16ELi16ELi64ELi64ELi4ELi64ELi4ELi4ELi64ELc78ELc84EKPK16rocblas_bfloat16KPKfKPfEEvlllT_PT11_llSC_llSA_PT12_llPT13_lli.private_seg_size, 0
	.set _ZN12_GLOBAL__N_127rocblas_gemm_batched_kernelIfLi16ELi16ELi64ELi64ELi4ELi64ELi4ELi4ELi64ELc78ELc84EKPK16rocblas_bfloat16KPKfKPfEEvlllT_PT11_llSC_llSA_PT12_llPT13_lli.uses_vcc, 1
	.set _ZN12_GLOBAL__N_127rocblas_gemm_batched_kernelIfLi16ELi16ELi64ELi64ELi4ELi64ELi4ELi4ELi64ELc78ELc84EKPK16rocblas_bfloat16KPKfKPfEEvlllT_PT11_llSC_llSA_PT12_llPT13_lli.uses_flat_scratch, 0
	.set _ZN12_GLOBAL__N_127rocblas_gemm_batched_kernelIfLi16ELi16ELi64ELi64ELi4ELi64ELi4ELi4ELi64ELc78ELc84EKPK16rocblas_bfloat16KPKfKPfEEvlllT_PT11_llSC_llSA_PT12_llPT13_lli.has_dyn_sized_stack, 0
	.set _ZN12_GLOBAL__N_127rocblas_gemm_batched_kernelIfLi16ELi16ELi64ELi64ELi4ELi64ELi4ELi4ELi64ELc78ELc84EKPK16rocblas_bfloat16KPKfKPfEEvlllT_PT11_llSC_llSA_PT12_llPT13_lli.has_recursion, 0
	.set _ZN12_GLOBAL__N_127rocblas_gemm_batched_kernelIfLi16ELi16ELi64ELi64ELi4ELi64ELi4ELi4ELi64ELc78ELc84EKPK16rocblas_bfloat16KPKfKPfEEvlllT_PT11_llSC_llSA_PT12_llPT13_lli.has_indirect_call, 0
	.section	.AMDGPU.csdata,"",@progbits
; Kernel info:
; codeLenInByte = 2268
; TotalNumSgprs: 38
; NumVgprs: 58
; ScratchSize: 0
; MemoryBound: 0
; FloatMode: 240
; IeeeMode: 1
; LDSByteSize: 2048 bytes/workgroup (compile time only)
; SGPRBlocks: 0
; VGPRBlocks: 7
; NumSGPRsForWavesPerEU: 38
; NumVGPRsForWavesPerEU: 58
; Occupancy: 16
; WaveLimiterHint : 1
; COMPUTE_PGM_RSRC2:SCRATCH_EN: 0
; COMPUTE_PGM_RSRC2:USER_SGPR: 6
; COMPUTE_PGM_RSRC2:TRAP_HANDLER: 0
; COMPUTE_PGM_RSRC2:TGID_X_EN: 1
; COMPUTE_PGM_RSRC2:TGID_Y_EN: 1
; COMPUTE_PGM_RSRC2:TGID_Z_EN: 1
; COMPUTE_PGM_RSRC2:TIDIG_COMP_CNT: 1
	.section	.text._ZN12_GLOBAL__N_127rocblas_gemm_batched_kernelIfLi16ELi16ELi64ELi64ELi4ELi64ELi4ELi4ELi64ELc84ELc84EKPK16rocblas_bfloat16KPKfKPfEEvlllT_PT11_llSC_llSA_PT12_llPT13_lli,"axG",@progbits,_ZN12_GLOBAL__N_127rocblas_gemm_batched_kernelIfLi16ELi16ELi64ELi64ELi4ELi64ELi4ELi4ELi64ELc84ELc84EKPK16rocblas_bfloat16KPKfKPfEEvlllT_PT11_llSC_llSA_PT12_llPT13_lli,comdat
	.globl	_ZN12_GLOBAL__N_127rocblas_gemm_batched_kernelIfLi16ELi16ELi64ELi64ELi4ELi64ELi4ELi4ELi64ELc84ELc84EKPK16rocblas_bfloat16KPKfKPfEEvlllT_PT11_llSC_llSA_PT12_llPT13_lli ; -- Begin function _ZN12_GLOBAL__N_127rocblas_gemm_batched_kernelIfLi16ELi16ELi64ELi64ELi4ELi64ELi4ELi4ELi64ELc84ELc84EKPK16rocblas_bfloat16KPKfKPfEEvlllT_PT11_llSC_llSA_PT12_llPT13_lli
	.p2align	8
	.type	_ZN12_GLOBAL__N_127rocblas_gemm_batched_kernelIfLi16ELi16ELi64ELi64ELi4ELi64ELi4ELi4ELi64ELc84ELc84EKPK16rocblas_bfloat16KPKfKPfEEvlllT_PT11_llSC_llSA_PT12_llPT13_lli,@function
_ZN12_GLOBAL__N_127rocblas_gemm_batched_kernelIfLi16ELi16ELi64ELi64ELi4ELi64ELi4ELi4ELi64ELc84ELc84EKPK16rocblas_bfloat16KPKfKPfEEvlllT_PT11_llSC_llSA_PT12_llPT13_lli: ; @_ZN12_GLOBAL__N_127rocblas_gemm_batched_kernelIfLi16ELi16ELi64ELi64ELi4ELi64ELi4ELi4ELi64ELc84ELc84EKPK16rocblas_bfloat16KPKfKPfEEvlllT_PT11_llSC_llSA_PT12_llPT13_lli
; %bb.0:
	s_clause 0x1
	s_load_dwordx8 s[12:19], s[4:5], 0x58
	s_load_dwordx2 s[28:29], s[4:5], 0x10
	s_mov_b32 s9, 0
	s_load_dwordx4 s[0:3], s[4:5], 0x78
	s_lshl_b64 s[34:35], s[8:9], 3
	s_mov_b32 s10, s7
	v_mov_b32_e32 v18, 0
	v_mov_b32_e32 v21, 0
	v_mov_b32_e32 v20, 0
	v_mov_b32_e32 v19, 0
	v_mov_b32_e32 v17, 0
	v_mov_b32_e32 v16, 0
	v_mov_b32_e32 v15, 0
	v_mov_b32_e32 v14, 0
	v_mov_b32_e32 v13, 0
	v_mov_b32_e32 v12, 0
	v_mov_b32_e32 v11, 0
	v_mov_b32_e32 v10, 0
	v_mov_b32_e32 v9, 0
	v_mov_b32_e32 v8, 0
	s_waitcnt lgkmcnt(0)
	s_add_u32 s8, s12, s34
	s_addc_u32 s9, s13, s35
	s_add_u32 s18, s18, s34
	s_addc_u32 s19, s19, s35
	s_load_dwordx2 s[12:13], s[8:9], 0x0
	s_load_dwordx2 s[18:19], s[18:19], 0x0
	v_cmp_lt_i64_e64 s20, s[28:29], 1
	v_mov_b32_e32 v2, 0
	v_mov_b32_e32 v3, 0
	s_ashr_i32 s7, s6, 31
	s_ashr_i32 s11, s10, 31
	s_lshl_b64 s[6:7], s[6:7], 6
	s_and_b32 vcc_lo, exec_lo, s20
	s_lshl_b64 s[30:31], s[10:11], 6
	s_cbranch_vccnz .LBB170_3
; %bb.1:
	s_clause 0x1
	s_load_dwordx8 s[20:27], s[4:5], 0x20
	s_load_dwordx4 s[8:11], s[4:5], 0x40
	v_lshlrev_b32_e32 v8, 4, v1
	v_and_b32_e32 v10, 3, v0
	v_mov_b32_e32 v3, 0
	v_lshlrev_b32_e32 v22, 2, v0
	v_add_nc_u32_e32 v9, v8, v0
	v_lshlrev_b32_e32 v12, 2, v10
	v_add_nc_u32_e32 v23, 0x400, v8
	v_mov_b32_e32 v16, v3
	v_mov_b32_e32 v17, v3
	v_and_b32_e32 v11, 63, v9
	v_lshrrev_b32_e32 v2, 2, v9
	v_lshrrev_b32_e32 v9, 6, v9
	v_mov_b32_e32 v19, v3
	v_mov_b32_e32 v20, v3
	v_add_co_u32 v6, s33, s6, v11
	v_add_co_ci_u32_e64 v7, null, s7, 0, s33
	s_waitcnt lgkmcnt(0)
	s_add_u32 s20, s20, s34
	s_addc_u32 s21, s21, s35
	s_add_u32 s26, s26, s34
	s_addc_u32 s27, s27, s35
	v_mad_u64_u32 v[4:5], null, s8, v10, v[2:3]
	s_load_dwordx2 s[26:27], s[26:27], 0x0
	v_mul_lo_u32 v13, s23, v6
	v_mul_lo_u32 v14, s22, v7
	v_mad_u64_u32 v[6:7], null, s22, v6, 0
	v_lshlrev_b32_e32 v11, 2, v11
	v_lshl_or_b32 v12, v2, 4, v12
	v_mov_b32_e32 v2, v5
	v_lshlrev_b32_e32 v15, 1, v9
	s_load_dwordx2 s[20:21], s[20:21], 0x0
	v_lshl_or_b32 v24, v9, 8, v11
	v_add3_u32 v7, v7, v14, v13
	v_mad_u64_u32 v[8:9], null, s9, v10, v[2:3]
	s_lshl_b64 s[10:11], s[10:11], 1
	v_add_nc_u32_e32 v25, 0x400, v12
	v_lshlrev_b64 v[5:6], 1, v[6:7]
	v_add_co_u32 v7, vcc_lo, v4, s30
	v_mov_b32_e32 v9, v3
	v_add_co_ci_u32_e64 v8, null, s31, v8, vcc_lo
	s_waitcnt lgkmcnt(0)
	s_add_u32 s22, s26, s10
	s_addc_u32 s23, s27, s11
	s_lshl_b64 s[10:11], s[24:25], 1
	v_mov_b32_e32 v10, v3
	v_add_co_u32 v2, vcc_lo, v5, s10
	v_add_co_ci_u32_e64 v6, null, s11, v6, vcc_lo
	v_lshlrev_b64 v[4:5], 1, v[7:8]
	v_add_co_u32 v2, vcc_lo, v2, v15
	v_add_co_ci_u32_e64 v7, null, 0, v6, vcc_lo
	v_mov_b32_e32 v8, v3
	v_add_co_u32 v4, vcc_lo, s22, v4
	v_add_co_ci_u32_e64 v5, null, s23, v5, vcc_lo
	v_add_co_u32 v6, vcc_lo, s20, v2
	v_add_co_ci_u32_e64 v7, null, s21, v7, vcc_lo
	v_mov_b32_e32 v2, v3
	v_mov_b32_e32 v11, v3
	v_mov_b32_e32 v12, v3
	v_mov_b32_e32 v13, v3
	v_mov_b32_e32 v14, v3
	v_mov_b32_e32 v15, v3
	v_mov_b32_e32 v21, v3
	v_mov_b32_e32 v18, v3
	s_lshl_b64 s[8:9], s[8:9], 3
	s_mov_b64 s[10:11], 0
.LBB170_2:                              ; =>This Inner Loop Header: Depth=1
	flat_load_ushort v26, v[6:7]
	flat_load_ushort v27, v[4:5]
	s_add_u32 s10, s10, 4
	s_addc_u32 s11, s11, 0
	v_add_co_u32 v4, vcc_lo, v4, s8
	v_cmp_lt_i64_e64 s20, s[10:11], s[28:29]
	v_add_co_ci_u32_e64 v5, null, s9, v5, vcc_lo
	v_add_co_u32 v6, vcc_lo, v6, 8
	v_add_co_ci_u32_e64 v7, null, 0, v7, vcc_lo
	s_and_b32 vcc_lo, exec_lo, s20
	s_waitcnt vmcnt(1) lgkmcnt(1)
	v_lshlrev_b32_e32 v26, 16, v26
	s_waitcnt vmcnt(0) lgkmcnt(0)
	v_lshlrev_b32_e32 v27, 16, v27
	ds_write_b32 v24, v26
	ds_write_b32 v25, v27
	s_waitcnt lgkmcnt(0)
	s_barrier
	buffer_gl0_inv
	ds_read_b128 v[26:29], v23
	ds_read2_b32 v[42:43], v22 offset1:16
	ds_read2_b32 v[44:45], v22 offset0:32 offset1:48
	ds_read_b128 v[30:33], v23 offset:256
	ds_read_b128 v[34:37], v23 offset:512
	ds_read_b128 v[38:41], v23 offset:768
	ds_read2_b32 v[46:47], v22 offset0:64 offset1:80
	ds_read2_b32 v[48:49], v22 offset0:96 offset1:112
	;; [unrolled: 1-line block ×6, first 2 shown]
	s_waitcnt lgkmcnt(0)
	s_barrier
	buffer_gl0_inv
	v_fmac_f32_e32 v18, v42, v26
	v_fmac_f32_e32 v21, v43, v26
	;; [unrolled: 1-line block ×64, first 2 shown]
	s_cbranch_vccnz .LBB170_2
.LBB170_3:
	s_load_dword s8, s[4:5], 0x50
	s_lshl_b64 s[10:11], s[2:3], 2
	s_load_dword s2, s[4:5], 0x18
	v_add_co_u32 v4, s4, s30, v1
	v_add_co_ci_u32_e64 v7, null, s31, 0, s4
	v_add_co_u32 v0, s4, s6, v0
	v_add_co_ci_u32_e64 v1, null, s7, 0, s4
	v_mul_lo_u32 v5, v7, s0
	v_mul_lo_u32 v6, v4, s1
	s_waitcnt lgkmcnt(0)
	s_add_u32 s3, s18, s10
	v_lshlrev_b64 v[0:1], 2, v[0:1]
	s_addc_u32 s4, s19, s11
	v_cmp_neq_f32_e64 s5, s8, 0
	s_and_b32 vcc_lo, exec_lo, s5
	s_mov_b32 s5, 0
	s_cbranch_vccnz .LBB170_7
; %bb.4:
	v_mad_u64_u32 v[22:23], null, v4, s0, 0
	s_lshl_b64 s[6:7], s[0:1], 6
	v_mul_f32_e32 v26, s2, v18
	v_mul_f32_e32 v27, s2, v21
	;; [unrolled: 1-line block ×5, first 2 shown]
	v_add3_u32 v23, v23, v6, v5
	v_mul_f32_e32 v31, s2, v16
	v_mul_f32_e32 v32, s2, v15
	;; [unrolled: 1-line block ×3, first 2 shown]
	v_lshlrev_b64 v[22:23], 2, v[22:23]
	v_add_co_u32 v22, vcc_lo, s3, v22
	v_add_co_ci_u32_e64 v23, null, s4, v23, vcc_lo
	v_add_co_u32 v34, vcc_lo, v22, s6
	v_add_co_ci_u32_e64 v35, null, s7, v23, vcc_lo
	v_add_co_u32 v22, vcc_lo, v22, v0
	v_add_co_ci_u32_e64 v23, null, v23, v1, vcc_lo
	v_add_co_u32 v24, vcc_lo, v34, v0
	v_add_co_ci_u32_e64 v25, null, v35, v1, vcc_lo
	flat_store_dword v[22:23], v26
	flat_store_dword v[22:23], v27 offset:64
	flat_store_dword v[22:23], v28 offset:128
	flat_store_dword v[22:23], v29 offset:192
	flat_store_dword v[24:25], v30
	flat_store_dword v[24:25], v31 offset:64
	v_add_co_u32 v26, vcc_lo, v34, s6
	v_add_co_ci_u32_e64 v27, null, s7, v35, vcc_lo
	v_mul_f32_e32 v28, s2, v13
	v_add_co_u32 v22, vcc_lo, v26, v0
	v_add_co_ci_u32_e64 v23, null, v27, v1, vcc_lo
	v_mul_f32_e32 v29, s2, v12
	v_mul_f32_e32 v30, s2, v11
	flat_store_dword v[24:25], v32 offset:128
	flat_store_dword v[24:25], v33 offset:192
	flat_store_dword v[22:23], v28
	flat_store_dword v[22:23], v29 offset:64
	flat_store_dword v[22:23], v30 offset:128
	v_add_co_u32 v24, vcc_lo, v26, s6
	v_add_co_ci_u32_e64 v25, null, s7, v27, vcc_lo
	v_mul_f32_e32 v28, s2, v10
	v_add_co_u32 v24, vcc_lo, v24, v0
	v_mul_f32_e32 v26, s2, v9
	v_add_co_ci_u32_e64 v25, null, v25, v1, vcc_lo
	v_mul_f32_e32 v27, s2, v8
	v_mul_f32_e32 v29, s2, v2
	v_mul_f32_e32 v30, s2, v3
	flat_store_dword v[22:23], v28 offset:192
	flat_store_dword v[24:25], v26
	flat_store_dword v[24:25], v27 offset:64
	flat_store_dword v[24:25], v29 offset:128
	;; [unrolled: 1-line block ×3, first 2 shown]
	s_andn2_b32 vcc_lo, exec_lo, s5
	s_cbranch_vccnz .LBB170_6
.LBB170_5:
	v_mul_lo_u32 v7, v7, s14
	v_mul_lo_u32 v24, v4, s15
	v_mad_u64_u32 v[22:23], null, v4, s14, 0
	s_lshl_b64 s[6:7], s[16:17], 2
	s_add_u32 s5, s12, s6
	s_addc_u32 s6, s13, s7
	v_add3_u32 v23, v23, v24, v7
	v_mad_u64_u32 v[24:25], null, v4, s0, 0
	s_lshl_b64 s[0:1], s[0:1], 6
	v_lshlrev_b64 v[22:23], 2, v[22:23]
	v_add3_u32 v25, v25, v6, v5
	v_add_co_u32 v7, vcc_lo, s5, v22
	v_add_co_ci_u32_e64 v26, null, s6, v23, vcc_lo
	v_lshlrev_b64 v[4:5], 2, v[24:25]
	v_add_co_u32 v22, vcc_lo, v7, v0
	v_add_co_ci_u32_e64 v23, null, v26, v1, vcc_lo
	v_add_co_u32 v24, vcc_lo, s3, v4
	flat_load_dword v27, v[22:23]
	v_add_co_ci_u32_e64 v25, null, s4, v5, vcc_lo
	v_add_co_u32 v4, vcc_lo, v24, v0
	s_lshl_b64 s[4:5], s[14:15], 6
	v_add_co_ci_u32_e64 v5, null, v25, v1, vcc_lo
	s_waitcnt vmcnt(0) lgkmcnt(0)
	v_mul_f32_e32 v6, s8, v27
	v_fmac_f32_e32 v6, s2, v18
	flat_store_dword v[4:5], v6
	flat_load_dword v6, v[22:23] offset:64
	s_waitcnt vmcnt(0) lgkmcnt(0)
	v_mul_f32_e32 v6, s8, v6
	v_fmac_f32_e32 v6, s2, v21
	flat_store_dword v[4:5], v6 offset:64
	flat_load_dword v6, v[22:23] offset:128
	s_waitcnt vmcnt(0) lgkmcnt(0)
	v_mul_f32_e32 v6, s8, v6
	v_fmac_f32_e32 v6, s2, v20
	v_add_co_u32 v20, vcc_lo, v7, s4
	v_add_co_ci_u32_e64 v21, null, s5, v26, vcc_lo
	flat_store_dword v[4:5], v6 offset:128
	flat_load_dword v6, v[22:23] offset:192
	s_waitcnt vmcnt(0) lgkmcnt(0)
	v_mul_f32_e32 v18, s8, v6
	v_add_co_u32 v6, vcc_lo, v20, v0
	v_add_co_ci_u32_e64 v7, null, v21, v1, vcc_lo
	v_fmac_f32_e32 v18, s2, v19
	flat_store_dword v[4:5], v18 offset:192
	flat_load_dword v4, v[6:7]
	v_add_co_u32 v18, vcc_lo, v24, s0
	v_add_co_ci_u32_e64 v19, null, s1, v25, vcc_lo
	s_waitcnt vmcnt(0) lgkmcnt(0)
	v_mul_f32_e32 v22, s8, v4
	v_add_co_u32 v4, vcc_lo, v18, v0
	v_add_co_ci_u32_e64 v5, null, v19, v1, vcc_lo
	v_fmac_f32_e32 v22, s2, v17
	flat_store_dword v[4:5], v22
	flat_load_dword v17, v[6:7] offset:64
	s_waitcnt vmcnt(0) lgkmcnt(0)
	v_mul_f32_e32 v17, s8, v17
	v_fmac_f32_e32 v17, s2, v16
	flat_store_dword v[4:5], v17 offset:64
	flat_load_dword v16, v[6:7] offset:128
	s_waitcnt vmcnt(0) lgkmcnt(0)
	v_mul_f32_e32 v16, s8, v16
	v_fmac_f32_e32 v16, s2, v15
	flat_store_dword v[4:5], v16 offset:128
	flat_load_dword v6, v[6:7] offset:192
	v_add_co_u32 v16, vcc_lo, v20, s4
	v_add_co_ci_u32_e64 v17, null, s5, v21, vcc_lo
	s_waitcnt vmcnt(0) lgkmcnt(0)
	v_mul_f32_e32 v15, s8, v6
	v_add_co_u32 v6, vcc_lo, v16, v0
	v_add_co_ci_u32_e64 v7, null, v17, v1, vcc_lo
	v_fmac_f32_e32 v15, s2, v14
	v_add_co_u32 v14, vcc_lo, v18, s0
	flat_store_dword v[4:5], v15 offset:192
	flat_load_dword v4, v[6:7]
	v_add_co_ci_u32_e64 v15, null, s1, v19, vcc_lo
	s_waitcnt vmcnt(0) lgkmcnt(0)
	v_mul_f32_e32 v18, s8, v4
	v_add_co_u32 v4, vcc_lo, v14, v0
	v_add_co_ci_u32_e64 v5, null, v15, v1, vcc_lo
	v_fmac_f32_e32 v18, s2, v13
	flat_store_dword v[4:5], v18
	flat_load_dword v13, v[6:7] offset:64
	s_waitcnt vmcnt(0) lgkmcnt(0)
	v_mul_f32_e32 v13, s8, v13
	v_fmac_f32_e32 v13, s2, v12
	flat_store_dword v[4:5], v13 offset:64
	flat_load_dword v12, v[6:7] offset:128
	s_waitcnt vmcnt(0) lgkmcnt(0)
	v_mul_f32_e32 v12, s8, v12
	v_fmac_f32_e32 v12, s2, v11
	flat_store_dword v[4:5], v12 offset:128
	flat_load_dword v6, v[6:7] offset:192
	s_waitcnt vmcnt(0) lgkmcnt(0)
	v_mul_f32_e32 v11, s8, v6
	v_add_co_u32 v6, vcc_lo, v16, s4
	v_add_co_ci_u32_e64 v7, null, s5, v17, vcc_lo
	v_fmac_f32_e32 v11, s2, v10
	v_add_co_u32 v6, vcc_lo, v6, v0
	v_add_co_ci_u32_e64 v7, null, v7, v1, vcc_lo
	flat_store_dword v[4:5], v11 offset:192
	v_add_co_u32 v5, vcc_lo, v14, s0
	flat_load_dword v4, v[6:7]
	v_add_co_ci_u32_e64 v10, null, s1, v15, vcc_lo
	v_add_co_u32 v0, vcc_lo, v5, v0
	v_add_co_ci_u32_e64 v1, null, v10, v1, vcc_lo
	s_waitcnt vmcnt(0) lgkmcnt(0)
	v_mul_f32_e32 v4, s8, v4
	v_fmac_f32_e32 v4, s2, v9
	flat_store_dword v[0:1], v4
	flat_load_dword v4, v[6:7] offset:64
	s_waitcnt vmcnt(0) lgkmcnt(0)
	v_mul_f32_e32 v4, s8, v4
	v_fmac_f32_e32 v4, s2, v8
	flat_store_dword v[0:1], v4 offset:64
	flat_load_dword v4, v[6:7] offset:128
	s_waitcnt vmcnt(0) lgkmcnt(0)
	v_mul_f32_e32 v4, s8, v4
	v_fmac_f32_e32 v4, s2, v2
	flat_store_dword v[0:1], v4 offset:128
	;; [unrolled: 5-line block ×3, first 2 shown]
.LBB170_6:
	s_endpgm
.LBB170_7:
	s_branch .LBB170_5
	.section	.rodata,"a",@progbits
	.p2align	6, 0x0
	.amdhsa_kernel _ZN12_GLOBAL__N_127rocblas_gemm_batched_kernelIfLi16ELi16ELi64ELi64ELi4ELi64ELi4ELi4ELi64ELc84ELc84EKPK16rocblas_bfloat16KPKfKPfEEvlllT_PT11_llSC_llSA_PT12_llPT13_lli
		.amdhsa_group_segment_fixed_size 2048
		.amdhsa_private_segment_fixed_size 0
		.amdhsa_kernarg_size 140
		.amdhsa_user_sgpr_count 6
		.amdhsa_user_sgpr_private_segment_buffer 1
		.amdhsa_user_sgpr_dispatch_ptr 0
		.amdhsa_user_sgpr_queue_ptr 0
		.amdhsa_user_sgpr_kernarg_segment_ptr 1
		.amdhsa_user_sgpr_dispatch_id 0
		.amdhsa_user_sgpr_flat_scratch_init 0
		.amdhsa_user_sgpr_private_segment_size 0
		.amdhsa_wavefront_size32 1
		.amdhsa_uses_dynamic_stack 0
		.amdhsa_system_sgpr_private_segment_wavefront_offset 0
		.amdhsa_system_sgpr_workgroup_id_x 1
		.amdhsa_system_sgpr_workgroup_id_y 1
		.amdhsa_system_sgpr_workgroup_id_z 1
		.amdhsa_system_sgpr_workgroup_info 0
		.amdhsa_system_vgpr_workitem_id 1
		.amdhsa_next_free_vgpr 58
		.amdhsa_next_free_sgpr 36
		.amdhsa_reserve_vcc 1
		.amdhsa_reserve_flat_scratch 0
		.amdhsa_float_round_mode_32 0
		.amdhsa_float_round_mode_16_64 0
		.amdhsa_float_denorm_mode_32 3
		.amdhsa_float_denorm_mode_16_64 3
		.amdhsa_dx10_clamp 1
		.amdhsa_ieee_mode 1
		.amdhsa_fp16_overflow 0
		.amdhsa_workgroup_processor_mode 1
		.amdhsa_memory_ordered 1
		.amdhsa_forward_progress 1
		.amdhsa_shared_vgpr_count 0
		.amdhsa_exception_fp_ieee_invalid_op 0
		.amdhsa_exception_fp_denorm_src 0
		.amdhsa_exception_fp_ieee_div_zero 0
		.amdhsa_exception_fp_ieee_overflow 0
		.amdhsa_exception_fp_ieee_underflow 0
		.amdhsa_exception_fp_ieee_inexact 0
		.amdhsa_exception_int_div_zero 0
	.end_amdhsa_kernel
	.section	.text._ZN12_GLOBAL__N_127rocblas_gemm_batched_kernelIfLi16ELi16ELi64ELi64ELi4ELi64ELi4ELi4ELi64ELc84ELc84EKPK16rocblas_bfloat16KPKfKPfEEvlllT_PT11_llSC_llSA_PT12_llPT13_lli,"axG",@progbits,_ZN12_GLOBAL__N_127rocblas_gemm_batched_kernelIfLi16ELi16ELi64ELi64ELi4ELi64ELi4ELi4ELi64ELc84ELc84EKPK16rocblas_bfloat16KPKfKPfEEvlllT_PT11_llSC_llSA_PT12_llPT13_lli,comdat
.Lfunc_end170:
	.size	_ZN12_GLOBAL__N_127rocblas_gemm_batched_kernelIfLi16ELi16ELi64ELi64ELi4ELi64ELi4ELi4ELi64ELc84ELc84EKPK16rocblas_bfloat16KPKfKPfEEvlllT_PT11_llSC_llSA_PT12_llPT13_lli, .Lfunc_end170-_ZN12_GLOBAL__N_127rocblas_gemm_batched_kernelIfLi16ELi16ELi64ELi64ELi4ELi64ELi4ELi4ELi64ELc84ELc84EKPK16rocblas_bfloat16KPKfKPfEEvlllT_PT11_llSC_llSA_PT12_llPT13_lli
                                        ; -- End function
	.set _ZN12_GLOBAL__N_127rocblas_gemm_batched_kernelIfLi16ELi16ELi64ELi64ELi4ELi64ELi4ELi4ELi64ELc84ELc84EKPK16rocblas_bfloat16KPKfKPfEEvlllT_PT11_llSC_llSA_PT12_llPT13_lli.num_vgpr, 58
	.set _ZN12_GLOBAL__N_127rocblas_gemm_batched_kernelIfLi16ELi16ELi64ELi64ELi4ELi64ELi4ELi4ELi64ELc84ELc84EKPK16rocblas_bfloat16KPKfKPfEEvlllT_PT11_llSC_llSA_PT12_llPT13_lli.num_agpr, 0
	.set _ZN12_GLOBAL__N_127rocblas_gemm_batched_kernelIfLi16ELi16ELi64ELi64ELi4ELi64ELi4ELi4ELi64ELc84ELc84EKPK16rocblas_bfloat16KPKfKPfEEvlllT_PT11_llSC_llSA_PT12_llPT13_lli.numbered_sgpr, 36
	.set _ZN12_GLOBAL__N_127rocblas_gemm_batched_kernelIfLi16ELi16ELi64ELi64ELi4ELi64ELi4ELi4ELi64ELc84ELc84EKPK16rocblas_bfloat16KPKfKPfEEvlllT_PT11_llSC_llSA_PT12_llPT13_lli.num_named_barrier, 0
	.set _ZN12_GLOBAL__N_127rocblas_gemm_batched_kernelIfLi16ELi16ELi64ELi64ELi4ELi64ELi4ELi4ELi64ELc84ELc84EKPK16rocblas_bfloat16KPKfKPfEEvlllT_PT11_llSC_llSA_PT12_llPT13_lli.private_seg_size, 0
	.set _ZN12_GLOBAL__N_127rocblas_gemm_batched_kernelIfLi16ELi16ELi64ELi64ELi4ELi64ELi4ELi4ELi64ELc84ELc84EKPK16rocblas_bfloat16KPKfKPfEEvlllT_PT11_llSC_llSA_PT12_llPT13_lli.uses_vcc, 1
	.set _ZN12_GLOBAL__N_127rocblas_gemm_batched_kernelIfLi16ELi16ELi64ELi64ELi4ELi64ELi4ELi4ELi64ELc84ELc84EKPK16rocblas_bfloat16KPKfKPfEEvlllT_PT11_llSC_llSA_PT12_llPT13_lli.uses_flat_scratch, 0
	.set _ZN12_GLOBAL__N_127rocblas_gemm_batched_kernelIfLi16ELi16ELi64ELi64ELi4ELi64ELi4ELi4ELi64ELc84ELc84EKPK16rocblas_bfloat16KPKfKPfEEvlllT_PT11_llSC_llSA_PT12_llPT13_lli.has_dyn_sized_stack, 0
	.set _ZN12_GLOBAL__N_127rocblas_gemm_batched_kernelIfLi16ELi16ELi64ELi64ELi4ELi64ELi4ELi4ELi64ELc84ELc84EKPK16rocblas_bfloat16KPKfKPfEEvlllT_PT11_llSC_llSA_PT12_llPT13_lli.has_recursion, 0
	.set _ZN12_GLOBAL__N_127rocblas_gemm_batched_kernelIfLi16ELi16ELi64ELi64ELi4ELi64ELi4ELi4ELi64ELc84ELc84EKPK16rocblas_bfloat16KPKfKPfEEvlllT_PT11_llSC_llSA_PT12_llPT13_lli.has_indirect_call, 0
	.section	.AMDGPU.csdata,"",@progbits
; Kernel info:
; codeLenInByte = 2304
; TotalNumSgprs: 38
; NumVgprs: 58
; ScratchSize: 0
; MemoryBound: 0
; FloatMode: 240
; IeeeMode: 1
; LDSByteSize: 2048 bytes/workgroup (compile time only)
; SGPRBlocks: 0
; VGPRBlocks: 7
; NumSGPRsForWavesPerEU: 38
; NumVGPRsForWavesPerEU: 58
; Occupancy: 16
; WaveLimiterHint : 1
; COMPUTE_PGM_RSRC2:SCRATCH_EN: 0
; COMPUTE_PGM_RSRC2:USER_SGPR: 6
; COMPUTE_PGM_RSRC2:TRAP_HANDLER: 0
; COMPUTE_PGM_RSRC2:TGID_X_EN: 1
; COMPUTE_PGM_RSRC2:TGID_Y_EN: 1
; COMPUTE_PGM_RSRC2:TGID_Z_EN: 1
; COMPUTE_PGM_RSRC2:TIDIG_COMP_CNT: 1
	.section	.text._ZN12_GLOBAL__N_127rocblas_gemm_batched_kernelIfLi16ELi16ELi64ELi64ELi4ELi64ELi4ELi4ELi64ELc67ELc67EKPK16rocblas_bfloat16KPKfKPfEEvlllT_PT11_llSC_llSA_PT12_llPT13_lli,"axG",@progbits,_ZN12_GLOBAL__N_127rocblas_gemm_batched_kernelIfLi16ELi16ELi64ELi64ELi4ELi64ELi4ELi4ELi64ELc67ELc67EKPK16rocblas_bfloat16KPKfKPfEEvlllT_PT11_llSC_llSA_PT12_llPT13_lli,comdat
	.globl	_ZN12_GLOBAL__N_127rocblas_gemm_batched_kernelIfLi16ELi16ELi64ELi64ELi4ELi64ELi4ELi4ELi64ELc67ELc67EKPK16rocblas_bfloat16KPKfKPfEEvlllT_PT11_llSC_llSA_PT12_llPT13_lli ; -- Begin function _ZN12_GLOBAL__N_127rocblas_gemm_batched_kernelIfLi16ELi16ELi64ELi64ELi4ELi64ELi4ELi4ELi64ELc67ELc67EKPK16rocblas_bfloat16KPKfKPfEEvlllT_PT11_llSC_llSA_PT12_llPT13_lli
	.p2align	8
	.type	_ZN12_GLOBAL__N_127rocblas_gemm_batched_kernelIfLi16ELi16ELi64ELi64ELi4ELi64ELi4ELi4ELi64ELc67ELc67EKPK16rocblas_bfloat16KPKfKPfEEvlllT_PT11_llSC_llSA_PT12_llPT13_lli,@function
_ZN12_GLOBAL__N_127rocblas_gemm_batched_kernelIfLi16ELi16ELi64ELi64ELi4ELi64ELi4ELi4ELi64ELc67ELc67EKPK16rocblas_bfloat16KPKfKPfEEvlllT_PT11_llSC_llSA_PT12_llPT13_lli: ; @_ZN12_GLOBAL__N_127rocblas_gemm_batched_kernelIfLi16ELi16ELi64ELi64ELi4ELi64ELi4ELi4ELi64ELc67ELc67EKPK16rocblas_bfloat16KPKfKPfEEvlllT_PT11_llSC_llSA_PT12_llPT13_lli
; %bb.0:
	s_clause 0x1
	s_load_dwordx8 s[12:19], s[4:5], 0x58
	s_load_dwordx2 s[28:29], s[4:5], 0x10
	s_mov_b32 s9, 0
	s_load_dwordx4 s[0:3], s[4:5], 0x78
	s_lshl_b64 s[34:35], s[8:9], 3
	s_mov_b32 s10, s7
	v_mov_b32_e32 v18, 0
	v_mov_b32_e32 v21, 0
	;; [unrolled: 1-line block ×14, first 2 shown]
	s_waitcnt lgkmcnt(0)
	s_add_u32 s8, s12, s34
	s_addc_u32 s9, s13, s35
	s_add_u32 s18, s18, s34
	s_addc_u32 s19, s19, s35
	s_load_dwordx2 s[12:13], s[8:9], 0x0
	s_load_dwordx2 s[18:19], s[18:19], 0x0
	v_cmp_lt_i64_e64 s20, s[28:29], 1
	v_mov_b32_e32 v2, 0
	v_mov_b32_e32 v3, 0
	s_ashr_i32 s7, s6, 31
	s_ashr_i32 s11, s10, 31
	s_lshl_b64 s[6:7], s[6:7], 6
	s_and_b32 vcc_lo, exec_lo, s20
	s_lshl_b64 s[30:31], s[10:11], 6
	s_cbranch_vccnz .LBB171_3
; %bb.1:
	s_clause 0x1
	s_load_dwordx8 s[20:27], s[4:5], 0x20
	s_load_dwordx4 s[8:11], s[4:5], 0x40
	v_lshlrev_b32_e32 v8, 4, v1
	v_and_b32_e32 v10, 3, v0
	v_mov_b32_e32 v3, 0
	v_lshlrev_b32_e32 v22, 2, v0
	v_add_nc_u32_e32 v9, v8, v0
	v_lshlrev_b32_e32 v12, 2, v10
	v_add_nc_u32_e32 v23, 0x400, v8
	v_mov_b32_e32 v16, v3
	v_mov_b32_e32 v17, v3
	v_and_b32_e32 v11, 63, v9
	v_lshrrev_b32_e32 v2, 2, v9
	v_lshrrev_b32_e32 v9, 6, v9
	v_mov_b32_e32 v19, v3
	v_mov_b32_e32 v20, v3
	v_add_co_u32 v6, s33, s6, v11
	v_add_co_ci_u32_e64 v7, null, s7, 0, s33
	s_waitcnt lgkmcnt(0)
	s_add_u32 s20, s20, s34
	s_addc_u32 s21, s21, s35
	s_add_u32 s26, s26, s34
	s_addc_u32 s27, s27, s35
	v_mad_u64_u32 v[4:5], null, s8, v10, v[2:3]
	s_load_dwordx2 s[26:27], s[26:27], 0x0
	v_mul_lo_u32 v13, s23, v6
	v_mul_lo_u32 v14, s22, v7
	v_mad_u64_u32 v[6:7], null, s22, v6, 0
	v_lshlrev_b32_e32 v11, 2, v11
	v_lshl_or_b32 v12, v2, 4, v12
	v_mov_b32_e32 v2, v5
	v_lshlrev_b32_e32 v15, 1, v9
	s_load_dwordx2 s[20:21], s[20:21], 0x0
	v_lshl_or_b32 v24, v9, 8, v11
	v_add3_u32 v7, v7, v14, v13
	v_mad_u64_u32 v[8:9], null, s9, v10, v[2:3]
	s_lshl_b64 s[10:11], s[10:11], 1
	v_add_nc_u32_e32 v25, 0x400, v12
	v_lshlrev_b64 v[5:6], 1, v[6:7]
	v_add_co_u32 v7, vcc_lo, v4, s30
	v_mov_b32_e32 v9, v3
	v_add_co_ci_u32_e64 v8, null, s31, v8, vcc_lo
	s_waitcnt lgkmcnt(0)
	s_add_u32 s22, s26, s10
	s_addc_u32 s23, s27, s11
	s_lshl_b64 s[10:11], s[24:25], 1
	v_mov_b32_e32 v10, v3
	v_add_co_u32 v2, vcc_lo, v5, s10
	v_add_co_ci_u32_e64 v6, null, s11, v6, vcc_lo
	v_lshlrev_b64 v[4:5], 1, v[7:8]
	v_add_co_u32 v2, vcc_lo, v2, v15
	v_add_co_ci_u32_e64 v7, null, 0, v6, vcc_lo
	v_mov_b32_e32 v8, v3
	v_add_co_u32 v4, vcc_lo, s22, v4
	v_add_co_ci_u32_e64 v5, null, s23, v5, vcc_lo
	v_add_co_u32 v6, vcc_lo, s20, v2
	v_add_co_ci_u32_e64 v7, null, s21, v7, vcc_lo
	v_mov_b32_e32 v2, v3
	v_mov_b32_e32 v11, v3
	;; [unrolled: 1-line block ×8, first 2 shown]
	s_lshl_b64 s[8:9], s[8:9], 3
	s_mov_b64 s[10:11], 0
.LBB171_2:                              ; =>This Inner Loop Header: Depth=1
	flat_load_ushort v26, v[6:7]
	flat_load_ushort v27, v[4:5]
	s_add_u32 s10, s10, 4
	s_addc_u32 s11, s11, 0
	v_add_co_u32 v4, vcc_lo, v4, s8
	v_cmp_lt_i64_e64 s20, s[10:11], s[28:29]
	v_add_co_ci_u32_e64 v5, null, s9, v5, vcc_lo
	v_add_co_u32 v6, vcc_lo, v6, 8
	v_add_co_ci_u32_e64 v7, null, 0, v7, vcc_lo
	s_and_b32 vcc_lo, exec_lo, s20
	s_waitcnt vmcnt(1) lgkmcnt(1)
	v_lshlrev_b32_e32 v26, 16, v26
	s_waitcnt vmcnt(0) lgkmcnt(0)
	v_lshlrev_b32_e32 v27, 16, v27
	ds_write_b32 v24, v26
	ds_write_b32 v25, v27
	s_waitcnt lgkmcnt(0)
	s_barrier
	buffer_gl0_inv
	ds_read_b128 v[26:29], v23
	ds_read2_b32 v[42:43], v22 offset1:16
	ds_read2_b32 v[44:45], v22 offset0:32 offset1:48
	ds_read_b128 v[30:33], v23 offset:256
	ds_read_b128 v[34:37], v23 offset:512
	;; [unrolled: 1-line block ×3, first 2 shown]
	ds_read2_b32 v[46:47], v22 offset0:64 offset1:80
	ds_read2_b32 v[48:49], v22 offset0:96 offset1:112
	;; [unrolled: 1-line block ×6, first 2 shown]
	s_waitcnt lgkmcnt(0)
	s_barrier
	buffer_gl0_inv
	v_fmac_f32_e32 v18, v42, v26
	v_fmac_f32_e32 v21, v43, v26
	v_fmac_f32_e32 v20, v44, v26
	v_fmac_f32_e32 v19, v45, v26
	v_fmac_f32_e32 v17, v42, v30
	v_fmac_f32_e32 v16, v43, v30
	v_fmac_f32_e32 v15, v44, v30
	v_fmac_f32_e32 v14, v45, v30
	v_fmac_f32_e32 v13, v42, v34
	v_fmac_f32_e32 v12, v43, v34
	v_fmac_f32_e32 v11, v44, v34
	v_fmac_f32_e32 v10, v45, v34
	v_fmac_f32_e32 v9, v42, v38
	v_fmac_f32_e32 v8, v43, v38
	v_fmac_f32_e32 v2, v44, v38
	v_fmac_f32_e32 v3, v45, v38
	v_fmac_f32_e32 v18, v46, v27
	v_fmac_f32_e32 v21, v47, v27
	v_fmac_f32_e32 v20, v48, v27
	v_fmac_f32_e32 v19, v49, v27
	v_fmac_f32_e32 v17, v46, v31
	v_fmac_f32_e32 v16, v47, v31
	v_fmac_f32_e32 v15, v48, v31
	v_fmac_f32_e32 v14, v49, v31
	v_fmac_f32_e32 v13, v46, v35
	v_fmac_f32_e32 v12, v47, v35
	v_fmac_f32_e32 v11, v48, v35
	v_fmac_f32_e32 v10, v49, v35
	v_fmac_f32_e32 v9, v46, v39
	v_fmac_f32_e32 v8, v47, v39
	v_fmac_f32_e32 v2, v48, v39
	v_fmac_f32_e32 v3, v49, v39
	v_fmac_f32_e32 v18, v50, v28
	v_fmac_f32_e32 v21, v51, v28
	v_fmac_f32_e32 v20, v52, v28
	v_fmac_f32_e32 v19, v53, v28
	v_fmac_f32_e32 v17, v50, v32
	v_fmac_f32_e32 v16, v51, v32
	v_fmac_f32_e32 v15, v52, v32
	v_fmac_f32_e32 v14, v53, v32
	v_fmac_f32_e32 v13, v50, v36
	v_fmac_f32_e32 v12, v51, v36
	v_fmac_f32_e32 v11, v52, v36
	v_fmac_f32_e32 v10, v53, v36
	v_fmac_f32_e32 v9, v50, v40
	v_fmac_f32_e32 v8, v51, v40
	v_fmac_f32_e32 v2, v52, v40
	v_fmac_f32_e32 v3, v53, v40
	v_fmac_f32_e32 v18, v54, v29
	v_fmac_f32_e32 v21, v55, v29
	v_fmac_f32_e32 v20, v56, v29
	v_fmac_f32_e32 v19, v57, v29
	v_fmac_f32_e32 v17, v54, v33
	v_fmac_f32_e32 v16, v55, v33
	v_fmac_f32_e32 v15, v56, v33
	v_fmac_f32_e32 v14, v57, v33
	v_fmac_f32_e32 v13, v54, v37
	v_fmac_f32_e32 v12, v55, v37
	v_fmac_f32_e32 v11, v56, v37
	v_fmac_f32_e32 v10, v57, v37
	v_fmac_f32_e32 v9, v54, v41
	v_fmac_f32_e32 v8, v55, v41
	v_fmac_f32_e32 v2, v56, v41
	v_fmac_f32_e32 v3, v57, v41
	s_cbranch_vccnz .LBB171_2
.LBB171_3:
	s_load_dword s8, s[4:5], 0x50
	s_lshl_b64 s[10:11], s[2:3], 2
	s_load_dword s2, s[4:5], 0x18
	v_add_co_u32 v4, s4, s30, v1
	v_add_co_ci_u32_e64 v7, null, s31, 0, s4
	v_add_co_u32 v0, s4, s6, v0
	v_add_co_ci_u32_e64 v1, null, s7, 0, s4
	v_mul_lo_u32 v5, v7, s0
	v_mul_lo_u32 v6, v4, s1
	s_waitcnt lgkmcnt(0)
	s_add_u32 s3, s18, s10
	v_lshlrev_b64 v[0:1], 2, v[0:1]
	s_addc_u32 s4, s19, s11
	v_cmp_neq_f32_e64 s5, s8, 0
	s_and_b32 vcc_lo, exec_lo, s5
	s_mov_b32 s5, 0
	s_cbranch_vccnz .LBB171_7
; %bb.4:
	v_mad_u64_u32 v[22:23], null, v4, s0, 0
	s_lshl_b64 s[6:7], s[0:1], 6
	v_mul_f32_e32 v26, s2, v18
	v_mul_f32_e32 v27, s2, v21
	;; [unrolled: 1-line block ×5, first 2 shown]
	v_add3_u32 v23, v23, v6, v5
	v_mul_f32_e32 v31, s2, v16
	v_mul_f32_e32 v32, s2, v15
	;; [unrolled: 1-line block ×3, first 2 shown]
	v_lshlrev_b64 v[22:23], 2, v[22:23]
	v_add_co_u32 v22, vcc_lo, s3, v22
	v_add_co_ci_u32_e64 v23, null, s4, v23, vcc_lo
	v_add_co_u32 v34, vcc_lo, v22, s6
	v_add_co_ci_u32_e64 v35, null, s7, v23, vcc_lo
	;; [unrolled: 2-line block ×4, first 2 shown]
	flat_store_dword v[22:23], v26
	flat_store_dword v[22:23], v27 offset:64
	flat_store_dword v[22:23], v28 offset:128
	;; [unrolled: 1-line block ×3, first 2 shown]
	flat_store_dword v[24:25], v30
	flat_store_dword v[24:25], v31 offset:64
	v_add_co_u32 v26, vcc_lo, v34, s6
	v_add_co_ci_u32_e64 v27, null, s7, v35, vcc_lo
	v_mul_f32_e32 v28, s2, v13
	v_add_co_u32 v22, vcc_lo, v26, v0
	v_add_co_ci_u32_e64 v23, null, v27, v1, vcc_lo
	v_mul_f32_e32 v29, s2, v12
	v_mul_f32_e32 v30, s2, v11
	flat_store_dword v[24:25], v32 offset:128
	flat_store_dword v[24:25], v33 offset:192
	flat_store_dword v[22:23], v28
	flat_store_dword v[22:23], v29 offset:64
	flat_store_dword v[22:23], v30 offset:128
	v_add_co_u32 v24, vcc_lo, v26, s6
	v_add_co_ci_u32_e64 v25, null, s7, v27, vcc_lo
	v_mul_f32_e32 v28, s2, v10
	v_add_co_u32 v24, vcc_lo, v24, v0
	v_mul_f32_e32 v26, s2, v9
	v_add_co_ci_u32_e64 v25, null, v25, v1, vcc_lo
	v_mul_f32_e32 v27, s2, v8
	v_mul_f32_e32 v29, s2, v2
	;; [unrolled: 1-line block ×3, first 2 shown]
	flat_store_dword v[22:23], v28 offset:192
	flat_store_dword v[24:25], v26
	flat_store_dword v[24:25], v27 offset:64
	flat_store_dword v[24:25], v29 offset:128
	;; [unrolled: 1-line block ×3, first 2 shown]
	s_andn2_b32 vcc_lo, exec_lo, s5
	s_cbranch_vccnz .LBB171_6
.LBB171_5:
	v_mul_lo_u32 v7, v7, s14
	v_mul_lo_u32 v24, v4, s15
	v_mad_u64_u32 v[22:23], null, v4, s14, 0
	s_lshl_b64 s[6:7], s[16:17], 2
	s_add_u32 s5, s12, s6
	s_addc_u32 s6, s13, s7
	v_add3_u32 v23, v23, v24, v7
	v_mad_u64_u32 v[24:25], null, v4, s0, 0
	s_lshl_b64 s[0:1], s[0:1], 6
	v_lshlrev_b64 v[22:23], 2, v[22:23]
	v_add3_u32 v25, v25, v6, v5
	v_add_co_u32 v7, vcc_lo, s5, v22
	v_add_co_ci_u32_e64 v26, null, s6, v23, vcc_lo
	v_lshlrev_b64 v[4:5], 2, v[24:25]
	v_add_co_u32 v22, vcc_lo, v7, v0
	v_add_co_ci_u32_e64 v23, null, v26, v1, vcc_lo
	v_add_co_u32 v24, vcc_lo, s3, v4
	flat_load_dword v27, v[22:23]
	v_add_co_ci_u32_e64 v25, null, s4, v5, vcc_lo
	v_add_co_u32 v4, vcc_lo, v24, v0
	s_lshl_b64 s[4:5], s[14:15], 6
	v_add_co_ci_u32_e64 v5, null, v25, v1, vcc_lo
	s_waitcnt vmcnt(0) lgkmcnt(0)
	v_mul_f32_e32 v6, s8, v27
	v_fmac_f32_e32 v6, s2, v18
	flat_store_dword v[4:5], v6
	flat_load_dword v6, v[22:23] offset:64
	s_waitcnt vmcnt(0) lgkmcnt(0)
	v_mul_f32_e32 v6, s8, v6
	v_fmac_f32_e32 v6, s2, v21
	flat_store_dword v[4:5], v6 offset:64
	flat_load_dword v6, v[22:23] offset:128
	s_waitcnt vmcnt(0) lgkmcnt(0)
	v_mul_f32_e32 v6, s8, v6
	v_fmac_f32_e32 v6, s2, v20
	v_add_co_u32 v20, vcc_lo, v7, s4
	v_add_co_ci_u32_e64 v21, null, s5, v26, vcc_lo
	flat_store_dword v[4:5], v6 offset:128
	flat_load_dword v6, v[22:23] offset:192
	s_waitcnt vmcnt(0) lgkmcnt(0)
	v_mul_f32_e32 v18, s8, v6
	v_add_co_u32 v6, vcc_lo, v20, v0
	v_add_co_ci_u32_e64 v7, null, v21, v1, vcc_lo
	v_fmac_f32_e32 v18, s2, v19
	flat_store_dword v[4:5], v18 offset:192
	flat_load_dword v4, v[6:7]
	v_add_co_u32 v18, vcc_lo, v24, s0
	v_add_co_ci_u32_e64 v19, null, s1, v25, vcc_lo
	s_waitcnt vmcnt(0) lgkmcnt(0)
	v_mul_f32_e32 v22, s8, v4
	v_add_co_u32 v4, vcc_lo, v18, v0
	v_add_co_ci_u32_e64 v5, null, v19, v1, vcc_lo
	v_fmac_f32_e32 v22, s2, v17
	flat_store_dword v[4:5], v22
	flat_load_dword v17, v[6:7] offset:64
	s_waitcnt vmcnt(0) lgkmcnt(0)
	v_mul_f32_e32 v17, s8, v17
	v_fmac_f32_e32 v17, s2, v16
	flat_store_dword v[4:5], v17 offset:64
	flat_load_dword v16, v[6:7] offset:128
	s_waitcnt vmcnt(0) lgkmcnt(0)
	v_mul_f32_e32 v16, s8, v16
	v_fmac_f32_e32 v16, s2, v15
	flat_store_dword v[4:5], v16 offset:128
	flat_load_dword v6, v[6:7] offset:192
	v_add_co_u32 v16, vcc_lo, v20, s4
	v_add_co_ci_u32_e64 v17, null, s5, v21, vcc_lo
	s_waitcnt vmcnt(0) lgkmcnt(0)
	v_mul_f32_e32 v15, s8, v6
	v_add_co_u32 v6, vcc_lo, v16, v0
	v_add_co_ci_u32_e64 v7, null, v17, v1, vcc_lo
	v_fmac_f32_e32 v15, s2, v14
	v_add_co_u32 v14, vcc_lo, v18, s0
	flat_store_dword v[4:5], v15 offset:192
	flat_load_dword v4, v[6:7]
	v_add_co_ci_u32_e64 v15, null, s1, v19, vcc_lo
	s_waitcnt vmcnt(0) lgkmcnt(0)
	v_mul_f32_e32 v18, s8, v4
	v_add_co_u32 v4, vcc_lo, v14, v0
	v_add_co_ci_u32_e64 v5, null, v15, v1, vcc_lo
	v_fmac_f32_e32 v18, s2, v13
	flat_store_dword v[4:5], v18
	flat_load_dword v13, v[6:7] offset:64
	s_waitcnt vmcnt(0) lgkmcnt(0)
	v_mul_f32_e32 v13, s8, v13
	v_fmac_f32_e32 v13, s2, v12
	flat_store_dword v[4:5], v13 offset:64
	flat_load_dword v12, v[6:7] offset:128
	s_waitcnt vmcnt(0) lgkmcnt(0)
	v_mul_f32_e32 v12, s8, v12
	v_fmac_f32_e32 v12, s2, v11
	flat_store_dword v[4:5], v12 offset:128
	flat_load_dword v6, v[6:7] offset:192
	s_waitcnt vmcnt(0) lgkmcnt(0)
	v_mul_f32_e32 v11, s8, v6
	v_add_co_u32 v6, vcc_lo, v16, s4
	v_add_co_ci_u32_e64 v7, null, s5, v17, vcc_lo
	v_fmac_f32_e32 v11, s2, v10
	v_add_co_u32 v6, vcc_lo, v6, v0
	v_add_co_ci_u32_e64 v7, null, v7, v1, vcc_lo
	flat_store_dword v[4:5], v11 offset:192
	v_add_co_u32 v5, vcc_lo, v14, s0
	flat_load_dword v4, v[6:7]
	v_add_co_ci_u32_e64 v10, null, s1, v15, vcc_lo
	v_add_co_u32 v0, vcc_lo, v5, v0
	v_add_co_ci_u32_e64 v1, null, v10, v1, vcc_lo
	s_waitcnt vmcnt(0) lgkmcnt(0)
	v_mul_f32_e32 v4, s8, v4
	v_fmac_f32_e32 v4, s2, v9
	flat_store_dword v[0:1], v4
	flat_load_dword v4, v[6:7] offset:64
	s_waitcnt vmcnt(0) lgkmcnt(0)
	v_mul_f32_e32 v4, s8, v4
	v_fmac_f32_e32 v4, s2, v8
	flat_store_dword v[0:1], v4 offset:64
	flat_load_dword v4, v[6:7] offset:128
	s_waitcnt vmcnt(0) lgkmcnt(0)
	v_mul_f32_e32 v4, s8, v4
	v_fmac_f32_e32 v4, s2, v2
	flat_store_dword v[0:1], v4 offset:128
	;; [unrolled: 5-line block ×3, first 2 shown]
.LBB171_6:
	s_endpgm
.LBB171_7:
	s_branch .LBB171_5
	.section	.rodata,"a",@progbits
	.p2align	6, 0x0
	.amdhsa_kernel _ZN12_GLOBAL__N_127rocblas_gemm_batched_kernelIfLi16ELi16ELi64ELi64ELi4ELi64ELi4ELi4ELi64ELc67ELc67EKPK16rocblas_bfloat16KPKfKPfEEvlllT_PT11_llSC_llSA_PT12_llPT13_lli
		.amdhsa_group_segment_fixed_size 2048
		.amdhsa_private_segment_fixed_size 0
		.amdhsa_kernarg_size 140
		.amdhsa_user_sgpr_count 6
		.amdhsa_user_sgpr_private_segment_buffer 1
		.amdhsa_user_sgpr_dispatch_ptr 0
		.amdhsa_user_sgpr_queue_ptr 0
		.amdhsa_user_sgpr_kernarg_segment_ptr 1
		.amdhsa_user_sgpr_dispatch_id 0
		.amdhsa_user_sgpr_flat_scratch_init 0
		.amdhsa_user_sgpr_private_segment_size 0
		.amdhsa_wavefront_size32 1
		.amdhsa_uses_dynamic_stack 0
		.amdhsa_system_sgpr_private_segment_wavefront_offset 0
		.amdhsa_system_sgpr_workgroup_id_x 1
		.amdhsa_system_sgpr_workgroup_id_y 1
		.amdhsa_system_sgpr_workgroup_id_z 1
		.amdhsa_system_sgpr_workgroup_info 0
		.amdhsa_system_vgpr_workitem_id 1
		.amdhsa_next_free_vgpr 58
		.amdhsa_next_free_sgpr 36
		.amdhsa_reserve_vcc 1
		.amdhsa_reserve_flat_scratch 0
		.amdhsa_float_round_mode_32 0
		.amdhsa_float_round_mode_16_64 0
		.amdhsa_float_denorm_mode_32 3
		.amdhsa_float_denorm_mode_16_64 3
		.amdhsa_dx10_clamp 1
		.amdhsa_ieee_mode 1
		.amdhsa_fp16_overflow 0
		.amdhsa_workgroup_processor_mode 1
		.amdhsa_memory_ordered 1
		.amdhsa_forward_progress 1
		.amdhsa_shared_vgpr_count 0
		.amdhsa_exception_fp_ieee_invalid_op 0
		.amdhsa_exception_fp_denorm_src 0
		.amdhsa_exception_fp_ieee_div_zero 0
		.amdhsa_exception_fp_ieee_overflow 0
		.amdhsa_exception_fp_ieee_underflow 0
		.amdhsa_exception_fp_ieee_inexact 0
		.amdhsa_exception_int_div_zero 0
	.end_amdhsa_kernel
	.section	.text._ZN12_GLOBAL__N_127rocblas_gemm_batched_kernelIfLi16ELi16ELi64ELi64ELi4ELi64ELi4ELi4ELi64ELc67ELc67EKPK16rocblas_bfloat16KPKfKPfEEvlllT_PT11_llSC_llSA_PT12_llPT13_lli,"axG",@progbits,_ZN12_GLOBAL__N_127rocblas_gemm_batched_kernelIfLi16ELi16ELi64ELi64ELi4ELi64ELi4ELi4ELi64ELc67ELc67EKPK16rocblas_bfloat16KPKfKPfEEvlllT_PT11_llSC_llSA_PT12_llPT13_lli,comdat
.Lfunc_end171:
	.size	_ZN12_GLOBAL__N_127rocblas_gemm_batched_kernelIfLi16ELi16ELi64ELi64ELi4ELi64ELi4ELi4ELi64ELc67ELc67EKPK16rocblas_bfloat16KPKfKPfEEvlllT_PT11_llSC_llSA_PT12_llPT13_lli, .Lfunc_end171-_ZN12_GLOBAL__N_127rocblas_gemm_batched_kernelIfLi16ELi16ELi64ELi64ELi4ELi64ELi4ELi4ELi64ELc67ELc67EKPK16rocblas_bfloat16KPKfKPfEEvlllT_PT11_llSC_llSA_PT12_llPT13_lli
                                        ; -- End function
	.set _ZN12_GLOBAL__N_127rocblas_gemm_batched_kernelIfLi16ELi16ELi64ELi64ELi4ELi64ELi4ELi4ELi64ELc67ELc67EKPK16rocblas_bfloat16KPKfKPfEEvlllT_PT11_llSC_llSA_PT12_llPT13_lli.num_vgpr, 58
	.set _ZN12_GLOBAL__N_127rocblas_gemm_batched_kernelIfLi16ELi16ELi64ELi64ELi4ELi64ELi4ELi4ELi64ELc67ELc67EKPK16rocblas_bfloat16KPKfKPfEEvlllT_PT11_llSC_llSA_PT12_llPT13_lli.num_agpr, 0
	.set _ZN12_GLOBAL__N_127rocblas_gemm_batched_kernelIfLi16ELi16ELi64ELi64ELi4ELi64ELi4ELi4ELi64ELc67ELc67EKPK16rocblas_bfloat16KPKfKPfEEvlllT_PT11_llSC_llSA_PT12_llPT13_lli.numbered_sgpr, 36
	.set _ZN12_GLOBAL__N_127rocblas_gemm_batched_kernelIfLi16ELi16ELi64ELi64ELi4ELi64ELi4ELi4ELi64ELc67ELc67EKPK16rocblas_bfloat16KPKfKPfEEvlllT_PT11_llSC_llSA_PT12_llPT13_lli.num_named_barrier, 0
	.set _ZN12_GLOBAL__N_127rocblas_gemm_batched_kernelIfLi16ELi16ELi64ELi64ELi4ELi64ELi4ELi4ELi64ELc67ELc67EKPK16rocblas_bfloat16KPKfKPfEEvlllT_PT11_llSC_llSA_PT12_llPT13_lli.private_seg_size, 0
	.set _ZN12_GLOBAL__N_127rocblas_gemm_batched_kernelIfLi16ELi16ELi64ELi64ELi4ELi64ELi4ELi4ELi64ELc67ELc67EKPK16rocblas_bfloat16KPKfKPfEEvlllT_PT11_llSC_llSA_PT12_llPT13_lli.uses_vcc, 1
	.set _ZN12_GLOBAL__N_127rocblas_gemm_batched_kernelIfLi16ELi16ELi64ELi64ELi4ELi64ELi4ELi4ELi64ELc67ELc67EKPK16rocblas_bfloat16KPKfKPfEEvlllT_PT11_llSC_llSA_PT12_llPT13_lli.uses_flat_scratch, 0
	.set _ZN12_GLOBAL__N_127rocblas_gemm_batched_kernelIfLi16ELi16ELi64ELi64ELi4ELi64ELi4ELi4ELi64ELc67ELc67EKPK16rocblas_bfloat16KPKfKPfEEvlllT_PT11_llSC_llSA_PT12_llPT13_lli.has_dyn_sized_stack, 0
	.set _ZN12_GLOBAL__N_127rocblas_gemm_batched_kernelIfLi16ELi16ELi64ELi64ELi4ELi64ELi4ELi4ELi64ELc67ELc67EKPK16rocblas_bfloat16KPKfKPfEEvlllT_PT11_llSC_llSA_PT12_llPT13_lli.has_recursion, 0
	.set _ZN12_GLOBAL__N_127rocblas_gemm_batched_kernelIfLi16ELi16ELi64ELi64ELi4ELi64ELi4ELi4ELi64ELc67ELc67EKPK16rocblas_bfloat16KPKfKPfEEvlllT_PT11_llSC_llSA_PT12_llPT13_lli.has_indirect_call, 0
	.section	.AMDGPU.csdata,"",@progbits
; Kernel info:
; codeLenInByte = 2304
; TotalNumSgprs: 38
; NumVgprs: 58
; ScratchSize: 0
; MemoryBound: 0
; FloatMode: 240
; IeeeMode: 1
; LDSByteSize: 2048 bytes/workgroup (compile time only)
; SGPRBlocks: 0
; VGPRBlocks: 7
; NumSGPRsForWavesPerEU: 38
; NumVGPRsForWavesPerEU: 58
; Occupancy: 16
; WaveLimiterHint : 1
; COMPUTE_PGM_RSRC2:SCRATCH_EN: 0
; COMPUTE_PGM_RSRC2:USER_SGPR: 6
; COMPUTE_PGM_RSRC2:TRAP_HANDLER: 0
; COMPUTE_PGM_RSRC2:TGID_X_EN: 1
; COMPUTE_PGM_RSRC2:TGID_Y_EN: 1
; COMPUTE_PGM_RSRC2:TGID_Z_EN: 1
; COMPUTE_PGM_RSRC2:TIDIG_COMP_CNT: 1
	.section	.text._ZN12_GLOBAL__N_127rocblas_gemm_batched_kernelIfLi16ELi16ELi64ELi64ELi4ELi64ELi4ELi4ELi64ELc67ELc78EKPK16rocblas_bfloat16KPKfKPfEEvlllT_PT11_llSC_llSA_PT12_llPT13_lli,"axG",@progbits,_ZN12_GLOBAL__N_127rocblas_gemm_batched_kernelIfLi16ELi16ELi64ELi64ELi4ELi64ELi4ELi4ELi64ELc67ELc78EKPK16rocblas_bfloat16KPKfKPfEEvlllT_PT11_llSC_llSA_PT12_llPT13_lli,comdat
	.globl	_ZN12_GLOBAL__N_127rocblas_gemm_batched_kernelIfLi16ELi16ELi64ELi64ELi4ELi64ELi4ELi4ELi64ELc67ELc78EKPK16rocblas_bfloat16KPKfKPfEEvlllT_PT11_llSC_llSA_PT12_llPT13_lli ; -- Begin function _ZN12_GLOBAL__N_127rocblas_gemm_batched_kernelIfLi16ELi16ELi64ELi64ELi4ELi64ELi4ELi4ELi64ELc67ELc78EKPK16rocblas_bfloat16KPKfKPfEEvlllT_PT11_llSC_llSA_PT12_llPT13_lli
	.p2align	8
	.type	_ZN12_GLOBAL__N_127rocblas_gemm_batched_kernelIfLi16ELi16ELi64ELi64ELi4ELi64ELi4ELi4ELi64ELc67ELc78EKPK16rocblas_bfloat16KPKfKPfEEvlllT_PT11_llSC_llSA_PT12_llPT13_lli,@function
_ZN12_GLOBAL__N_127rocblas_gemm_batched_kernelIfLi16ELi16ELi64ELi64ELi4ELi64ELi4ELi4ELi64ELc67ELc78EKPK16rocblas_bfloat16KPKfKPfEEvlllT_PT11_llSC_llSA_PT12_llPT13_lli: ; @_ZN12_GLOBAL__N_127rocblas_gemm_batched_kernelIfLi16ELi16ELi64ELi64ELi4ELi64ELi4ELi4ELi64ELc67ELc78EKPK16rocblas_bfloat16KPKfKPfEEvlllT_PT11_llSC_llSA_PT12_llPT13_lli
; %bb.0:
	s_clause 0x1
	s_load_dwordx8 s[12:19], s[4:5], 0x58
	s_load_dwordx2 s[28:29], s[4:5], 0x10
	s_mov_b32 s9, 0
	s_load_dwordx4 s[0:3], s[4:5], 0x78
	s_lshl_b64 s[34:35], s[8:9], 3
	s_mov_b32 s10, s7
	v_mov_b32_e32 v18, 0
	v_mov_b32_e32 v21, 0
	;; [unrolled: 1-line block ×14, first 2 shown]
	s_waitcnt lgkmcnt(0)
	s_add_u32 s8, s12, s34
	s_addc_u32 s9, s13, s35
	s_add_u32 s18, s18, s34
	s_addc_u32 s19, s19, s35
	s_load_dwordx2 s[12:13], s[8:9], 0x0
	s_load_dwordx2 s[18:19], s[18:19], 0x0
	v_cmp_lt_i64_e64 s20, s[28:29], 1
	v_mov_b32_e32 v7, 0
	v_mov_b32_e32 v6, 0
	s_ashr_i32 s7, s6, 31
	s_ashr_i32 s11, s10, 31
	s_lshl_b64 s[6:7], s[6:7], 6
	s_and_b32 vcc_lo, exec_lo, s20
	s_lshl_b64 s[30:31], s[10:11], 6
	s_cbranch_vccnz .LBB172_3
; %bb.1:
	v_lshlrev_b32_e32 v7, 4, v1
	s_clause 0x1
	s_load_dwordx8 s[20:27], s[4:5], 0x20
	s_load_dwordx4 s[8:11], s[4:5], 0x40
	v_and_b32_e32 v8, 3, v0
	v_lshlrev_b32_e32 v24, 2, v0
	v_mov_b32_e32 v16, 0
	v_add_nc_u32_e32 v2, v7, v0
	v_add_nc_u32_e32 v25, 0x400, v7
	v_lshlrev_b32_e32 v7, 1, v8
	v_lshlrev_b32_e32 v9, 2, v8
	v_mov_b32_e32 v17, 0
	v_lshrrev_b32_e32 v6, 2, v2
	v_and_b32_e32 v10, 63, v2
	v_lshrrev_b32_e32 v11, 6, v2
	v_mov_b32_e32 v19, 0
	v_mov_b32_e32 v20, 0
	v_add_co_u32 v2, s33, v6, s30
	v_add_co_ci_u32_e64 v3, null, 0, s31, s33
	v_add_co_u32 v4, s33, s6, v10
	v_add_co_ci_u32_e64 v5, null, s7, 0, s33
	s_waitcnt lgkmcnt(0)
	v_mul_lo_u32 v12, s9, v2
	v_mul_lo_u32 v13, s8, v3
	v_mad_u64_u32 v[2:3], null, s8, v2, 0
	v_mul_lo_u32 v14, s23, v4
	v_mul_lo_u32 v15, s22, v5
	v_mad_u64_u32 v[4:5], null, s22, v4, 0
	s_add_u32 s20, s20, s34
	s_addc_u32 s21, s21, s35
	s_add_u32 s26, s26, s34
	v_add3_u32 v3, v3, v13, v12
	s_addc_u32 s27, s27, s35
	s_load_dwordx2 s[20:21], s[20:21], 0x0
	s_load_dwordx2 s[8:9], s[26:27], 0x0
	v_add3_u32 v5, v5, v15, v14
	v_lshlrev_b64 v[2:3], 1, v[2:3]
	s_lshl_b64 s[10:11], s[10:11], 1
	v_lshlrev_b32_e32 v8, 1, v11
	v_lshlrev_b32_e32 v10, 2, v10
	v_lshlrev_b64 v[4:5], 1, v[4:5]
	v_lshl_or_b32 v9, v6, 4, v9
	v_add_co_u32 v2, vcc_lo, v2, s10
	v_add_co_ci_u32_e64 v3, null, s11, v3, vcc_lo
	s_lshl_b64 s[10:11], s[24:25], 1
	v_mov_b32_e32 v6, 0
	v_add_co_u32 v4, vcc_lo, v4, s10
	v_add_co_ci_u32_e64 v5, null, s11, v5, vcc_lo
	v_add_co_u32 v2, vcc_lo, v2, v7
	v_add_co_ci_u32_e64 v3, null, 0, v3, vcc_lo
	;; [unrolled: 2-line block ×3, first 2 shown]
	s_waitcnt lgkmcnt(0)
	v_add_co_u32 v2, vcc_lo, s8, v2
	v_add_co_ci_u32_e64 v3, null, s9, v3, vcc_lo
	v_add_co_u32 v4, vcc_lo, s20, v4
	v_lshl_or_b32 v22, v11, 8, v10
	v_add_nc_u32_e32 v23, 0x400, v9
	v_add_co_ci_u32_e64 v5, null, s21, v5, vcc_lo
	v_mov_b32_e32 v7, 0
	v_mov_b32_e32 v8, 0
	;; [unrolled: 1-line block ×11, first 2 shown]
	s_mov_b64 s[8:9], 0
.LBB172_2:                              ; =>This Inner Loop Header: Depth=1
	flat_load_ushort v26, v[4:5]
	flat_load_ushort v27, v[2:3]
	s_add_u32 s8, s8, 4
	s_addc_u32 s9, s9, 0
	v_add_co_u32 v2, vcc_lo, v2, 8
	v_cmp_lt_i64_e64 s10, s[8:9], s[28:29]
	v_add_co_ci_u32_e64 v3, null, 0, v3, vcc_lo
	v_add_co_u32 v4, vcc_lo, v4, 8
	v_add_co_ci_u32_e64 v5, null, 0, v5, vcc_lo
	s_and_b32 vcc_lo, exec_lo, s10
	s_waitcnt vmcnt(1) lgkmcnt(1)
	v_lshlrev_b32_e32 v26, 16, v26
	s_waitcnt vmcnt(0) lgkmcnt(0)
	v_lshlrev_b32_e32 v27, 16, v27
	ds_write_b32 v22, v26
	ds_write_b32 v23, v27
	s_waitcnt lgkmcnt(0)
	s_barrier
	buffer_gl0_inv
	ds_read_b128 v[26:29], v25
	ds_read2_b32 v[42:43], v24 offset1:16
	ds_read2_b32 v[44:45], v24 offset0:32 offset1:48
	ds_read_b128 v[30:33], v25 offset:256
	ds_read_b128 v[34:37], v25 offset:512
	;; [unrolled: 1-line block ×3, first 2 shown]
	ds_read2_b32 v[46:47], v24 offset0:64 offset1:80
	ds_read2_b32 v[48:49], v24 offset0:96 offset1:112
	;; [unrolled: 1-line block ×6, first 2 shown]
	s_waitcnt lgkmcnt(0)
	s_barrier
	buffer_gl0_inv
	v_fmac_f32_e32 v18, v42, v26
	v_fmac_f32_e32 v21, v43, v26
	;; [unrolled: 1-line block ×64, first 2 shown]
	s_cbranch_vccnz .LBB172_2
.LBB172_3:
	s_load_dword s8, s[4:5], 0x50
	s_lshl_b64 s[10:11], s[2:3], 2
	s_load_dword s2, s[4:5], 0x18
	v_add_co_u32 v2, s4, s30, v1
	v_add_co_ci_u32_e64 v5, null, s31, 0, s4
	v_add_co_u32 v0, s4, s6, v0
	v_add_co_ci_u32_e64 v1, null, s7, 0, s4
	v_mul_lo_u32 v3, v5, s0
	v_mul_lo_u32 v4, v2, s1
	s_waitcnt lgkmcnt(0)
	s_add_u32 s3, s18, s10
	v_lshlrev_b64 v[0:1], 2, v[0:1]
	s_addc_u32 s4, s19, s11
	v_cmp_neq_f32_e64 s5, s8, 0
	s_and_b32 vcc_lo, exec_lo, s5
	s_mov_b32 s5, 0
	s_cbranch_vccnz .LBB172_7
; %bb.4:
	v_mad_u64_u32 v[22:23], null, v2, s0, 0
	s_lshl_b64 s[6:7], s[0:1], 6
	v_mul_f32_e32 v26, s2, v18
	v_mul_f32_e32 v27, s2, v21
	v_mul_f32_e32 v28, s2, v20
	v_mul_f32_e32 v29, s2, v19
	v_mul_f32_e32 v30, s2, v17
	v_add3_u32 v23, v23, v4, v3
	v_mul_f32_e32 v31, s2, v16
	v_mul_f32_e32 v32, s2, v15
	;; [unrolled: 1-line block ×3, first 2 shown]
	v_lshlrev_b64 v[22:23], 2, v[22:23]
	v_add_co_u32 v22, vcc_lo, s3, v22
	v_add_co_ci_u32_e64 v23, null, s4, v23, vcc_lo
	v_add_co_u32 v34, vcc_lo, v22, s6
	v_add_co_ci_u32_e64 v35, null, s7, v23, vcc_lo
	;; [unrolled: 2-line block ×4, first 2 shown]
	flat_store_dword v[22:23], v26
	flat_store_dword v[22:23], v27 offset:64
	flat_store_dword v[22:23], v28 offset:128
	flat_store_dword v[22:23], v29 offset:192
	flat_store_dword v[24:25], v30
	flat_store_dword v[24:25], v31 offset:64
	v_add_co_u32 v26, vcc_lo, v34, s6
	v_add_co_ci_u32_e64 v27, null, s7, v35, vcc_lo
	v_mul_f32_e32 v28, s2, v13
	v_add_co_u32 v22, vcc_lo, v26, v0
	v_add_co_ci_u32_e64 v23, null, v27, v1, vcc_lo
	v_mul_f32_e32 v29, s2, v12
	v_mul_f32_e32 v30, s2, v11
	flat_store_dword v[24:25], v32 offset:128
	flat_store_dword v[24:25], v33 offset:192
	flat_store_dword v[22:23], v28
	flat_store_dword v[22:23], v29 offset:64
	flat_store_dword v[22:23], v30 offset:128
	v_add_co_u32 v24, vcc_lo, v26, s6
	v_add_co_ci_u32_e64 v25, null, s7, v27, vcc_lo
	v_mul_f32_e32 v28, s2, v10
	v_add_co_u32 v24, vcc_lo, v24, v0
	v_mul_f32_e32 v26, s2, v9
	v_add_co_ci_u32_e64 v25, null, v25, v1, vcc_lo
	v_mul_f32_e32 v27, s2, v8
	v_mul_f32_e32 v29, s2, v7
	;; [unrolled: 1-line block ×3, first 2 shown]
	flat_store_dword v[22:23], v28 offset:192
	flat_store_dword v[24:25], v26
	flat_store_dword v[24:25], v27 offset:64
	flat_store_dword v[24:25], v29 offset:128
	;; [unrolled: 1-line block ×3, first 2 shown]
	s_andn2_b32 vcc_lo, exec_lo, s5
	s_cbranch_vccnz .LBB172_6
.LBB172_5:
	v_mul_lo_u32 v5, v5, s14
	v_mul_lo_u32 v24, v2, s15
	v_mad_u64_u32 v[22:23], null, v2, s14, 0
	s_lshl_b64 s[6:7], s[16:17], 2
	s_add_u32 s5, s12, s6
	s_addc_u32 s6, s13, s7
	v_add3_u32 v23, v23, v24, v5
	v_mad_u64_u32 v[24:25], null, v2, s0, 0
	s_lshl_b64 s[0:1], s[0:1], 6
	v_lshlrev_b64 v[22:23], 2, v[22:23]
	v_add3_u32 v25, v25, v4, v3
	v_add_co_u32 v5, vcc_lo, s5, v22
	v_add_co_ci_u32_e64 v26, null, s6, v23, vcc_lo
	v_lshlrev_b64 v[2:3], 2, v[24:25]
	v_add_co_u32 v22, vcc_lo, v5, v0
	v_add_co_ci_u32_e64 v23, null, v26, v1, vcc_lo
	v_add_co_u32 v24, vcc_lo, s3, v2
	flat_load_dword v27, v[22:23]
	v_add_co_ci_u32_e64 v25, null, s4, v3, vcc_lo
	v_add_co_u32 v2, vcc_lo, v24, v0
	s_lshl_b64 s[4:5], s[14:15], 6
	v_add_co_ci_u32_e64 v3, null, v25, v1, vcc_lo
	s_waitcnt vmcnt(0) lgkmcnt(0)
	v_mul_f32_e32 v4, s8, v27
	v_fmac_f32_e32 v4, s2, v18
	flat_store_dword v[2:3], v4
	flat_load_dword v4, v[22:23] offset:64
	s_waitcnt vmcnt(0) lgkmcnt(0)
	v_mul_f32_e32 v4, s8, v4
	v_fmac_f32_e32 v4, s2, v21
	flat_store_dword v[2:3], v4 offset:64
	flat_load_dword v4, v[22:23] offset:128
	s_waitcnt vmcnt(0) lgkmcnt(0)
	v_mul_f32_e32 v4, s8, v4
	v_fmac_f32_e32 v4, s2, v20
	v_add_co_u32 v20, vcc_lo, v5, s4
	v_add_co_ci_u32_e64 v21, null, s5, v26, vcc_lo
	flat_store_dword v[2:3], v4 offset:128
	flat_load_dword v4, v[22:23] offset:192
	s_waitcnt vmcnt(0) lgkmcnt(0)
	v_mul_f32_e32 v18, s8, v4
	v_add_co_u32 v4, vcc_lo, v20, v0
	v_add_co_ci_u32_e64 v5, null, v21, v1, vcc_lo
	v_fmac_f32_e32 v18, s2, v19
	flat_store_dword v[2:3], v18 offset:192
	flat_load_dword v2, v[4:5]
	v_add_co_u32 v18, vcc_lo, v24, s0
	v_add_co_ci_u32_e64 v19, null, s1, v25, vcc_lo
	s_waitcnt vmcnt(0) lgkmcnt(0)
	v_mul_f32_e32 v22, s8, v2
	v_add_co_u32 v2, vcc_lo, v18, v0
	v_add_co_ci_u32_e64 v3, null, v19, v1, vcc_lo
	v_fmac_f32_e32 v22, s2, v17
	flat_store_dword v[2:3], v22
	flat_load_dword v17, v[4:5] offset:64
	s_waitcnt vmcnt(0) lgkmcnt(0)
	v_mul_f32_e32 v17, s8, v17
	v_fmac_f32_e32 v17, s2, v16
	flat_store_dword v[2:3], v17 offset:64
	flat_load_dword v16, v[4:5] offset:128
	s_waitcnt vmcnt(0) lgkmcnt(0)
	v_mul_f32_e32 v16, s8, v16
	v_fmac_f32_e32 v16, s2, v15
	flat_store_dword v[2:3], v16 offset:128
	flat_load_dword v4, v[4:5] offset:192
	v_add_co_u32 v16, vcc_lo, v20, s4
	v_add_co_ci_u32_e64 v17, null, s5, v21, vcc_lo
	s_waitcnt vmcnt(0) lgkmcnt(0)
	v_mul_f32_e32 v15, s8, v4
	v_add_co_u32 v4, vcc_lo, v16, v0
	v_add_co_ci_u32_e64 v5, null, v17, v1, vcc_lo
	v_fmac_f32_e32 v15, s2, v14
	v_add_co_u32 v14, vcc_lo, v18, s0
	flat_store_dword v[2:3], v15 offset:192
	flat_load_dword v2, v[4:5]
	v_add_co_ci_u32_e64 v15, null, s1, v19, vcc_lo
	s_waitcnt vmcnt(0) lgkmcnt(0)
	v_mul_f32_e32 v18, s8, v2
	v_add_co_u32 v2, vcc_lo, v14, v0
	v_add_co_ci_u32_e64 v3, null, v15, v1, vcc_lo
	v_fmac_f32_e32 v18, s2, v13
	flat_store_dword v[2:3], v18
	flat_load_dword v13, v[4:5] offset:64
	s_waitcnt vmcnt(0) lgkmcnt(0)
	v_mul_f32_e32 v13, s8, v13
	v_fmac_f32_e32 v13, s2, v12
	flat_store_dword v[2:3], v13 offset:64
	flat_load_dword v12, v[4:5] offset:128
	s_waitcnt vmcnt(0) lgkmcnt(0)
	v_mul_f32_e32 v12, s8, v12
	v_fmac_f32_e32 v12, s2, v11
	flat_store_dword v[2:3], v12 offset:128
	flat_load_dword v4, v[4:5] offset:192
	s_waitcnt vmcnt(0) lgkmcnt(0)
	v_mul_f32_e32 v11, s8, v4
	v_add_co_u32 v4, vcc_lo, v16, s4
	v_add_co_ci_u32_e64 v5, null, s5, v17, vcc_lo
	v_fmac_f32_e32 v11, s2, v10
	v_add_co_u32 v4, vcc_lo, v4, v0
	v_add_co_ci_u32_e64 v5, null, v5, v1, vcc_lo
	flat_store_dword v[2:3], v11 offset:192
	v_add_co_u32 v3, vcc_lo, v14, s0
	flat_load_dword v2, v[4:5]
	v_add_co_ci_u32_e64 v10, null, s1, v15, vcc_lo
	v_add_co_u32 v0, vcc_lo, v3, v0
	v_add_co_ci_u32_e64 v1, null, v10, v1, vcc_lo
	s_waitcnt vmcnt(0) lgkmcnt(0)
	v_mul_f32_e32 v2, s8, v2
	v_fmac_f32_e32 v2, s2, v9
	flat_store_dword v[0:1], v2
	flat_load_dword v2, v[4:5] offset:64
	s_waitcnt vmcnt(0) lgkmcnt(0)
	v_mul_f32_e32 v2, s8, v2
	v_fmac_f32_e32 v2, s2, v8
	flat_store_dword v[0:1], v2 offset:64
	flat_load_dword v2, v[4:5] offset:128
	s_waitcnt vmcnt(0) lgkmcnt(0)
	v_mul_f32_e32 v2, s8, v2
	v_fmac_f32_e32 v2, s2, v7
	flat_store_dword v[0:1], v2 offset:128
	flat_load_dword v2, v[4:5] offset:192
	s_waitcnt vmcnt(0) lgkmcnt(0)
	v_mul_f32_e32 v2, s8, v2
	v_fmac_f32_e32 v2, s2, v6
	flat_store_dword v[0:1], v2 offset:192
.LBB172_6:
	s_endpgm
.LBB172_7:
	s_branch .LBB172_5
	.section	.rodata,"a",@progbits
	.p2align	6, 0x0
	.amdhsa_kernel _ZN12_GLOBAL__N_127rocblas_gemm_batched_kernelIfLi16ELi16ELi64ELi64ELi4ELi64ELi4ELi4ELi64ELc67ELc78EKPK16rocblas_bfloat16KPKfKPfEEvlllT_PT11_llSC_llSA_PT12_llPT13_lli
		.amdhsa_group_segment_fixed_size 2048
		.amdhsa_private_segment_fixed_size 0
		.amdhsa_kernarg_size 140
		.amdhsa_user_sgpr_count 6
		.amdhsa_user_sgpr_private_segment_buffer 1
		.amdhsa_user_sgpr_dispatch_ptr 0
		.amdhsa_user_sgpr_queue_ptr 0
		.amdhsa_user_sgpr_kernarg_segment_ptr 1
		.amdhsa_user_sgpr_dispatch_id 0
		.amdhsa_user_sgpr_flat_scratch_init 0
		.amdhsa_user_sgpr_private_segment_size 0
		.amdhsa_wavefront_size32 1
		.amdhsa_uses_dynamic_stack 0
		.amdhsa_system_sgpr_private_segment_wavefront_offset 0
		.amdhsa_system_sgpr_workgroup_id_x 1
		.amdhsa_system_sgpr_workgroup_id_y 1
		.amdhsa_system_sgpr_workgroup_id_z 1
		.amdhsa_system_sgpr_workgroup_info 0
		.amdhsa_system_vgpr_workitem_id 1
		.amdhsa_next_free_vgpr 58
		.amdhsa_next_free_sgpr 36
		.amdhsa_reserve_vcc 1
		.amdhsa_reserve_flat_scratch 0
		.amdhsa_float_round_mode_32 0
		.amdhsa_float_round_mode_16_64 0
		.amdhsa_float_denorm_mode_32 3
		.amdhsa_float_denorm_mode_16_64 3
		.amdhsa_dx10_clamp 1
		.amdhsa_ieee_mode 1
		.amdhsa_fp16_overflow 0
		.amdhsa_workgroup_processor_mode 1
		.amdhsa_memory_ordered 1
		.amdhsa_forward_progress 1
		.amdhsa_shared_vgpr_count 0
		.amdhsa_exception_fp_ieee_invalid_op 0
		.amdhsa_exception_fp_denorm_src 0
		.amdhsa_exception_fp_ieee_div_zero 0
		.amdhsa_exception_fp_ieee_overflow 0
		.amdhsa_exception_fp_ieee_underflow 0
		.amdhsa_exception_fp_ieee_inexact 0
		.amdhsa_exception_int_div_zero 0
	.end_amdhsa_kernel
	.section	.text._ZN12_GLOBAL__N_127rocblas_gemm_batched_kernelIfLi16ELi16ELi64ELi64ELi4ELi64ELi4ELi4ELi64ELc67ELc78EKPK16rocblas_bfloat16KPKfKPfEEvlllT_PT11_llSC_llSA_PT12_llPT13_lli,"axG",@progbits,_ZN12_GLOBAL__N_127rocblas_gemm_batched_kernelIfLi16ELi16ELi64ELi64ELi4ELi64ELi4ELi4ELi64ELc67ELc78EKPK16rocblas_bfloat16KPKfKPfEEvlllT_PT11_llSC_llSA_PT12_llPT13_lli,comdat
.Lfunc_end172:
	.size	_ZN12_GLOBAL__N_127rocblas_gemm_batched_kernelIfLi16ELi16ELi64ELi64ELi4ELi64ELi4ELi4ELi64ELc67ELc78EKPK16rocblas_bfloat16KPKfKPfEEvlllT_PT11_llSC_llSA_PT12_llPT13_lli, .Lfunc_end172-_ZN12_GLOBAL__N_127rocblas_gemm_batched_kernelIfLi16ELi16ELi64ELi64ELi4ELi64ELi4ELi4ELi64ELc67ELc78EKPK16rocblas_bfloat16KPKfKPfEEvlllT_PT11_llSC_llSA_PT12_llPT13_lli
                                        ; -- End function
	.set _ZN12_GLOBAL__N_127rocblas_gemm_batched_kernelIfLi16ELi16ELi64ELi64ELi4ELi64ELi4ELi4ELi64ELc67ELc78EKPK16rocblas_bfloat16KPKfKPfEEvlllT_PT11_llSC_llSA_PT12_llPT13_lli.num_vgpr, 58
	.set _ZN12_GLOBAL__N_127rocblas_gemm_batched_kernelIfLi16ELi16ELi64ELi64ELi4ELi64ELi4ELi4ELi64ELc67ELc78EKPK16rocblas_bfloat16KPKfKPfEEvlllT_PT11_llSC_llSA_PT12_llPT13_lli.num_agpr, 0
	.set _ZN12_GLOBAL__N_127rocblas_gemm_batched_kernelIfLi16ELi16ELi64ELi64ELi4ELi64ELi4ELi4ELi64ELc67ELc78EKPK16rocblas_bfloat16KPKfKPfEEvlllT_PT11_llSC_llSA_PT12_llPT13_lli.numbered_sgpr, 36
	.set _ZN12_GLOBAL__N_127rocblas_gemm_batched_kernelIfLi16ELi16ELi64ELi64ELi4ELi64ELi4ELi4ELi64ELc67ELc78EKPK16rocblas_bfloat16KPKfKPfEEvlllT_PT11_llSC_llSA_PT12_llPT13_lli.num_named_barrier, 0
	.set _ZN12_GLOBAL__N_127rocblas_gemm_batched_kernelIfLi16ELi16ELi64ELi64ELi4ELi64ELi4ELi4ELi64ELc67ELc78EKPK16rocblas_bfloat16KPKfKPfEEvlllT_PT11_llSC_llSA_PT12_llPT13_lli.private_seg_size, 0
	.set _ZN12_GLOBAL__N_127rocblas_gemm_batched_kernelIfLi16ELi16ELi64ELi64ELi4ELi64ELi4ELi4ELi64ELc67ELc78EKPK16rocblas_bfloat16KPKfKPfEEvlllT_PT11_llSC_llSA_PT12_llPT13_lli.uses_vcc, 1
	.set _ZN12_GLOBAL__N_127rocblas_gemm_batched_kernelIfLi16ELi16ELi64ELi64ELi4ELi64ELi4ELi4ELi64ELc67ELc78EKPK16rocblas_bfloat16KPKfKPfEEvlllT_PT11_llSC_llSA_PT12_llPT13_lli.uses_flat_scratch, 0
	.set _ZN12_GLOBAL__N_127rocblas_gemm_batched_kernelIfLi16ELi16ELi64ELi64ELi4ELi64ELi4ELi4ELi64ELc67ELc78EKPK16rocblas_bfloat16KPKfKPfEEvlllT_PT11_llSC_llSA_PT12_llPT13_lli.has_dyn_sized_stack, 0
	.set _ZN12_GLOBAL__N_127rocblas_gemm_batched_kernelIfLi16ELi16ELi64ELi64ELi4ELi64ELi4ELi4ELi64ELc67ELc78EKPK16rocblas_bfloat16KPKfKPfEEvlllT_PT11_llSC_llSA_PT12_llPT13_lli.has_recursion, 0
	.set _ZN12_GLOBAL__N_127rocblas_gemm_batched_kernelIfLi16ELi16ELi64ELi64ELi4ELi64ELi4ELi4ELi64ELc67ELc78EKPK16rocblas_bfloat16KPKfKPfEEvlllT_PT11_llSC_llSA_PT12_llPT13_lli.has_indirect_call, 0
	.section	.AMDGPU.csdata,"",@progbits
; Kernel info:
; codeLenInByte = 2340
; TotalNumSgprs: 38
; NumVgprs: 58
; ScratchSize: 0
; MemoryBound: 0
; FloatMode: 240
; IeeeMode: 1
; LDSByteSize: 2048 bytes/workgroup (compile time only)
; SGPRBlocks: 0
; VGPRBlocks: 7
; NumSGPRsForWavesPerEU: 38
; NumVGPRsForWavesPerEU: 58
; Occupancy: 16
; WaveLimiterHint : 1
; COMPUTE_PGM_RSRC2:SCRATCH_EN: 0
; COMPUTE_PGM_RSRC2:USER_SGPR: 6
; COMPUTE_PGM_RSRC2:TRAP_HANDLER: 0
; COMPUTE_PGM_RSRC2:TGID_X_EN: 1
; COMPUTE_PGM_RSRC2:TGID_Y_EN: 1
; COMPUTE_PGM_RSRC2:TGID_Z_EN: 1
; COMPUTE_PGM_RSRC2:TIDIG_COMP_CNT: 1
	.section	.text._ZN12_GLOBAL__N_127rocblas_gemm_batched_kernelIfLi16ELi16ELi64ELi64ELi4ELi64ELi4ELi4ELi64ELc67ELc84EKPK16rocblas_bfloat16KPKfKPfEEvlllT_PT11_llSC_llSA_PT12_llPT13_lli,"axG",@progbits,_ZN12_GLOBAL__N_127rocblas_gemm_batched_kernelIfLi16ELi16ELi64ELi64ELi4ELi64ELi4ELi4ELi64ELc67ELc84EKPK16rocblas_bfloat16KPKfKPfEEvlllT_PT11_llSC_llSA_PT12_llPT13_lli,comdat
	.globl	_ZN12_GLOBAL__N_127rocblas_gemm_batched_kernelIfLi16ELi16ELi64ELi64ELi4ELi64ELi4ELi4ELi64ELc67ELc84EKPK16rocblas_bfloat16KPKfKPfEEvlllT_PT11_llSC_llSA_PT12_llPT13_lli ; -- Begin function _ZN12_GLOBAL__N_127rocblas_gemm_batched_kernelIfLi16ELi16ELi64ELi64ELi4ELi64ELi4ELi4ELi64ELc67ELc84EKPK16rocblas_bfloat16KPKfKPfEEvlllT_PT11_llSC_llSA_PT12_llPT13_lli
	.p2align	8
	.type	_ZN12_GLOBAL__N_127rocblas_gemm_batched_kernelIfLi16ELi16ELi64ELi64ELi4ELi64ELi4ELi4ELi64ELc67ELc84EKPK16rocblas_bfloat16KPKfKPfEEvlllT_PT11_llSC_llSA_PT12_llPT13_lli,@function
_ZN12_GLOBAL__N_127rocblas_gemm_batched_kernelIfLi16ELi16ELi64ELi64ELi4ELi64ELi4ELi4ELi64ELc67ELc84EKPK16rocblas_bfloat16KPKfKPfEEvlllT_PT11_llSC_llSA_PT12_llPT13_lli: ; @_ZN12_GLOBAL__N_127rocblas_gemm_batched_kernelIfLi16ELi16ELi64ELi64ELi4ELi64ELi4ELi4ELi64ELc67ELc84EKPK16rocblas_bfloat16KPKfKPfEEvlllT_PT11_llSC_llSA_PT12_llPT13_lli
; %bb.0:
	s_clause 0x1
	s_load_dwordx8 s[12:19], s[4:5], 0x58
	s_load_dwordx2 s[28:29], s[4:5], 0x10
	s_mov_b32 s9, 0
	s_load_dwordx4 s[0:3], s[4:5], 0x78
	s_lshl_b64 s[34:35], s[8:9], 3
	s_mov_b32 s10, s7
	v_mov_b32_e32 v18, 0
	v_mov_b32_e32 v21, 0
	v_mov_b32_e32 v20, 0
	v_mov_b32_e32 v19, 0
	v_mov_b32_e32 v17, 0
	v_mov_b32_e32 v16, 0
	v_mov_b32_e32 v15, 0
	v_mov_b32_e32 v14, 0
	v_mov_b32_e32 v13, 0
	v_mov_b32_e32 v12, 0
	v_mov_b32_e32 v11, 0
	v_mov_b32_e32 v10, 0
	v_mov_b32_e32 v9, 0
	v_mov_b32_e32 v8, 0
	s_waitcnt lgkmcnt(0)
	s_add_u32 s8, s12, s34
	s_addc_u32 s9, s13, s35
	s_add_u32 s18, s18, s34
	s_addc_u32 s19, s19, s35
	s_load_dwordx2 s[12:13], s[8:9], 0x0
	s_load_dwordx2 s[18:19], s[18:19], 0x0
	v_cmp_lt_i64_e64 s20, s[28:29], 1
	v_mov_b32_e32 v2, 0
	v_mov_b32_e32 v3, 0
	s_ashr_i32 s7, s6, 31
	s_ashr_i32 s11, s10, 31
	s_lshl_b64 s[6:7], s[6:7], 6
	s_and_b32 vcc_lo, exec_lo, s20
	s_lshl_b64 s[30:31], s[10:11], 6
	s_cbranch_vccnz .LBB173_3
; %bb.1:
	s_clause 0x1
	s_load_dwordx8 s[20:27], s[4:5], 0x20
	s_load_dwordx4 s[8:11], s[4:5], 0x40
	v_lshlrev_b32_e32 v8, 4, v1
	v_and_b32_e32 v10, 3, v0
	v_mov_b32_e32 v3, 0
	v_lshlrev_b32_e32 v22, 2, v0
	v_add_nc_u32_e32 v9, v8, v0
	v_lshlrev_b32_e32 v12, 2, v10
	v_add_nc_u32_e32 v23, 0x400, v8
	v_mov_b32_e32 v16, v3
	v_mov_b32_e32 v17, v3
	v_and_b32_e32 v11, 63, v9
	v_lshrrev_b32_e32 v2, 2, v9
	v_lshrrev_b32_e32 v9, 6, v9
	v_mov_b32_e32 v19, v3
	v_mov_b32_e32 v20, v3
	v_add_co_u32 v6, s33, s6, v11
	v_add_co_ci_u32_e64 v7, null, s7, 0, s33
	s_waitcnt lgkmcnt(0)
	s_add_u32 s20, s20, s34
	s_addc_u32 s21, s21, s35
	s_add_u32 s26, s26, s34
	s_addc_u32 s27, s27, s35
	v_mad_u64_u32 v[4:5], null, s8, v10, v[2:3]
	s_load_dwordx2 s[26:27], s[26:27], 0x0
	v_mul_lo_u32 v13, s23, v6
	v_mul_lo_u32 v14, s22, v7
	v_mad_u64_u32 v[6:7], null, s22, v6, 0
	v_lshlrev_b32_e32 v11, 2, v11
	v_lshl_or_b32 v12, v2, 4, v12
	v_mov_b32_e32 v2, v5
	v_lshlrev_b32_e32 v15, 1, v9
	s_load_dwordx2 s[20:21], s[20:21], 0x0
	v_lshl_or_b32 v24, v9, 8, v11
	v_add3_u32 v7, v7, v14, v13
	v_mad_u64_u32 v[8:9], null, s9, v10, v[2:3]
	s_lshl_b64 s[10:11], s[10:11], 1
	v_add_nc_u32_e32 v25, 0x400, v12
	v_lshlrev_b64 v[5:6], 1, v[6:7]
	v_add_co_u32 v7, vcc_lo, v4, s30
	v_mov_b32_e32 v9, v3
	v_add_co_ci_u32_e64 v8, null, s31, v8, vcc_lo
	s_waitcnt lgkmcnt(0)
	s_add_u32 s22, s26, s10
	s_addc_u32 s23, s27, s11
	s_lshl_b64 s[10:11], s[24:25], 1
	v_mov_b32_e32 v10, v3
	v_add_co_u32 v2, vcc_lo, v5, s10
	v_add_co_ci_u32_e64 v6, null, s11, v6, vcc_lo
	v_lshlrev_b64 v[4:5], 1, v[7:8]
	v_add_co_u32 v2, vcc_lo, v2, v15
	v_add_co_ci_u32_e64 v7, null, 0, v6, vcc_lo
	v_mov_b32_e32 v8, v3
	v_add_co_u32 v4, vcc_lo, s22, v4
	v_add_co_ci_u32_e64 v5, null, s23, v5, vcc_lo
	v_add_co_u32 v6, vcc_lo, s20, v2
	v_add_co_ci_u32_e64 v7, null, s21, v7, vcc_lo
	v_mov_b32_e32 v2, v3
	v_mov_b32_e32 v11, v3
	;; [unrolled: 1-line block ×8, first 2 shown]
	s_lshl_b64 s[8:9], s[8:9], 3
	s_mov_b64 s[10:11], 0
.LBB173_2:                              ; =>This Inner Loop Header: Depth=1
	flat_load_ushort v26, v[6:7]
	flat_load_ushort v27, v[4:5]
	s_add_u32 s10, s10, 4
	s_addc_u32 s11, s11, 0
	v_add_co_u32 v4, vcc_lo, v4, s8
	v_cmp_lt_i64_e64 s20, s[10:11], s[28:29]
	v_add_co_ci_u32_e64 v5, null, s9, v5, vcc_lo
	v_add_co_u32 v6, vcc_lo, v6, 8
	v_add_co_ci_u32_e64 v7, null, 0, v7, vcc_lo
	s_and_b32 vcc_lo, exec_lo, s20
	s_waitcnt vmcnt(1) lgkmcnt(1)
	v_lshlrev_b32_e32 v26, 16, v26
	s_waitcnt vmcnt(0) lgkmcnt(0)
	v_lshlrev_b32_e32 v27, 16, v27
	ds_write_b32 v24, v26
	ds_write_b32 v25, v27
	s_waitcnt lgkmcnt(0)
	s_barrier
	buffer_gl0_inv
	ds_read_b128 v[26:29], v23
	ds_read2_b32 v[42:43], v22 offset1:16
	ds_read2_b32 v[44:45], v22 offset0:32 offset1:48
	ds_read_b128 v[30:33], v23 offset:256
	ds_read_b128 v[34:37], v23 offset:512
	;; [unrolled: 1-line block ×3, first 2 shown]
	ds_read2_b32 v[46:47], v22 offset0:64 offset1:80
	ds_read2_b32 v[48:49], v22 offset0:96 offset1:112
	;; [unrolled: 1-line block ×6, first 2 shown]
	s_waitcnt lgkmcnt(0)
	s_barrier
	buffer_gl0_inv
	v_fmac_f32_e32 v18, v42, v26
	v_fmac_f32_e32 v21, v43, v26
	;; [unrolled: 1-line block ×64, first 2 shown]
	s_cbranch_vccnz .LBB173_2
.LBB173_3:
	s_load_dword s8, s[4:5], 0x50
	s_lshl_b64 s[10:11], s[2:3], 2
	s_load_dword s2, s[4:5], 0x18
	v_add_co_u32 v4, s4, s30, v1
	v_add_co_ci_u32_e64 v7, null, s31, 0, s4
	v_add_co_u32 v0, s4, s6, v0
	v_add_co_ci_u32_e64 v1, null, s7, 0, s4
	v_mul_lo_u32 v5, v7, s0
	v_mul_lo_u32 v6, v4, s1
	s_waitcnt lgkmcnt(0)
	s_add_u32 s3, s18, s10
	v_lshlrev_b64 v[0:1], 2, v[0:1]
	s_addc_u32 s4, s19, s11
	v_cmp_neq_f32_e64 s5, s8, 0
	s_and_b32 vcc_lo, exec_lo, s5
	s_mov_b32 s5, 0
	s_cbranch_vccnz .LBB173_7
; %bb.4:
	v_mad_u64_u32 v[22:23], null, v4, s0, 0
	s_lshl_b64 s[6:7], s[0:1], 6
	v_mul_f32_e32 v26, s2, v18
	v_mul_f32_e32 v27, s2, v21
	;; [unrolled: 1-line block ×5, first 2 shown]
	v_add3_u32 v23, v23, v6, v5
	v_mul_f32_e32 v31, s2, v16
	v_mul_f32_e32 v32, s2, v15
	;; [unrolled: 1-line block ×3, first 2 shown]
	v_lshlrev_b64 v[22:23], 2, v[22:23]
	v_add_co_u32 v22, vcc_lo, s3, v22
	v_add_co_ci_u32_e64 v23, null, s4, v23, vcc_lo
	v_add_co_u32 v34, vcc_lo, v22, s6
	v_add_co_ci_u32_e64 v35, null, s7, v23, vcc_lo
	;; [unrolled: 2-line block ×4, first 2 shown]
	flat_store_dword v[22:23], v26
	flat_store_dword v[22:23], v27 offset:64
	flat_store_dword v[22:23], v28 offset:128
	;; [unrolled: 1-line block ×3, first 2 shown]
	flat_store_dword v[24:25], v30
	flat_store_dword v[24:25], v31 offset:64
	v_add_co_u32 v26, vcc_lo, v34, s6
	v_add_co_ci_u32_e64 v27, null, s7, v35, vcc_lo
	v_mul_f32_e32 v28, s2, v13
	v_add_co_u32 v22, vcc_lo, v26, v0
	v_add_co_ci_u32_e64 v23, null, v27, v1, vcc_lo
	v_mul_f32_e32 v29, s2, v12
	v_mul_f32_e32 v30, s2, v11
	flat_store_dword v[24:25], v32 offset:128
	flat_store_dword v[24:25], v33 offset:192
	flat_store_dword v[22:23], v28
	flat_store_dword v[22:23], v29 offset:64
	flat_store_dword v[22:23], v30 offset:128
	v_add_co_u32 v24, vcc_lo, v26, s6
	v_add_co_ci_u32_e64 v25, null, s7, v27, vcc_lo
	v_mul_f32_e32 v28, s2, v10
	v_add_co_u32 v24, vcc_lo, v24, v0
	v_mul_f32_e32 v26, s2, v9
	v_add_co_ci_u32_e64 v25, null, v25, v1, vcc_lo
	v_mul_f32_e32 v27, s2, v8
	v_mul_f32_e32 v29, s2, v2
	;; [unrolled: 1-line block ×3, first 2 shown]
	flat_store_dword v[22:23], v28 offset:192
	flat_store_dword v[24:25], v26
	flat_store_dword v[24:25], v27 offset:64
	flat_store_dword v[24:25], v29 offset:128
	;; [unrolled: 1-line block ×3, first 2 shown]
	s_andn2_b32 vcc_lo, exec_lo, s5
	s_cbranch_vccnz .LBB173_6
.LBB173_5:
	v_mul_lo_u32 v7, v7, s14
	v_mul_lo_u32 v24, v4, s15
	v_mad_u64_u32 v[22:23], null, v4, s14, 0
	s_lshl_b64 s[6:7], s[16:17], 2
	s_add_u32 s5, s12, s6
	s_addc_u32 s6, s13, s7
	v_add3_u32 v23, v23, v24, v7
	v_mad_u64_u32 v[24:25], null, v4, s0, 0
	s_lshl_b64 s[0:1], s[0:1], 6
	v_lshlrev_b64 v[22:23], 2, v[22:23]
	v_add3_u32 v25, v25, v6, v5
	v_add_co_u32 v7, vcc_lo, s5, v22
	v_add_co_ci_u32_e64 v26, null, s6, v23, vcc_lo
	v_lshlrev_b64 v[4:5], 2, v[24:25]
	v_add_co_u32 v22, vcc_lo, v7, v0
	v_add_co_ci_u32_e64 v23, null, v26, v1, vcc_lo
	v_add_co_u32 v24, vcc_lo, s3, v4
	flat_load_dword v27, v[22:23]
	v_add_co_ci_u32_e64 v25, null, s4, v5, vcc_lo
	v_add_co_u32 v4, vcc_lo, v24, v0
	s_lshl_b64 s[4:5], s[14:15], 6
	v_add_co_ci_u32_e64 v5, null, v25, v1, vcc_lo
	s_waitcnt vmcnt(0) lgkmcnt(0)
	v_mul_f32_e32 v6, s8, v27
	v_fmac_f32_e32 v6, s2, v18
	flat_store_dword v[4:5], v6
	flat_load_dword v6, v[22:23] offset:64
	s_waitcnt vmcnt(0) lgkmcnt(0)
	v_mul_f32_e32 v6, s8, v6
	v_fmac_f32_e32 v6, s2, v21
	flat_store_dword v[4:5], v6 offset:64
	flat_load_dword v6, v[22:23] offset:128
	s_waitcnt vmcnt(0) lgkmcnt(0)
	v_mul_f32_e32 v6, s8, v6
	v_fmac_f32_e32 v6, s2, v20
	v_add_co_u32 v20, vcc_lo, v7, s4
	v_add_co_ci_u32_e64 v21, null, s5, v26, vcc_lo
	flat_store_dword v[4:5], v6 offset:128
	flat_load_dword v6, v[22:23] offset:192
	s_waitcnt vmcnt(0) lgkmcnt(0)
	v_mul_f32_e32 v18, s8, v6
	v_add_co_u32 v6, vcc_lo, v20, v0
	v_add_co_ci_u32_e64 v7, null, v21, v1, vcc_lo
	v_fmac_f32_e32 v18, s2, v19
	flat_store_dword v[4:5], v18 offset:192
	flat_load_dword v4, v[6:7]
	v_add_co_u32 v18, vcc_lo, v24, s0
	v_add_co_ci_u32_e64 v19, null, s1, v25, vcc_lo
	s_waitcnt vmcnt(0) lgkmcnt(0)
	v_mul_f32_e32 v22, s8, v4
	v_add_co_u32 v4, vcc_lo, v18, v0
	v_add_co_ci_u32_e64 v5, null, v19, v1, vcc_lo
	v_fmac_f32_e32 v22, s2, v17
	flat_store_dword v[4:5], v22
	flat_load_dword v17, v[6:7] offset:64
	s_waitcnt vmcnt(0) lgkmcnt(0)
	v_mul_f32_e32 v17, s8, v17
	v_fmac_f32_e32 v17, s2, v16
	flat_store_dword v[4:5], v17 offset:64
	flat_load_dword v16, v[6:7] offset:128
	s_waitcnt vmcnt(0) lgkmcnt(0)
	v_mul_f32_e32 v16, s8, v16
	v_fmac_f32_e32 v16, s2, v15
	flat_store_dword v[4:5], v16 offset:128
	flat_load_dword v6, v[6:7] offset:192
	v_add_co_u32 v16, vcc_lo, v20, s4
	v_add_co_ci_u32_e64 v17, null, s5, v21, vcc_lo
	s_waitcnt vmcnt(0) lgkmcnt(0)
	v_mul_f32_e32 v15, s8, v6
	v_add_co_u32 v6, vcc_lo, v16, v0
	v_add_co_ci_u32_e64 v7, null, v17, v1, vcc_lo
	v_fmac_f32_e32 v15, s2, v14
	v_add_co_u32 v14, vcc_lo, v18, s0
	flat_store_dword v[4:5], v15 offset:192
	flat_load_dword v4, v[6:7]
	v_add_co_ci_u32_e64 v15, null, s1, v19, vcc_lo
	s_waitcnt vmcnt(0) lgkmcnt(0)
	v_mul_f32_e32 v18, s8, v4
	v_add_co_u32 v4, vcc_lo, v14, v0
	v_add_co_ci_u32_e64 v5, null, v15, v1, vcc_lo
	v_fmac_f32_e32 v18, s2, v13
	flat_store_dword v[4:5], v18
	flat_load_dword v13, v[6:7] offset:64
	s_waitcnt vmcnt(0) lgkmcnt(0)
	v_mul_f32_e32 v13, s8, v13
	v_fmac_f32_e32 v13, s2, v12
	flat_store_dword v[4:5], v13 offset:64
	flat_load_dword v12, v[6:7] offset:128
	s_waitcnt vmcnt(0) lgkmcnt(0)
	v_mul_f32_e32 v12, s8, v12
	v_fmac_f32_e32 v12, s2, v11
	flat_store_dword v[4:5], v12 offset:128
	flat_load_dword v6, v[6:7] offset:192
	s_waitcnt vmcnt(0) lgkmcnt(0)
	v_mul_f32_e32 v11, s8, v6
	v_add_co_u32 v6, vcc_lo, v16, s4
	v_add_co_ci_u32_e64 v7, null, s5, v17, vcc_lo
	v_fmac_f32_e32 v11, s2, v10
	v_add_co_u32 v6, vcc_lo, v6, v0
	v_add_co_ci_u32_e64 v7, null, v7, v1, vcc_lo
	flat_store_dword v[4:5], v11 offset:192
	v_add_co_u32 v5, vcc_lo, v14, s0
	flat_load_dword v4, v[6:7]
	v_add_co_ci_u32_e64 v10, null, s1, v15, vcc_lo
	v_add_co_u32 v0, vcc_lo, v5, v0
	v_add_co_ci_u32_e64 v1, null, v10, v1, vcc_lo
	s_waitcnt vmcnt(0) lgkmcnt(0)
	v_mul_f32_e32 v4, s8, v4
	v_fmac_f32_e32 v4, s2, v9
	flat_store_dword v[0:1], v4
	flat_load_dword v4, v[6:7] offset:64
	s_waitcnt vmcnt(0) lgkmcnt(0)
	v_mul_f32_e32 v4, s8, v4
	v_fmac_f32_e32 v4, s2, v8
	flat_store_dword v[0:1], v4 offset:64
	flat_load_dword v4, v[6:7] offset:128
	s_waitcnt vmcnt(0) lgkmcnt(0)
	v_mul_f32_e32 v4, s8, v4
	v_fmac_f32_e32 v4, s2, v2
	flat_store_dword v[0:1], v4 offset:128
	;; [unrolled: 5-line block ×3, first 2 shown]
.LBB173_6:
	s_endpgm
.LBB173_7:
	s_branch .LBB173_5
	.section	.rodata,"a",@progbits
	.p2align	6, 0x0
	.amdhsa_kernel _ZN12_GLOBAL__N_127rocblas_gemm_batched_kernelIfLi16ELi16ELi64ELi64ELi4ELi64ELi4ELi4ELi64ELc67ELc84EKPK16rocblas_bfloat16KPKfKPfEEvlllT_PT11_llSC_llSA_PT12_llPT13_lli
		.amdhsa_group_segment_fixed_size 2048
		.amdhsa_private_segment_fixed_size 0
		.amdhsa_kernarg_size 140
		.amdhsa_user_sgpr_count 6
		.amdhsa_user_sgpr_private_segment_buffer 1
		.amdhsa_user_sgpr_dispatch_ptr 0
		.amdhsa_user_sgpr_queue_ptr 0
		.amdhsa_user_sgpr_kernarg_segment_ptr 1
		.amdhsa_user_sgpr_dispatch_id 0
		.amdhsa_user_sgpr_flat_scratch_init 0
		.amdhsa_user_sgpr_private_segment_size 0
		.amdhsa_wavefront_size32 1
		.amdhsa_uses_dynamic_stack 0
		.amdhsa_system_sgpr_private_segment_wavefront_offset 0
		.amdhsa_system_sgpr_workgroup_id_x 1
		.amdhsa_system_sgpr_workgroup_id_y 1
		.amdhsa_system_sgpr_workgroup_id_z 1
		.amdhsa_system_sgpr_workgroup_info 0
		.amdhsa_system_vgpr_workitem_id 1
		.amdhsa_next_free_vgpr 58
		.amdhsa_next_free_sgpr 36
		.amdhsa_reserve_vcc 1
		.amdhsa_reserve_flat_scratch 0
		.amdhsa_float_round_mode_32 0
		.amdhsa_float_round_mode_16_64 0
		.amdhsa_float_denorm_mode_32 3
		.amdhsa_float_denorm_mode_16_64 3
		.amdhsa_dx10_clamp 1
		.amdhsa_ieee_mode 1
		.amdhsa_fp16_overflow 0
		.amdhsa_workgroup_processor_mode 1
		.amdhsa_memory_ordered 1
		.amdhsa_forward_progress 1
		.amdhsa_shared_vgpr_count 0
		.amdhsa_exception_fp_ieee_invalid_op 0
		.amdhsa_exception_fp_denorm_src 0
		.amdhsa_exception_fp_ieee_div_zero 0
		.amdhsa_exception_fp_ieee_overflow 0
		.amdhsa_exception_fp_ieee_underflow 0
		.amdhsa_exception_fp_ieee_inexact 0
		.amdhsa_exception_int_div_zero 0
	.end_amdhsa_kernel
	.section	.text._ZN12_GLOBAL__N_127rocblas_gemm_batched_kernelIfLi16ELi16ELi64ELi64ELi4ELi64ELi4ELi4ELi64ELc67ELc84EKPK16rocblas_bfloat16KPKfKPfEEvlllT_PT11_llSC_llSA_PT12_llPT13_lli,"axG",@progbits,_ZN12_GLOBAL__N_127rocblas_gemm_batched_kernelIfLi16ELi16ELi64ELi64ELi4ELi64ELi4ELi4ELi64ELc67ELc84EKPK16rocblas_bfloat16KPKfKPfEEvlllT_PT11_llSC_llSA_PT12_llPT13_lli,comdat
.Lfunc_end173:
	.size	_ZN12_GLOBAL__N_127rocblas_gemm_batched_kernelIfLi16ELi16ELi64ELi64ELi4ELi64ELi4ELi4ELi64ELc67ELc84EKPK16rocblas_bfloat16KPKfKPfEEvlllT_PT11_llSC_llSA_PT12_llPT13_lli, .Lfunc_end173-_ZN12_GLOBAL__N_127rocblas_gemm_batched_kernelIfLi16ELi16ELi64ELi64ELi4ELi64ELi4ELi4ELi64ELc67ELc84EKPK16rocblas_bfloat16KPKfKPfEEvlllT_PT11_llSC_llSA_PT12_llPT13_lli
                                        ; -- End function
	.set _ZN12_GLOBAL__N_127rocblas_gemm_batched_kernelIfLi16ELi16ELi64ELi64ELi4ELi64ELi4ELi4ELi64ELc67ELc84EKPK16rocblas_bfloat16KPKfKPfEEvlllT_PT11_llSC_llSA_PT12_llPT13_lli.num_vgpr, 58
	.set _ZN12_GLOBAL__N_127rocblas_gemm_batched_kernelIfLi16ELi16ELi64ELi64ELi4ELi64ELi4ELi4ELi64ELc67ELc84EKPK16rocblas_bfloat16KPKfKPfEEvlllT_PT11_llSC_llSA_PT12_llPT13_lli.num_agpr, 0
	.set _ZN12_GLOBAL__N_127rocblas_gemm_batched_kernelIfLi16ELi16ELi64ELi64ELi4ELi64ELi4ELi4ELi64ELc67ELc84EKPK16rocblas_bfloat16KPKfKPfEEvlllT_PT11_llSC_llSA_PT12_llPT13_lli.numbered_sgpr, 36
	.set _ZN12_GLOBAL__N_127rocblas_gemm_batched_kernelIfLi16ELi16ELi64ELi64ELi4ELi64ELi4ELi4ELi64ELc67ELc84EKPK16rocblas_bfloat16KPKfKPfEEvlllT_PT11_llSC_llSA_PT12_llPT13_lli.num_named_barrier, 0
	.set _ZN12_GLOBAL__N_127rocblas_gemm_batched_kernelIfLi16ELi16ELi64ELi64ELi4ELi64ELi4ELi4ELi64ELc67ELc84EKPK16rocblas_bfloat16KPKfKPfEEvlllT_PT11_llSC_llSA_PT12_llPT13_lli.private_seg_size, 0
	.set _ZN12_GLOBAL__N_127rocblas_gemm_batched_kernelIfLi16ELi16ELi64ELi64ELi4ELi64ELi4ELi4ELi64ELc67ELc84EKPK16rocblas_bfloat16KPKfKPfEEvlllT_PT11_llSC_llSA_PT12_llPT13_lli.uses_vcc, 1
	.set _ZN12_GLOBAL__N_127rocblas_gemm_batched_kernelIfLi16ELi16ELi64ELi64ELi4ELi64ELi4ELi4ELi64ELc67ELc84EKPK16rocblas_bfloat16KPKfKPfEEvlllT_PT11_llSC_llSA_PT12_llPT13_lli.uses_flat_scratch, 0
	.set _ZN12_GLOBAL__N_127rocblas_gemm_batched_kernelIfLi16ELi16ELi64ELi64ELi4ELi64ELi4ELi4ELi64ELc67ELc84EKPK16rocblas_bfloat16KPKfKPfEEvlllT_PT11_llSC_llSA_PT12_llPT13_lli.has_dyn_sized_stack, 0
	.set _ZN12_GLOBAL__N_127rocblas_gemm_batched_kernelIfLi16ELi16ELi64ELi64ELi4ELi64ELi4ELi4ELi64ELc67ELc84EKPK16rocblas_bfloat16KPKfKPfEEvlllT_PT11_llSC_llSA_PT12_llPT13_lli.has_recursion, 0
	.set _ZN12_GLOBAL__N_127rocblas_gemm_batched_kernelIfLi16ELi16ELi64ELi64ELi4ELi64ELi4ELi4ELi64ELc67ELc84EKPK16rocblas_bfloat16KPKfKPfEEvlllT_PT11_llSC_llSA_PT12_llPT13_lli.has_indirect_call, 0
	.section	.AMDGPU.csdata,"",@progbits
; Kernel info:
; codeLenInByte = 2304
; TotalNumSgprs: 38
; NumVgprs: 58
; ScratchSize: 0
; MemoryBound: 0
; FloatMode: 240
; IeeeMode: 1
; LDSByteSize: 2048 bytes/workgroup (compile time only)
; SGPRBlocks: 0
; VGPRBlocks: 7
; NumSGPRsForWavesPerEU: 38
; NumVGPRsForWavesPerEU: 58
; Occupancy: 16
; WaveLimiterHint : 1
; COMPUTE_PGM_RSRC2:SCRATCH_EN: 0
; COMPUTE_PGM_RSRC2:USER_SGPR: 6
; COMPUTE_PGM_RSRC2:TRAP_HANDLER: 0
; COMPUTE_PGM_RSRC2:TGID_X_EN: 1
; COMPUTE_PGM_RSRC2:TGID_Y_EN: 1
; COMPUTE_PGM_RSRC2:TGID_Z_EN: 1
; COMPUTE_PGM_RSRC2:TIDIG_COMP_CNT: 1
	.section	.text._ZN12_GLOBAL__N_127rocblas_gemm_batched_kernelIfLi16ELi16ELi64ELi64ELi4ELi64ELi4ELi4ELi64ELc78ELc67EKPK16rocblas_bfloat16KPKfKPfEEvlllT_PT11_llSC_llSA_PT12_llPT13_lli,"axG",@progbits,_ZN12_GLOBAL__N_127rocblas_gemm_batched_kernelIfLi16ELi16ELi64ELi64ELi4ELi64ELi4ELi4ELi64ELc78ELc67EKPK16rocblas_bfloat16KPKfKPfEEvlllT_PT11_llSC_llSA_PT12_llPT13_lli,comdat
	.globl	_ZN12_GLOBAL__N_127rocblas_gemm_batched_kernelIfLi16ELi16ELi64ELi64ELi4ELi64ELi4ELi4ELi64ELc78ELc67EKPK16rocblas_bfloat16KPKfKPfEEvlllT_PT11_llSC_llSA_PT12_llPT13_lli ; -- Begin function _ZN12_GLOBAL__N_127rocblas_gemm_batched_kernelIfLi16ELi16ELi64ELi64ELi4ELi64ELi4ELi4ELi64ELc78ELc67EKPK16rocblas_bfloat16KPKfKPfEEvlllT_PT11_llSC_llSA_PT12_llPT13_lli
	.p2align	8
	.type	_ZN12_GLOBAL__N_127rocblas_gemm_batched_kernelIfLi16ELi16ELi64ELi64ELi4ELi64ELi4ELi4ELi64ELc78ELc67EKPK16rocblas_bfloat16KPKfKPfEEvlllT_PT11_llSC_llSA_PT12_llPT13_lli,@function
_ZN12_GLOBAL__N_127rocblas_gemm_batched_kernelIfLi16ELi16ELi64ELi64ELi4ELi64ELi4ELi4ELi64ELc78ELc67EKPK16rocblas_bfloat16KPKfKPfEEvlllT_PT11_llSC_llSA_PT12_llPT13_lli: ; @_ZN12_GLOBAL__N_127rocblas_gemm_batched_kernelIfLi16ELi16ELi64ELi64ELi4ELi64ELi4ELi4ELi64ELc78ELc67EKPK16rocblas_bfloat16KPKfKPfEEvlllT_PT11_llSC_llSA_PT12_llPT13_lli
; %bb.0:
	s_clause 0x1
	s_load_dwordx8 s[12:19], s[4:5], 0x58
	s_load_dwordx2 s[28:29], s[4:5], 0x10
	s_mov_b32 s9, 0
	s_load_dwordx4 s[0:3], s[4:5], 0x78
	s_lshl_b64 s[34:35], s[8:9], 3
	s_mov_b32 s10, s7
	v_mov_b32_e32 v18, 0
	v_mov_b32_e32 v21, 0
	;; [unrolled: 1-line block ×14, first 2 shown]
	s_waitcnt lgkmcnt(0)
	s_add_u32 s8, s12, s34
	s_addc_u32 s9, s13, s35
	s_add_u32 s18, s18, s34
	s_addc_u32 s19, s19, s35
	s_load_dwordx2 s[12:13], s[8:9], 0x0
	s_load_dwordx2 s[18:19], s[18:19], 0x0
	v_cmp_lt_i64_e64 s20, s[28:29], 1
	v_mov_b32_e32 v2, 0
	v_mov_b32_e32 v3, 0
	s_ashr_i32 s7, s6, 31
	s_ashr_i32 s11, s10, 31
	s_lshl_b64 s[6:7], s[6:7], 6
	s_and_b32 vcc_lo, exec_lo, s20
	s_lshl_b64 s[30:31], s[10:11], 6
	s_cbranch_vccnz .LBB174_3
; %bb.1:
	s_clause 0x1
	s_load_dwordx8 s[20:27], s[4:5], 0x20
	s_load_dwordx4 s[8:11], s[4:5], 0x40
	v_lshlrev_b32_e32 v8, 4, v1
	v_and_b32_e32 v9, 3, v0
	v_mov_b32_e32 v3, 0
	v_lshlrev_b32_e32 v22, 2, v0
	v_add_nc_u32_e32 v4, v8, v0
	v_lshlrev_b32_e32 v11, 2, v9
	v_add_nc_u32_e32 v23, 0x400, v8
	v_mov_b32_e32 v14, v3
	v_mov_b32_e32 v15, v3
	v_lshrrev_b32_e32 v2, 2, v4
	v_lshrrev_b32_e32 v12, 6, v4
	v_and_b32_e32 v10, 63, v4
	v_mov_b32_e32 v16, v3
	v_mov_b32_e32 v17, v3
	v_lshl_or_b32 v11, v2, 4, v11
	v_mov_b32_e32 v19, v3
	v_lshlrev_b32_e32 v13, 2, v10
	s_waitcnt lgkmcnt(0)
	v_mad_u64_u32 v[6:7], null, s22, v12, s[6:7]
	v_mad_u64_u32 v[4:5], null, s8, v9, v[2:3]
	s_add_u32 s20, s20, s34
	s_addc_u32 s21, s21, s35
	s_add_u32 s26, s26, s34
	s_addc_u32 s27, s27, s35
	s_load_dwordx2 s[20:21], s[20:21], 0x0
	s_load_dwordx2 s[26:27], s[26:27], 0x0
	v_mov_b32_e32 v2, v5
	v_mov_b32_e32 v5, v7
	v_add_co_u32 v4, vcc_lo, v4, s30
	s_lshl_b64 s[10:11], s[10:11], 1
	v_mad_u64_u32 v[7:8], null, s9, v9, v[2:3]
	v_mad_u64_u32 v[8:9], null, s23, v12, v[5:6]
	v_lshl_or_b32 v24, v12, 8, v13
	v_add_nc_u32_e32 v25, 0x400, v11
	v_mov_b32_e32 v2, v3
	v_mov_b32_e32 v9, v3
	v_add_co_ci_u32_e64 v5, null, s31, v7, vcc_lo
	v_add_co_u32 v6, vcc_lo, v6, v10
	v_add_co_ci_u32_e64 v7, null, 0, v8, vcc_lo
	v_lshlrev_b64 v[4:5], 1, v[4:5]
	s_waitcnt lgkmcnt(0)
	s_add_u32 s26, s26, s10
	s_addc_u32 s27, s27, s11
	v_lshlrev_b64 v[6:7], 1, v[6:7]
	s_lshl_b64 s[10:11], s[24:25], 1
	s_lshl_b64 s[8:9], s[8:9], 3
	s_add_u32 s10, s20, s10
	v_add_co_u32 v4, vcc_lo, s26, v4
	s_addc_u32 s11, s21, s11
	v_add_co_ci_u32_e64 v5, null, s27, v5, vcc_lo
	v_add_co_u32 v6, vcc_lo, s10, v6
	v_add_co_ci_u32_e64 v7, null, s11, v7, vcc_lo
	v_mov_b32_e32 v8, v3
	v_mov_b32_e32 v10, v3
	;; [unrolled: 1-line block ×8, first 2 shown]
	s_lshl_b64 s[10:11], s[22:23], 3
	s_mov_b64 s[20:21], 0
.LBB174_2:                              ; =>This Inner Loop Header: Depth=1
	flat_load_ushort v26, v[6:7]
	flat_load_ushort v27, v[4:5]
	s_add_u32 s20, s20, 4
	s_addc_u32 s21, s21, 0
	v_add_co_u32 v4, vcc_lo, v4, s8
	v_cmp_lt_i64_e64 s22, s[20:21], s[28:29]
	v_add_co_ci_u32_e64 v5, null, s9, v5, vcc_lo
	v_add_co_u32 v6, vcc_lo, v6, s10
	v_add_co_ci_u32_e64 v7, null, s11, v7, vcc_lo
	s_and_b32 vcc_lo, exec_lo, s22
	s_waitcnt vmcnt(1) lgkmcnt(1)
	v_lshlrev_b32_e32 v26, 16, v26
	s_waitcnt vmcnt(0) lgkmcnt(0)
	v_lshlrev_b32_e32 v27, 16, v27
	ds_write_b32 v24, v26
	ds_write_b32 v25, v27
	s_waitcnt lgkmcnt(0)
	s_barrier
	buffer_gl0_inv
	ds_read_b128 v[26:29], v23
	ds_read2_b32 v[42:43], v22 offset1:16
	ds_read2_b32 v[44:45], v22 offset0:32 offset1:48
	ds_read_b128 v[30:33], v23 offset:256
	ds_read_b128 v[34:37], v23 offset:512
	;; [unrolled: 1-line block ×3, first 2 shown]
	ds_read2_b32 v[46:47], v22 offset0:64 offset1:80
	ds_read2_b32 v[48:49], v22 offset0:96 offset1:112
	;; [unrolled: 1-line block ×6, first 2 shown]
	s_waitcnt lgkmcnt(0)
	s_barrier
	buffer_gl0_inv
	v_fmac_f32_e32 v18, v42, v26
	v_fmac_f32_e32 v21, v43, v26
	;; [unrolled: 1-line block ×64, first 2 shown]
	s_cbranch_vccnz .LBB174_2
.LBB174_3:
	s_load_dword s8, s[4:5], 0x50
	s_lshl_b64 s[10:11], s[2:3], 2
	s_load_dword s2, s[4:5], 0x18
	v_add_co_u32 v4, s4, s30, v1
	v_add_co_ci_u32_e64 v7, null, s31, 0, s4
	v_add_co_u32 v0, s4, s6, v0
	v_add_co_ci_u32_e64 v1, null, s7, 0, s4
	v_mul_lo_u32 v5, v7, s0
	v_mul_lo_u32 v6, v4, s1
	s_waitcnt lgkmcnt(0)
	s_add_u32 s3, s18, s10
	v_lshlrev_b64 v[0:1], 2, v[0:1]
	s_addc_u32 s4, s19, s11
	v_cmp_neq_f32_e64 s5, s8, 0
	s_and_b32 vcc_lo, exec_lo, s5
	s_mov_b32 s5, 0
	s_cbranch_vccnz .LBB174_7
; %bb.4:
	v_mad_u64_u32 v[22:23], null, v4, s0, 0
	s_lshl_b64 s[6:7], s[0:1], 6
	v_mul_f32_e32 v26, s2, v18
	v_mul_f32_e32 v27, s2, v21
	;; [unrolled: 1-line block ×5, first 2 shown]
	v_add3_u32 v23, v23, v6, v5
	v_mul_f32_e32 v31, s2, v16
	v_mul_f32_e32 v32, s2, v15
	v_mul_f32_e32 v33, s2, v14
	v_lshlrev_b64 v[22:23], 2, v[22:23]
	v_add_co_u32 v22, vcc_lo, s3, v22
	v_add_co_ci_u32_e64 v23, null, s4, v23, vcc_lo
	v_add_co_u32 v34, vcc_lo, v22, s6
	v_add_co_ci_u32_e64 v35, null, s7, v23, vcc_lo
	;; [unrolled: 2-line block ×4, first 2 shown]
	flat_store_dword v[22:23], v26
	flat_store_dword v[22:23], v27 offset:64
	flat_store_dword v[22:23], v28 offset:128
	;; [unrolled: 1-line block ×3, first 2 shown]
	flat_store_dword v[24:25], v30
	flat_store_dword v[24:25], v31 offset:64
	v_add_co_u32 v26, vcc_lo, v34, s6
	v_add_co_ci_u32_e64 v27, null, s7, v35, vcc_lo
	v_mul_f32_e32 v28, s2, v13
	v_add_co_u32 v22, vcc_lo, v26, v0
	v_add_co_ci_u32_e64 v23, null, v27, v1, vcc_lo
	v_mul_f32_e32 v29, s2, v12
	v_mul_f32_e32 v30, s2, v11
	flat_store_dword v[24:25], v32 offset:128
	flat_store_dword v[24:25], v33 offset:192
	flat_store_dword v[22:23], v28
	flat_store_dword v[22:23], v29 offset:64
	flat_store_dword v[22:23], v30 offset:128
	v_add_co_u32 v24, vcc_lo, v26, s6
	v_add_co_ci_u32_e64 v25, null, s7, v27, vcc_lo
	v_mul_f32_e32 v28, s2, v10
	v_add_co_u32 v24, vcc_lo, v24, v0
	v_mul_f32_e32 v26, s2, v9
	v_add_co_ci_u32_e64 v25, null, v25, v1, vcc_lo
	v_mul_f32_e32 v27, s2, v8
	v_mul_f32_e32 v29, s2, v2
	;; [unrolled: 1-line block ×3, first 2 shown]
	flat_store_dword v[22:23], v28 offset:192
	flat_store_dword v[24:25], v26
	flat_store_dword v[24:25], v27 offset:64
	flat_store_dword v[24:25], v29 offset:128
	;; [unrolled: 1-line block ×3, first 2 shown]
	s_andn2_b32 vcc_lo, exec_lo, s5
	s_cbranch_vccnz .LBB174_6
.LBB174_5:
	v_mul_lo_u32 v7, v7, s14
	v_mul_lo_u32 v24, v4, s15
	v_mad_u64_u32 v[22:23], null, v4, s14, 0
	s_lshl_b64 s[6:7], s[16:17], 2
	s_add_u32 s5, s12, s6
	s_addc_u32 s6, s13, s7
	v_add3_u32 v23, v23, v24, v7
	v_mad_u64_u32 v[24:25], null, v4, s0, 0
	s_lshl_b64 s[0:1], s[0:1], 6
	v_lshlrev_b64 v[22:23], 2, v[22:23]
	v_add3_u32 v25, v25, v6, v5
	v_add_co_u32 v7, vcc_lo, s5, v22
	v_add_co_ci_u32_e64 v26, null, s6, v23, vcc_lo
	v_lshlrev_b64 v[4:5], 2, v[24:25]
	v_add_co_u32 v22, vcc_lo, v7, v0
	v_add_co_ci_u32_e64 v23, null, v26, v1, vcc_lo
	v_add_co_u32 v24, vcc_lo, s3, v4
	flat_load_dword v27, v[22:23]
	v_add_co_ci_u32_e64 v25, null, s4, v5, vcc_lo
	v_add_co_u32 v4, vcc_lo, v24, v0
	s_lshl_b64 s[4:5], s[14:15], 6
	v_add_co_ci_u32_e64 v5, null, v25, v1, vcc_lo
	s_waitcnt vmcnt(0) lgkmcnt(0)
	v_mul_f32_e32 v6, s8, v27
	v_fmac_f32_e32 v6, s2, v18
	flat_store_dword v[4:5], v6
	flat_load_dword v6, v[22:23] offset:64
	s_waitcnt vmcnt(0) lgkmcnt(0)
	v_mul_f32_e32 v6, s8, v6
	v_fmac_f32_e32 v6, s2, v21
	flat_store_dword v[4:5], v6 offset:64
	flat_load_dword v6, v[22:23] offset:128
	s_waitcnt vmcnt(0) lgkmcnt(0)
	v_mul_f32_e32 v6, s8, v6
	v_fmac_f32_e32 v6, s2, v20
	v_add_co_u32 v20, vcc_lo, v7, s4
	v_add_co_ci_u32_e64 v21, null, s5, v26, vcc_lo
	flat_store_dword v[4:5], v6 offset:128
	flat_load_dword v6, v[22:23] offset:192
	s_waitcnt vmcnt(0) lgkmcnt(0)
	v_mul_f32_e32 v18, s8, v6
	v_add_co_u32 v6, vcc_lo, v20, v0
	v_add_co_ci_u32_e64 v7, null, v21, v1, vcc_lo
	v_fmac_f32_e32 v18, s2, v19
	flat_store_dword v[4:5], v18 offset:192
	flat_load_dword v4, v[6:7]
	v_add_co_u32 v18, vcc_lo, v24, s0
	v_add_co_ci_u32_e64 v19, null, s1, v25, vcc_lo
	s_waitcnt vmcnt(0) lgkmcnt(0)
	v_mul_f32_e32 v22, s8, v4
	v_add_co_u32 v4, vcc_lo, v18, v0
	v_add_co_ci_u32_e64 v5, null, v19, v1, vcc_lo
	v_fmac_f32_e32 v22, s2, v17
	flat_store_dword v[4:5], v22
	flat_load_dword v17, v[6:7] offset:64
	s_waitcnt vmcnt(0) lgkmcnt(0)
	v_mul_f32_e32 v17, s8, v17
	v_fmac_f32_e32 v17, s2, v16
	flat_store_dword v[4:5], v17 offset:64
	flat_load_dword v16, v[6:7] offset:128
	s_waitcnt vmcnt(0) lgkmcnt(0)
	v_mul_f32_e32 v16, s8, v16
	v_fmac_f32_e32 v16, s2, v15
	flat_store_dword v[4:5], v16 offset:128
	flat_load_dword v6, v[6:7] offset:192
	v_add_co_u32 v16, vcc_lo, v20, s4
	v_add_co_ci_u32_e64 v17, null, s5, v21, vcc_lo
	s_waitcnt vmcnt(0) lgkmcnt(0)
	v_mul_f32_e32 v15, s8, v6
	v_add_co_u32 v6, vcc_lo, v16, v0
	v_add_co_ci_u32_e64 v7, null, v17, v1, vcc_lo
	v_fmac_f32_e32 v15, s2, v14
	v_add_co_u32 v14, vcc_lo, v18, s0
	flat_store_dword v[4:5], v15 offset:192
	flat_load_dword v4, v[6:7]
	v_add_co_ci_u32_e64 v15, null, s1, v19, vcc_lo
	s_waitcnt vmcnt(0) lgkmcnt(0)
	v_mul_f32_e32 v18, s8, v4
	v_add_co_u32 v4, vcc_lo, v14, v0
	v_add_co_ci_u32_e64 v5, null, v15, v1, vcc_lo
	v_fmac_f32_e32 v18, s2, v13
	flat_store_dword v[4:5], v18
	flat_load_dword v13, v[6:7] offset:64
	s_waitcnt vmcnt(0) lgkmcnt(0)
	v_mul_f32_e32 v13, s8, v13
	v_fmac_f32_e32 v13, s2, v12
	flat_store_dword v[4:5], v13 offset:64
	flat_load_dword v12, v[6:7] offset:128
	s_waitcnt vmcnt(0) lgkmcnt(0)
	v_mul_f32_e32 v12, s8, v12
	v_fmac_f32_e32 v12, s2, v11
	flat_store_dword v[4:5], v12 offset:128
	flat_load_dword v6, v[6:7] offset:192
	s_waitcnt vmcnt(0) lgkmcnt(0)
	v_mul_f32_e32 v11, s8, v6
	v_add_co_u32 v6, vcc_lo, v16, s4
	v_add_co_ci_u32_e64 v7, null, s5, v17, vcc_lo
	v_fmac_f32_e32 v11, s2, v10
	v_add_co_u32 v6, vcc_lo, v6, v0
	v_add_co_ci_u32_e64 v7, null, v7, v1, vcc_lo
	flat_store_dword v[4:5], v11 offset:192
	v_add_co_u32 v5, vcc_lo, v14, s0
	flat_load_dword v4, v[6:7]
	v_add_co_ci_u32_e64 v10, null, s1, v15, vcc_lo
	v_add_co_u32 v0, vcc_lo, v5, v0
	v_add_co_ci_u32_e64 v1, null, v10, v1, vcc_lo
	s_waitcnt vmcnt(0) lgkmcnt(0)
	v_mul_f32_e32 v4, s8, v4
	v_fmac_f32_e32 v4, s2, v9
	flat_store_dword v[0:1], v4
	flat_load_dword v4, v[6:7] offset:64
	s_waitcnt vmcnt(0) lgkmcnt(0)
	v_mul_f32_e32 v4, s8, v4
	v_fmac_f32_e32 v4, s2, v8
	flat_store_dword v[0:1], v4 offset:64
	flat_load_dword v4, v[6:7] offset:128
	s_waitcnt vmcnt(0) lgkmcnt(0)
	v_mul_f32_e32 v4, s8, v4
	v_fmac_f32_e32 v4, s2, v2
	flat_store_dword v[0:1], v4 offset:128
	;; [unrolled: 5-line block ×3, first 2 shown]
.LBB174_6:
	s_endpgm
.LBB174_7:
	s_branch .LBB174_5
	.section	.rodata,"a",@progbits
	.p2align	6, 0x0
	.amdhsa_kernel _ZN12_GLOBAL__N_127rocblas_gemm_batched_kernelIfLi16ELi16ELi64ELi64ELi4ELi64ELi4ELi4ELi64ELc78ELc67EKPK16rocblas_bfloat16KPKfKPfEEvlllT_PT11_llSC_llSA_PT12_llPT13_lli
		.amdhsa_group_segment_fixed_size 2048
		.amdhsa_private_segment_fixed_size 0
		.amdhsa_kernarg_size 140
		.amdhsa_user_sgpr_count 6
		.amdhsa_user_sgpr_private_segment_buffer 1
		.amdhsa_user_sgpr_dispatch_ptr 0
		.amdhsa_user_sgpr_queue_ptr 0
		.amdhsa_user_sgpr_kernarg_segment_ptr 1
		.amdhsa_user_sgpr_dispatch_id 0
		.amdhsa_user_sgpr_flat_scratch_init 0
		.amdhsa_user_sgpr_private_segment_size 0
		.amdhsa_wavefront_size32 1
		.amdhsa_uses_dynamic_stack 0
		.amdhsa_system_sgpr_private_segment_wavefront_offset 0
		.amdhsa_system_sgpr_workgroup_id_x 1
		.amdhsa_system_sgpr_workgroup_id_y 1
		.amdhsa_system_sgpr_workgroup_id_z 1
		.amdhsa_system_sgpr_workgroup_info 0
		.amdhsa_system_vgpr_workitem_id 1
		.amdhsa_next_free_vgpr 58
		.amdhsa_next_free_sgpr 36
		.amdhsa_reserve_vcc 1
		.amdhsa_reserve_flat_scratch 0
		.amdhsa_float_round_mode_32 0
		.amdhsa_float_round_mode_16_64 0
		.amdhsa_float_denorm_mode_32 3
		.amdhsa_float_denorm_mode_16_64 3
		.amdhsa_dx10_clamp 1
		.amdhsa_ieee_mode 1
		.amdhsa_fp16_overflow 0
		.amdhsa_workgroup_processor_mode 1
		.amdhsa_memory_ordered 1
		.amdhsa_forward_progress 1
		.amdhsa_shared_vgpr_count 0
		.amdhsa_exception_fp_ieee_invalid_op 0
		.amdhsa_exception_fp_denorm_src 0
		.amdhsa_exception_fp_ieee_div_zero 0
		.amdhsa_exception_fp_ieee_overflow 0
		.amdhsa_exception_fp_ieee_underflow 0
		.amdhsa_exception_fp_ieee_inexact 0
		.amdhsa_exception_int_div_zero 0
	.end_amdhsa_kernel
	.section	.text._ZN12_GLOBAL__N_127rocblas_gemm_batched_kernelIfLi16ELi16ELi64ELi64ELi4ELi64ELi4ELi4ELi64ELc78ELc67EKPK16rocblas_bfloat16KPKfKPfEEvlllT_PT11_llSC_llSA_PT12_llPT13_lli,"axG",@progbits,_ZN12_GLOBAL__N_127rocblas_gemm_batched_kernelIfLi16ELi16ELi64ELi64ELi4ELi64ELi4ELi4ELi64ELc78ELc67EKPK16rocblas_bfloat16KPKfKPfEEvlllT_PT11_llSC_llSA_PT12_llPT13_lli,comdat
.Lfunc_end174:
	.size	_ZN12_GLOBAL__N_127rocblas_gemm_batched_kernelIfLi16ELi16ELi64ELi64ELi4ELi64ELi4ELi4ELi64ELc78ELc67EKPK16rocblas_bfloat16KPKfKPfEEvlllT_PT11_llSC_llSA_PT12_llPT13_lli, .Lfunc_end174-_ZN12_GLOBAL__N_127rocblas_gemm_batched_kernelIfLi16ELi16ELi64ELi64ELi4ELi64ELi4ELi4ELi64ELc78ELc67EKPK16rocblas_bfloat16KPKfKPfEEvlllT_PT11_llSC_llSA_PT12_llPT13_lli
                                        ; -- End function
	.set _ZN12_GLOBAL__N_127rocblas_gemm_batched_kernelIfLi16ELi16ELi64ELi64ELi4ELi64ELi4ELi4ELi64ELc78ELc67EKPK16rocblas_bfloat16KPKfKPfEEvlllT_PT11_llSC_llSA_PT12_llPT13_lli.num_vgpr, 58
	.set _ZN12_GLOBAL__N_127rocblas_gemm_batched_kernelIfLi16ELi16ELi64ELi64ELi4ELi64ELi4ELi4ELi64ELc78ELc67EKPK16rocblas_bfloat16KPKfKPfEEvlllT_PT11_llSC_llSA_PT12_llPT13_lli.num_agpr, 0
	.set _ZN12_GLOBAL__N_127rocblas_gemm_batched_kernelIfLi16ELi16ELi64ELi64ELi4ELi64ELi4ELi4ELi64ELc78ELc67EKPK16rocblas_bfloat16KPKfKPfEEvlllT_PT11_llSC_llSA_PT12_llPT13_lli.numbered_sgpr, 36
	.set _ZN12_GLOBAL__N_127rocblas_gemm_batched_kernelIfLi16ELi16ELi64ELi64ELi4ELi64ELi4ELi4ELi64ELc78ELc67EKPK16rocblas_bfloat16KPKfKPfEEvlllT_PT11_llSC_llSA_PT12_llPT13_lli.num_named_barrier, 0
	.set _ZN12_GLOBAL__N_127rocblas_gemm_batched_kernelIfLi16ELi16ELi64ELi64ELi4ELi64ELi4ELi4ELi64ELc78ELc67EKPK16rocblas_bfloat16KPKfKPfEEvlllT_PT11_llSC_llSA_PT12_llPT13_lli.private_seg_size, 0
	.set _ZN12_GLOBAL__N_127rocblas_gemm_batched_kernelIfLi16ELi16ELi64ELi64ELi4ELi64ELi4ELi4ELi64ELc78ELc67EKPK16rocblas_bfloat16KPKfKPfEEvlllT_PT11_llSC_llSA_PT12_llPT13_lli.uses_vcc, 1
	.set _ZN12_GLOBAL__N_127rocblas_gemm_batched_kernelIfLi16ELi16ELi64ELi64ELi4ELi64ELi4ELi4ELi64ELc78ELc67EKPK16rocblas_bfloat16KPKfKPfEEvlllT_PT11_llSC_llSA_PT12_llPT13_lli.uses_flat_scratch, 0
	.set _ZN12_GLOBAL__N_127rocblas_gemm_batched_kernelIfLi16ELi16ELi64ELi64ELi4ELi64ELi4ELi4ELi64ELc78ELc67EKPK16rocblas_bfloat16KPKfKPfEEvlllT_PT11_llSC_llSA_PT12_llPT13_lli.has_dyn_sized_stack, 0
	.set _ZN12_GLOBAL__N_127rocblas_gemm_batched_kernelIfLi16ELi16ELi64ELi64ELi4ELi64ELi4ELi4ELi64ELc78ELc67EKPK16rocblas_bfloat16KPKfKPfEEvlllT_PT11_llSC_llSA_PT12_llPT13_lli.has_recursion, 0
	.set _ZN12_GLOBAL__N_127rocblas_gemm_batched_kernelIfLi16ELi16ELi64ELi64ELi4ELi64ELi4ELi4ELi64ELc78ELc67EKPK16rocblas_bfloat16KPKfKPfEEvlllT_PT11_llSC_llSA_PT12_llPT13_lli.has_indirect_call, 0
	.section	.AMDGPU.csdata,"",@progbits
; Kernel info:
; codeLenInByte = 2268
; TotalNumSgprs: 38
; NumVgprs: 58
; ScratchSize: 0
; MemoryBound: 0
; FloatMode: 240
; IeeeMode: 1
; LDSByteSize: 2048 bytes/workgroup (compile time only)
; SGPRBlocks: 0
; VGPRBlocks: 7
; NumSGPRsForWavesPerEU: 38
; NumVGPRsForWavesPerEU: 58
; Occupancy: 16
; WaveLimiterHint : 1
; COMPUTE_PGM_RSRC2:SCRATCH_EN: 0
; COMPUTE_PGM_RSRC2:USER_SGPR: 6
; COMPUTE_PGM_RSRC2:TRAP_HANDLER: 0
; COMPUTE_PGM_RSRC2:TGID_X_EN: 1
; COMPUTE_PGM_RSRC2:TGID_Y_EN: 1
; COMPUTE_PGM_RSRC2:TGID_Z_EN: 1
; COMPUTE_PGM_RSRC2:TIDIG_COMP_CNT: 1
	.section	.text._ZN12_GLOBAL__N_127rocblas_gemm_batched_kernelIfLi16ELi16ELi64ELi64ELi4ELi64ELi4ELi4ELi64ELc84ELc67EKPK16rocblas_bfloat16KPKfKPfEEvlllT_PT11_llSC_llSA_PT12_llPT13_lli,"axG",@progbits,_ZN12_GLOBAL__N_127rocblas_gemm_batched_kernelIfLi16ELi16ELi64ELi64ELi4ELi64ELi4ELi4ELi64ELc84ELc67EKPK16rocblas_bfloat16KPKfKPfEEvlllT_PT11_llSC_llSA_PT12_llPT13_lli,comdat
	.globl	_ZN12_GLOBAL__N_127rocblas_gemm_batched_kernelIfLi16ELi16ELi64ELi64ELi4ELi64ELi4ELi4ELi64ELc84ELc67EKPK16rocblas_bfloat16KPKfKPfEEvlllT_PT11_llSC_llSA_PT12_llPT13_lli ; -- Begin function _ZN12_GLOBAL__N_127rocblas_gemm_batched_kernelIfLi16ELi16ELi64ELi64ELi4ELi64ELi4ELi4ELi64ELc84ELc67EKPK16rocblas_bfloat16KPKfKPfEEvlllT_PT11_llSC_llSA_PT12_llPT13_lli
	.p2align	8
	.type	_ZN12_GLOBAL__N_127rocblas_gemm_batched_kernelIfLi16ELi16ELi64ELi64ELi4ELi64ELi4ELi4ELi64ELc84ELc67EKPK16rocblas_bfloat16KPKfKPfEEvlllT_PT11_llSC_llSA_PT12_llPT13_lli,@function
_ZN12_GLOBAL__N_127rocblas_gemm_batched_kernelIfLi16ELi16ELi64ELi64ELi4ELi64ELi4ELi4ELi64ELc84ELc67EKPK16rocblas_bfloat16KPKfKPfEEvlllT_PT11_llSC_llSA_PT12_llPT13_lli: ; @_ZN12_GLOBAL__N_127rocblas_gemm_batched_kernelIfLi16ELi16ELi64ELi64ELi4ELi64ELi4ELi4ELi64ELc84ELc67EKPK16rocblas_bfloat16KPKfKPfEEvlllT_PT11_llSC_llSA_PT12_llPT13_lli
; %bb.0:
	s_clause 0x1
	s_load_dwordx8 s[12:19], s[4:5], 0x58
	s_load_dwordx2 s[28:29], s[4:5], 0x10
	s_mov_b32 s9, 0
	s_load_dwordx4 s[0:3], s[4:5], 0x78
	s_lshl_b64 s[34:35], s[8:9], 3
	s_mov_b32 s10, s7
	v_mov_b32_e32 v18, 0
	v_mov_b32_e32 v21, 0
	;; [unrolled: 1-line block ×14, first 2 shown]
	s_waitcnt lgkmcnt(0)
	s_add_u32 s8, s12, s34
	s_addc_u32 s9, s13, s35
	s_add_u32 s18, s18, s34
	s_addc_u32 s19, s19, s35
	s_load_dwordx2 s[12:13], s[8:9], 0x0
	s_load_dwordx2 s[18:19], s[18:19], 0x0
	v_cmp_lt_i64_e64 s20, s[28:29], 1
	v_mov_b32_e32 v2, 0
	v_mov_b32_e32 v3, 0
	s_ashr_i32 s7, s6, 31
	s_ashr_i32 s11, s10, 31
	s_lshl_b64 s[6:7], s[6:7], 6
	s_and_b32 vcc_lo, exec_lo, s20
	s_lshl_b64 s[30:31], s[10:11], 6
	s_cbranch_vccnz .LBB175_3
; %bb.1:
	s_clause 0x1
	s_load_dwordx8 s[20:27], s[4:5], 0x20
	s_load_dwordx4 s[8:11], s[4:5], 0x40
	v_lshlrev_b32_e32 v8, 4, v1
	v_and_b32_e32 v10, 3, v0
	v_mov_b32_e32 v3, 0
	v_lshlrev_b32_e32 v22, 2, v0
	v_add_nc_u32_e32 v9, v8, v0
	v_lshlrev_b32_e32 v12, 2, v10
	v_add_nc_u32_e32 v23, 0x400, v8
	v_mov_b32_e32 v16, v3
	v_mov_b32_e32 v17, v3
	v_and_b32_e32 v11, 63, v9
	v_lshrrev_b32_e32 v2, 2, v9
	v_lshrrev_b32_e32 v9, 6, v9
	v_mov_b32_e32 v19, v3
	v_mov_b32_e32 v20, v3
	v_add_co_u32 v6, s33, s6, v11
	v_add_co_ci_u32_e64 v7, null, s7, 0, s33
	s_waitcnt lgkmcnt(0)
	s_add_u32 s20, s20, s34
	s_addc_u32 s21, s21, s35
	s_add_u32 s26, s26, s34
	s_addc_u32 s27, s27, s35
	v_mad_u64_u32 v[4:5], null, s8, v10, v[2:3]
	s_load_dwordx2 s[26:27], s[26:27], 0x0
	v_mul_lo_u32 v13, s23, v6
	v_mul_lo_u32 v14, s22, v7
	v_mad_u64_u32 v[6:7], null, s22, v6, 0
	v_lshlrev_b32_e32 v11, 2, v11
	v_lshl_or_b32 v12, v2, 4, v12
	v_mov_b32_e32 v2, v5
	v_lshlrev_b32_e32 v15, 1, v9
	s_load_dwordx2 s[20:21], s[20:21], 0x0
	v_lshl_or_b32 v24, v9, 8, v11
	v_add3_u32 v7, v7, v14, v13
	v_mad_u64_u32 v[8:9], null, s9, v10, v[2:3]
	s_lshl_b64 s[10:11], s[10:11], 1
	v_add_nc_u32_e32 v25, 0x400, v12
	v_lshlrev_b64 v[5:6], 1, v[6:7]
	v_add_co_u32 v7, vcc_lo, v4, s30
	v_mov_b32_e32 v9, v3
	v_add_co_ci_u32_e64 v8, null, s31, v8, vcc_lo
	s_waitcnt lgkmcnt(0)
	s_add_u32 s22, s26, s10
	s_addc_u32 s23, s27, s11
	s_lshl_b64 s[10:11], s[24:25], 1
	v_mov_b32_e32 v10, v3
	v_add_co_u32 v2, vcc_lo, v5, s10
	v_add_co_ci_u32_e64 v6, null, s11, v6, vcc_lo
	v_lshlrev_b64 v[4:5], 1, v[7:8]
	v_add_co_u32 v2, vcc_lo, v2, v15
	v_add_co_ci_u32_e64 v7, null, 0, v6, vcc_lo
	v_mov_b32_e32 v8, v3
	v_add_co_u32 v4, vcc_lo, s22, v4
	v_add_co_ci_u32_e64 v5, null, s23, v5, vcc_lo
	v_add_co_u32 v6, vcc_lo, s20, v2
	v_add_co_ci_u32_e64 v7, null, s21, v7, vcc_lo
	v_mov_b32_e32 v2, v3
	v_mov_b32_e32 v11, v3
	;; [unrolled: 1-line block ×8, first 2 shown]
	s_lshl_b64 s[8:9], s[8:9], 3
	s_mov_b64 s[10:11], 0
.LBB175_2:                              ; =>This Inner Loop Header: Depth=1
	flat_load_ushort v26, v[6:7]
	flat_load_ushort v27, v[4:5]
	s_add_u32 s10, s10, 4
	s_addc_u32 s11, s11, 0
	v_add_co_u32 v4, vcc_lo, v4, s8
	v_cmp_lt_i64_e64 s20, s[10:11], s[28:29]
	v_add_co_ci_u32_e64 v5, null, s9, v5, vcc_lo
	v_add_co_u32 v6, vcc_lo, v6, 8
	v_add_co_ci_u32_e64 v7, null, 0, v7, vcc_lo
	s_and_b32 vcc_lo, exec_lo, s20
	s_waitcnt vmcnt(1) lgkmcnt(1)
	v_lshlrev_b32_e32 v26, 16, v26
	s_waitcnt vmcnt(0) lgkmcnt(0)
	v_lshlrev_b32_e32 v27, 16, v27
	ds_write_b32 v24, v26
	ds_write_b32 v25, v27
	s_waitcnt lgkmcnt(0)
	s_barrier
	buffer_gl0_inv
	ds_read_b128 v[26:29], v23
	ds_read2_b32 v[42:43], v22 offset1:16
	ds_read2_b32 v[44:45], v22 offset0:32 offset1:48
	ds_read_b128 v[30:33], v23 offset:256
	ds_read_b128 v[34:37], v23 offset:512
	;; [unrolled: 1-line block ×3, first 2 shown]
	ds_read2_b32 v[46:47], v22 offset0:64 offset1:80
	ds_read2_b32 v[48:49], v22 offset0:96 offset1:112
	;; [unrolled: 1-line block ×6, first 2 shown]
	s_waitcnt lgkmcnt(0)
	s_barrier
	buffer_gl0_inv
	v_fmac_f32_e32 v18, v42, v26
	v_fmac_f32_e32 v21, v43, v26
	;; [unrolled: 1-line block ×64, first 2 shown]
	s_cbranch_vccnz .LBB175_2
.LBB175_3:
	s_load_dword s8, s[4:5], 0x50
	s_lshl_b64 s[10:11], s[2:3], 2
	s_load_dword s2, s[4:5], 0x18
	v_add_co_u32 v4, s4, s30, v1
	v_add_co_ci_u32_e64 v7, null, s31, 0, s4
	v_add_co_u32 v0, s4, s6, v0
	v_add_co_ci_u32_e64 v1, null, s7, 0, s4
	v_mul_lo_u32 v5, v7, s0
	v_mul_lo_u32 v6, v4, s1
	s_waitcnt lgkmcnt(0)
	s_add_u32 s3, s18, s10
	v_lshlrev_b64 v[0:1], 2, v[0:1]
	s_addc_u32 s4, s19, s11
	v_cmp_neq_f32_e64 s5, s8, 0
	s_and_b32 vcc_lo, exec_lo, s5
	s_mov_b32 s5, 0
	s_cbranch_vccnz .LBB175_7
; %bb.4:
	v_mad_u64_u32 v[22:23], null, v4, s0, 0
	s_lshl_b64 s[6:7], s[0:1], 6
	v_mul_f32_e32 v26, s2, v18
	v_mul_f32_e32 v27, s2, v21
	;; [unrolled: 1-line block ×5, first 2 shown]
	v_add3_u32 v23, v23, v6, v5
	v_mul_f32_e32 v31, s2, v16
	v_mul_f32_e32 v32, s2, v15
	;; [unrolled: 1-line block ×3, first 2 shown]
	v_lshlrev_b64 v[22:23], 2, v[22:23]
	v_add_co_u32 v22, vcc_lo, s3, v22
	v_add_co_ci_u32_e64 v23, null, s4, v23, vcc_lo
	v_add_co_u32 v34, vcc_lo, v22, s6
	v_add_co_ci_u32_e64 v35, null, s7, v23, vcc_lo
	v_add_co_u32 v22, vcc_lo, v22, v0
	v_add_co_ci_u32_e64 v23, null, v23, v1, vcc_lo
	v_add_co_u32 v24, vcc_lo, v34, v0
	v_add_co_ci_u32_e64 v25, null, v35, v1, vcc_lo
	flat_store_dword v[22:23], v26
	flat_store_dword v[22:23], v27 offset:64
	flat_store_dword v[22:23], v28 offset:128
	;; [unrolled: 1-line block ×3, first 2 shown]
	flat_store_dword v[24:25], v30
	flat_store_dword v[24:25], v31 offset:64
	v_add_co_u32 v26, vcc_lo, v34, s6
	v_add_co_ci_u32_e64 v27, null, s7, v35, vcc_lo
	v_mul_f32_e32 v28, s2, v13
	v_add_co_u32 v22, vcc_lo, v26, v0
	v_add_co_ci_u32_e64 v23, null, v27, v1, vcc_lo
	v_mul_f32_e32 v29, s2, v12
	v_mul_f32_e32 v30, s2, v11
	flat_store_dword v[24:25], v32 offset:128
	flat_store_dword v[24:25], v33 offset:192
	flat_store_dword v[22:23], v28
	flat_store_dword v[22:23], v29 offset:64
	flat_store_dword v[22:23], v30 offset:128
	v_add_co_u32 v24, vcc_lo, v26, s6
	v_add_co_ci_u32_e64 v25, null, s7, v27, vcc_lo
	v_mul_f32_e32 v28, s2, v10
	v_add_co_u32 v24, vcc_lo, v24, v0
	v_mul_f32_e32 v26, s2, v9
	v_add_co_ci_u32_e64 v25, null, v25, v1, vcc_lo
	v_mul_f32_e32 v27, s2, v8
	v_mul_f32_e32 v29, s2, v2
	;; [unrolled: 1-line block ×3, first 2 shown]
	flat_store_dword v[22:23], v28 offset:192
	flat_store_dword v[24:25], v26
	flat_store_dword v[24:25], v27 offset:64
	flat_store_dword v[24:25], v29 offset:128
	;; [unrolled: 1-line block ×3, first 2 shown]
	s_andn2_b32 vcc_lo, exec_lo, s5
	s_cbranch_vccnz .LBB175_6
.LBB175_5:
	v_mul_lo_u32 v7, v7, s14
	v_mul_lo_u32 v24, v4, s15
	v_mad_u64_u32 v[22:23], null, v4, s14, 0
	s_lshl_b64 s[6:7], s[16:17], 2
	s_add_u32 s5, s12, s6
	s_addc_u32 s6, s13, s7
	v_add3_u32 v23, v23, v24, v7
	v_mad_u64_u32 v[24:25], null, v4, s0, 0
	s_lshl_b64 s[0:1], s[0:1], 6
	v_lshlrev_b64 v[22:23], 2, v[22:23]
	v_add3_u32 v25, v25, v6, v5
	v_add_co_u32 v7, vcc_lo, s5, v22
	v_add_co_ci_u32_e64 v26, null, s6, v23, vcc_lo
	v_lshlrev_b64 v[4:5], 2, v[24:25]
	v_add_co_u32 v22, vcc_lo, v7, v0
	v_add_co_ci_u32_e64 v23, null, v26, v1, vcc_lo
	v_add_co_u32 v24, vcc_lo, s3, v4
	flat_load_dword v27, v[22:23]
	v_add_co_ci_u32_e64 v25, null, s4, v5, vcc_lo
	v_add_co_u32 v4, vcc_lo, v24, v0
	s_lshl_b64 s[4:5], s[14:15], 6
	v_add_co_ci_u32_e64 v5, null, v25, v1, vcc_lo
	s_waitcnt vmcnt(0) lgkmcnt(0)
	v_mul_f32_e32 v6, s8, v27
	v_fmac_f32_e32 v6, s2, v18
	flat_store_dword v[4:5], v6
	flat_load_dword v6, v[22:23] offset:64
	s_waitcnt vmcnt(0) lgkmcnt(0)
	v_mul_f32_e32 v6, s8, v6
	v_fmac_f32_e32 v6, s2, v21
	flat_store_dword v[4:5], v6 offset:64
	flat_load_dword v6, v[22:23] offset:128
	s_waitcnt vmcnt(0) lgkmcnt(0)
	v_mul_f32_e32 v6, s8, v6
	v_fmac_f32_e32 v6, s2, v20
	v_add_co_u32 v20, vcc_lo, v7, s4
	v_add_co_ci_u32_e64 v21, null, s5, v26, vcc_lo
	flat_store_dword v[4:5], v6 offset:128
	flat_load_dword v6, v[22:23] offset:192
	s_waitcnt vmcnt(0) lgkmcnt(0)
	v_mul_f32_e32 v18, s8, v6
	v_add_co_u32 v6, vcc_lo, v20, v0
	v_add_co_ci_u32_e64 v7, null, v21, v1, vcc_lo
	v_fmac_f32_e32 v18, s2, v19
	flat_store_dword v[4:5], v18 offset:192
	flat_load_dword v4, v[6:7]
	v_add_co_u32 v18, vcc_lo, v24, s0
	v_add_co_ci_u32_e64 v19, null, s1, v25, vcc_lo
	s_waitcnt vmcnt(0) lgkmcnt(0)
	v_mul_f32_e32 v22, s8, v4
	v_add_co_u32 v4, vcc_lo, v18, v0
	v_add_co_ci_u32_e64 v5, null, v19, v1, vcc_lo
	v_fmac_f32_e32 v22, s2, v17
	flat_store_dword v[4:5], v22
	flat_load_dword v17, v[6:7] offset:64
	s_waitcnt vmcnt(0) lgkmcnt(0)
	v_mul_f32_e32 v17, s8, v17
	v_fmac_f32_e32 v17, s2, v16
	flat_store_dword v[4:5], v17 offset:64
	flat_load_dword v16, v[6:7] offset:128
	s_waitcnt vmcnt(0) lgkmcnt(0)
	v_mul_f32_e32 v16, s8, v16
	v_fmac_f32_e32 v16, s2, v15
	flat_store_dword v[4:5], v16 offset:128
	flat_load_dword v6, v[6:7] offset:192
	v_add_co_u32 v16, vcc_lo, v20, s4
	v_add_co_ci_u32_e64 v17, null, s5, v21, vcc_lo
	s_waitcnt vmcnt(0) lgkmcnt(0)
	v_mul_f32_e32 v15, s8, v6
	v_add_co_u32 v6, vcc_lo, v16, v0
	v_add_co_ci_u32_e64 v7, null, v17, v1, vcc_lo
	v_fmac_f32_e32 v15, s2, v14
	v_add_co_u32 v14, vcc_lo, v18, s0
	flat_store_dword v[4:5], v15 offset:192
	flat_load_dword v4, v[6:7]
	v_add_co_ci_u32_e64 v15, null, s1, v19, vcc_lo
	s_waitcnt vmcnt(0) lgkmcnt(0)
	v_mul_f32_e32 v18, s8, v4
	v_add_co_u32 v4, vcc_lo, v14, v0
	v_add_co_ci_u32_e64 v5, null, v15, v1, vcc_lo
	v_fmac_f32_e32 v18, s2, v13
	flat_store_dword v[4:5], v18
	flat_load_dword v13, v[6:7] offset:64
	s_waitcnt vmcnt(0) lgkmcnt(0)
	v_mul_f32_e32 v13, s8, v13
	v_fmac_f32_e32 v13, s2, v12
	flat_store_dword v[4:5], v13 offset:64
	flat_load_dword v12, v[6:7] offset:128
	s_waitcnt vmcnt(0) lgkmcnt(0)
	v_mul_f32_e32 v12, s8, v12
	v_fmac_f32_e32 v12, s2, v11
	flat_store_dword v[4:5], v12 offset:128
	flat_load_dword v6, v[6:7] offset:192
	s_waitcnt vmcnt(0) lgkmcnt(0)
	v_mul_f32_e32 v11, s8, v6
	v_add_co_u32 v6, vcc_lo, v16, s4
	v_add_co_ci_u32_e64 v7, null, s5, v17, vcc_lo
	v_fmac_f32_e32 v11, s2, v10
	v_add_co_u32 v6, vcc_lo, v6, v0
	v_add_co_ci_u32_e64 v7, null, v7, v1, vcc_lo
	flat_store_dword v[4:5], v11 offset:192
	v_add_co_u32 v5, vcc_lo, v14, s0
	flat_load_dword v4, v[6:7]
	v_add_co_ci_u32_e64 v10, null, s1, v15, vcc_lo
	v_add_co_u32 v0, vcc_lo, v5, v0
	v_add_co_ci_u32_e64 v1, null, v10, v1, vcc_lo
	s_waitcnt vmcnt(0) lgkmcnt(0)
	v_mul_f32_e32 v4, s8, v4
	v_fmac_f32_e32 v4, s2, v9
	flat_store_dword v[0:1], v4
	flat_load_dword v4, v[6:7] offset:64
	s_waitcnt vmcnt(0) lgkmcnt(0)
	v_mul_f32_e32 v4, s8, v4
	v_fmac_f32_e32 v4, s2, v8
	flat_store_dword v[0:1], v4 offset:64
	flat_load_dword v4, v[6:7] offset:128
	s_waitcnt vmcnt(0) lgkmcnt(0)
	v_mul_f32_e32 v4, s8, v4
	v_fmac_f32_e32 v4, s2, v2
	flat_store_dword v[0:1], v4 offset:128
	;; [unrolled: 5-line block ×3, first 2 shown]
.LBB175_6:
	s_endpgm
.LBB175_7:
	s_branch .LBB175_5
	.section	.rodata,"a",@progbits
	.p2align	6, 0x0
	.amdhsa_kernel _ZN12_GLOBAL__N_127rocblas_gemm_batched_kernelIfLi16ELi16ELi64ELi64ELi4ELi64ELi4ELi4ELi64ELc84ELc67EKPK16rocblas_bfloat16KPKfKPfEEvlllT_PT11_llSC_llSA_PT12_llPT13_lli
		.amdhsa_group_segment_fixed_size 2048
		.amdhsa_private_segment_fixed_size 0
		.amdhsa_kernarg_size 140
		.amdhsa_user_sgpr_count 6
		.amdhsa_user_sgpr_private_segment_buffer 1
		.amdhsa_user_sgpr_dispatch_ptr 0
		.amdhsa_user_sgpr_queue_ptr 0
		.amdhsa_user_sgpr_kernarg_segment_ptr 1
		.amdhsa_user_sgpr_dispatch_id 0
		.amdhsa_user_sgpr_flat_scratch_init 0
		.amdhsa_user_sgpr_private_segment_size 0
		.amdhsa_wavefront_size32 1
		.amdhsa_uses_dynamic_stack 0
		.amdhsa_system_sgpr_private_segment_wavefront_offset 0
		.amdhsa_system_sgpr_workgroup_id_x 1
		.amdhsa_system_sgpr_workgroup_id_y 1
		.amdhsa_system_sgpr_workgroup_id_z 1
		.amdhsa_system_sgpr_workgroup_info 0
		.amdhsa_system_vgpr_workitem_id 1
		.amdhsa_next_free_vgpr 58
		.amdhsa_next_free_sgpr 36
		.amdhsa_reserve_vcc 1
		.amdhsa_reserve_flat_scratch 0
		.amdhsa_float_round_mode_32 0
		.amdhsa_float_round_mode_16_64 0
		.amdhsa_float_denorm_mode_32 3
		.amdhsa_float_denorm_mode_16_64 3
		.amdhsa_dx10_clamp 1
		.amdhsa_ieee_mode 1
		.amdhsa_fp16_overflow 0
		.amdhsa_workgroup_processor_mode 1
		.amdhsa_memory_ordered 1
		.amdhsa_forward_progress 1
		.amdhsa_shared_vgpr_count 0
		.amdhsa_exception_fp_ieee_invalid_op 0
		.amdhsa_exception_fp_denorm_src 0
		.amdhsa_exception_fp_ieee_div_zero 0
		.amdhsa_exception_fp_ieee_overflow 0
		.amdhsa_exception_fp_ieee_underflow 0
		.amdhsa_exception_fp_ieee_inexact 0
		.amdhsa_exception_int_div_zero 0
	.end_amdhsa_kernel
	.section	.text._ZN12_GLOBAL__N_127rocblas_gemm_batched_kernelIfLi16ELi16ELi64ELi64ELi4ELi64ELi4ELi4ELi64ELc84ELc67EKPK16rocblas_bfloat16KPKfKPfEEvlllT_PT11_llSC_llSA_PT12_llPT13_lli,"axG",@progbits,_ZN12_GLOBAL__N_127rocblas_gemm_batched_kernelIfLi16ELi16ELi64ELi64ELi4ELi64ELi4ELi4ELi64ELc84ELc67EKPK16rocblas_bfloat16KPKfKPfEEvlllT_PT11_llSC_llSA_PT12_llPT13_lli,comdat
.Lfunc_end175:
	.size	_ZN12_GLOBAL__N_127rocblas_gemm_batched_kernelIfLi16ELi16ELi64ELi64ELi4ELi64ELi4ELi4ELi64ELc84ELc67EKPK16rocblas_bfloat16KPKfKPfEEvlllT_PT11_llSC_llSA_PT12_llPT13_lli, .Lfunc_end175-_ZN12_GLOBAL__N_127rocblas_gemm_batched_kernelIfLi16ELi16ELi64ELi64ELi4ELi64ELi4ELi4ELi64ELc84ELc67EKPK16rocblas_bfloat16KPKfKPfEEvlllT_PT11_llSC_llSA_PT12_llPT13_lli
                                        ; -- End function
	.set _ZN12_GLOBAL__N_127rocblas_gemm_batched_kernelIfLi16ELi16ELi64ELi64ELi4ELi64ELi4ELi4ELi64ELc84ELc67EKPK16rocblas_bfloat16KPKfKPfEEvlllT_PT11_llSC_llSA_PT12_llPT13_lli.num_vgpr, 58
	.set _ZN12_GLOBAL__N_127rocblas_gemm_batched_kernelIfLi16ELi16ELi64ELi64ELi4ELi64ELi4ELi4ELi64ELc84ELc67EKPK16rocblas_bfloat16KPKfKPfEEvlllT_PT11_llSC_llSA_PT12_llPT13_lli.num_agpr, 0
	.set _ZN12_GLOBAL__N_127rocblas_gemm_batched_kernelIfLi16ELi16ELi64ELi64ELi4ELi64ELi4ELi4ELi64ELc84ELc67EKPK16rocblas_bfloat16KPKfKPfEEvlllT_PT11_llSC_llSA_PT12_llPT13_lli.numbered_sgpr, 36
	.set _ZN12_GLOBAL__N_127rocblas_gemm_batched_kernelIfLi16ELi16ELi64ELi64ELi4ELi64ELi4ELi4ELi64ELc84ELc67EKPK16rocblas_bfloat16KPKfKPfEEvlllT_PT11_llSC_llSA_PT12_llPT13_lli.num_named_barrier, 0
	.set _ZN12_GLOBAL__N_127rocblas_gemm_batched_kernelIfLi16ELi16ELi64ELi64ELi4ELi64ELi4ELi4ELi64ELc84ELc67EKPK16rocblas_bfloat16KPKfKPfEEvlllT_PT11_llSC_llSA_PT12_llPT13_lli.private_seg_size, 0
	.set _ZN12_GLOBAL__N_127rocblas_gemm_batched_kernelIfLi16ELi16ELi64ELi64ELi4ELi64ELi4ELi4ELi64ELc84ELc67EKPK16rocblas_bfloat16KPKfKPfEEvlllT_PT11_llSC_llSA_PT12_llPT13_lli.uses_vcc, 1
	.set _ZN12_GLOBAL__N_127rocblas_gemm_batched_kernelIfLi16ELi16ELi64ELi64ELi4ELi64ELi4ELi4ELi64ELc84ELc67EKPK16rocblas_bfloat16KPKfKPfEEvlllT_PT11_llSC_llSA_PT12_llPT13_lli.uses_flat_scratch, 0
	.set _ZN12_GLOBAL__N_127rocblas_gemm_batched_kernelIfLi16ELi16ELi64ELi64ELi4ELi64ELi4ELi4ELi64ELc84ELc67EKPK16rocblas_bfloat16KPKfKPfEEvlllT_PT11_llSC_llSA_PT12_llPT13_lli.has_dyn_sized_stack, 0
	.set _ZN12_GLOBAL__N_127rocblas_gemm_batched_kernelIfLi16ELi16ELi64ELi64ELi4ELi64ELi4ELi4ELi64ELc84ELc67EKPK16rocblas_bfloat16KPKfKPfEEvlllT_PT11_llSC_llSA_PT12_llPT13_lli.has_recursion, 0
	.set _ZN12_GLOBAL__N_127rocblas_gemm_batched_kernelIfLi16ELi16ELi64ELi64ELi4ELi64ELi4ELi4ELi64ELc84ELc67EKPK16rocblas_bfloat16KPKfKPfEEvlllT_PT11_llSC_llSA_PT12_llPT13_lli.has_indirect_call, 0
	.section	.AMDGPU.csdata,"",@progbits
; Kernel info:
; codeLenInByte = 2304
; TotalNumSgprs: 38
; NumVgprs: 58
; ScratchSize: 0
; MemoryBound: 0
; FloatMode: 240
; IeeeMode: 1
; LDSByteSize: 2048 bytes/workgroup (compile time only)
; SGPRBlocks: 0
; VGPRBlocks: 7
; NumSGPRsForWavesPerEU: 38
; NumVGPRsForWavesPerEU: 58
; Occupancy: 16
; WaveLimiterHint : 1
; COMPUTE_PGM_RSRC2:SCRATCH_EN: 0
; COMPUTE_PGM_RSRC2:USER_SGPR: 6
; COMPUTE_PGM_RSRC2:TRAP_HANDLER: 0
; COMPUTE_PGM_RSRC2:TGID_X_EN: 1
; COMPUTE_PGM_RSRC2:TGID_Y_EN: 1
; COMPUTE_PGM_RSRC2:TGID_Z_EN: 1
; COMPUTE_PGM_RSRC2:TIDIG_COMP_CNT: 1
	.section	.text._ZN12_GLOBAL__N_127rocblas_gemm_batched_kernelIfLi16ELi16ELi32ELi32ELi8ELi32ELi8ELi8ELi32ELc78ELc78EKPK16rocblas_bfloat16KPKfKPfEEvlllT_PT11_llSC_llSA_PT12_llPT13_lli,"axG",@progbits,_ZN12_GLOBAL__N_127rocblas_gemm_batched_kernelIfLi16ELi16ELi32ELi32ELi8ELi32ELi8ELi8ELi32ELc78ELc78EKPK16rocblas_bfloat16KPKfKPfEEvlllT_PT11_llSC_llSA_PT12_llPT13_lli,comdat
	.globl	_ZN12_GLOBAL__N_127rocblas_gemm_batched_kernelIfLi16ELi16ELi32ELi32ELi8ELi32ELi8ELi8ELi32ELc78ELc78EKPK16rocblas_bfloat16KPKfKPfEEvlllT_PT11_llSC_llSA_PT12_llPT13_lli ; -- Begin function _ZN12_GLOBAL__N_127rocblas_gemm_batched_kernelIfLi16ELi16ELi32ELi32ELi8ELi32ELi8ELi8ELi32ELc78ELc78EKPK16rocblas_bfloat16KPKfKPfEEvlllT_PT11_llSC_llSA_PT12_llPT13_lli
	.p2align	8
	.type	_ZN12_GLOBAL__N_127rocblas_gemm_batched_kernelIfLi16ELi16ELi32ELi32ELi8ELi32ELi8ELi8ELi32ELc78ELc78EKPK16rocblas_bfloat16KPKfKPfEEvlllT_PT11_llSC_llSA_PT12_llPT13_lli,@function
_ZN12_GLOBAL__N_127rocblas_gemm_batched_kernelIfLi16ELi16ELi32ELi32ELi8ELi32ELi8ELi8ELi32ELc78ELc78EKPK16rocblas_bfloat16KPKfKPfEEvlllT_PT11_llSC_llSA_PT12_llPT13_lli: ; @_ZN12_GLOBAL__N_127rocblas_gemm_batched_kernelIfLi16ELi16ELi32ELi32ELi8ELi32ELi8ELi8ELi32ELc78ELc78EKPK16rocblas_bfloat16KPKfKPfEEvlllT_PT11_llSC_llSA_PT12_llPT13_lli
; %bb.0:
	s_clause 0x1
	s_load_dwordx8 s[12:19], s[4:5], 0x58
	s_load_dwordx2 s[28:29], s[4:5], 0x10
	s_mov_b32 s9, 0
	s_load_dwordx4 s[0:3], s[4:5], 0x78
	s_lshl_b64 s[34:35], s[8:9], 3
	s_mov_b32 s10, s7
	v_mov_b32_e32 v9, 0
	v_mov_b32_e32 v8, 0
	;; [unrolled: 1-line block ×4, first 2 shown]
	s_waitcnt lgkmcnt(0)
	s_add_u32 s8, s12, s34
	s_addc_u32 s9, s13, s35
	s_add_u32 s18, s18, s34
	s_addc_u32 s19, s19, s35
	s_load_dwordx2 s[12:13], s[8:9], 0x0
	s_load_dwordx2 s[18:19], s[18:19], 0x0
	v_cmp_lt_i64_e64 s8, s[28:29], 1
	s_ashr_i32 s7, s6, 31
	s_ashr_i32 s11, s10, 31
	s_lshl_b64 s[6:7], s[6:7], 5
	s_lshl_b64 s[30:31], s[10:11], 5
	s_and_b32 vcc_lo, exec_lo, s8
	s_cbranch_vccnz .LBB176_3
; %bb.1:
	s_load_dwordx4 s[8:11], s[4:5], 0x40
	v_lshl_add_u32 v2, v1, 4, v0
	s_load_dwordx8 s[20:27], s[4:5], 0x20
	v_and_b32_e32 v9, 7, v0
	v_mov_b32_e32 v6, 0
	v_lshlrev_b32_e32 v10, 2, v0
	v_lshrrev_b32_e32 v3, 3, v2
	v_and_b32_e32 v14, 31, v2
	v_lshlrev_b32_e32 v4, 2, v9
	v_lshrrev_b32_e32 v8, 5, v2
	v_lshlrev_b32_e32 v9, 1, v9
	v_add_co_u32 v5, s33, v3, s30
	v_add_co_ci_u32_e64 v7, null, 0, s31, s33
	v_lshl_or_b32 v13, v3, 5, v4
	v_lshlrev_b32_e32 v12, 2, v14
	v_lshl_add_u32 v11, v1, 5, 0x400
	v_add_nc_u32_e32 v13, 0x400, v13
	s_waitcnt lgkmcnt(0)
	v_mul_lo_u32 v15, s9, v5
	v_mul_lo_u32 v7, s8, v7
	v_mad_u64_u32 v[2:3], null, s8, v5, 0
	v_mad_u64_u32 v[4:5], null, s22, v8, s[6:7]
	s_add_u32 s8, s20, s34
	s_addc_u32 s9, s21, s35
	s_add_u32 s20, s26, s34
	s_addc_u32 s21, s27, s35
	v_add3_u32 v3, v3, v7, v15
	s_load_dwordx2 s[8:9], s[8:9], 0x0
	s_load_dwordx2 s[20:21], s[20:21], 0x0
	v_lshl_or_b32 v12, v8, 7, v12
	v_mad_u64_u32 v[7:8], null, s23, v8, v[5:6]
	v_lshlrev_b64 v[2:3], 1, v[2:3]
	s_lshl_b64 s[10:11], s[10:11], 1
	v_add_co_u32 v5, vcc_lo, v2, s10
	v_add_co_ci_u32_e64 v8, null, s11, v3, vcc_lo
	v_add_co_u32 v2, vcc_lo, v4, v14
	v_add_co_ci_u32_e64 v3, null, 0, v7, vcc_lo
	;; [unrolled: 2-line block ×3, first 2 shown]
	v_lshlrev_b64 v[4:5], 1, v[2:3]
	s_lshl_b64 s[10:11], s[24:25], 1
	s_waitcnt lgkmcnt(0)
	v_add_co_u32 v2, vcc_lo, s20, v7
	s_add_u32 s8, s8, s10
	v_add_co_ci_u32_e64 v3, null, s21, v8, vcc_lo
	s_addc_u32 s9, s9, s11
	v_add_co_u32 v4, vcc_lo, s8, v4
	v_add_co_ci_u32_e64 v5, null, s9, v5, vcc_lo
	v_mov_b32_e32 v7, 0
	v_mov_b32_e32 v8, 0
	;; [unrolled: 1-line block ×3, first 2 shown]
	s_lshl_b64 s[8:9], s[22:23], 4
	s_mov_b64 s[10:11], 0
.LBB176_2:                              ; =>This Inner Loop Header: Depth=1
	flat_load_ushort v14, v[4:5]
	flat_load_ushort v15, v[2:3]
	s_add_u32 s10, s10, 8
	s_addc_u32 s11, s11, 0
	v_add_co_u32 v2, vcc_lo, v2, 16
	v_cmp_lt_i64_e64 s20, s[10:11], s[28:29]
	v_add_co_ci_u32_e64 v3, null, 0, v3, vcc_lo
	v_add_co_u32 v4, vcc_lo, v4, s8
	v_add_co_ci_u32_e64 v5, null, s9, v5, vcc_lo
	s_and_b32 vcc_lo, exec_lo, s20
	s_waitcnt vmcnt(1) lgkmcnt(1)
	v_lshlrev_b32_e32 v14, 16, v14
	s_waitcnt vmcnt(0) lgkmcnt(0)
	v_lshlrev_b32_e32 v15, 16, v15
	ds_write_b32 v12, v14
	ds_write_b32 v13, v15
	s_waitcnt lgkmcnt(0)
	s_barrier
	buffer_gl0_inv
	ds_read_b128 v[14:17], v11
	ds_read2_b32 v[30:31], v10 offset1:16
	ds_read_b128 v[18:21], v11 offset:512
	ds_read2_b32 v[32:33], v10 offset0:32 offset1:48
	ds_read2_b32 v[34:35], v10 offset0:64 offset1:80
	ds_read_b128 v[22:25], v11 offset:16
	ds_read2_b32 v[36:37], v10 offset0:96 offset1:112
	ds_read2_b32 v[38:39], v10 offset0:128 offset1:144
	ds_read_b128 v[26:29], v11 offset:528
	ds_read2_b32 v[40:41], v10 offset0:160 offset1:176
	ds_read2_b32 v[42:43], v10 offset0:192 offset1:208
	ds_read2_b32 v[44:45], v10 offset0:224 offset1:240
	s_waitcnt lgkmcnt(0)
	s_barrier
	buffer_gl0_inv
	v_fmac_f32_e32 v9, v30, v14
	v_fmac_f32_e32 v8, v31, v14
	;; [unrolled: 1-line block ×32, first 2 shown]
	s_cbranch_vccnz .LBB176_2
.LBB176_3:
	s_load_dword s8, s[4:5], 0x50
	s_lshl_b64 s[10:11], s[2:3], 2
	s_load_dword s2, s[4:5], 0x18
	v_add_co_u32 v2, s4, s30, v1
	v_add_co_ci_u32_e64 v5, null, s31, 0, s4
	v_add_co_u32 v0, s4, s6, v0
	v_add_co_ci_u32_e64 v1, null, s7, 0, s4
	v_mul_lo_u32 v3, v5, s0
	v_mul_lo_u32 v4, v2, s1
	s_waitcnt lgkmcnt(0)
	s_add_u32 s3, s18, s10
	v_lshlrev_b64 v[0:1], 2, v[0:1]
	s_addc_u32 s4, s19, s11
	v_cmp_neq_f32_e64 s5, s8, 0
	s_and_b32 vcc_lo, exec_lo, s5
	s_mov_b32 s5, 0
	s_cbranch_vccnz .LBB176_7
; %bb.4:
	v_mad_u64_u32 v[10:11], null, v2, s0, 0
	s_lshl_b64 s[6:7], s[0:1], 6
	v_mul_f32_e32 v14, s2, v9
	v_mul_f32_e32 v15, s2, v8
	;; [unrolled: 1-line block ×4, first 2 shown]
	v_add3_u32 v11, v11, v4, v3
	v_lshlrev_b64 v[10:11], 2, v[10:11]
	v_add_co_u32 v10, vcc_lo, s3, v10
	v_add_co_ci_u32_e64 v11, null, s4, v11, vcc_lo
	v_add_co_u32 v12, vcc_lo, v10, s6
	v_add_co_ci_u32_e64 v13, null, s7, v11, vcc_lo
	;; [unrolled: 2-line block ×4, first 2 shown]
	flat_store_dword v[10:11], v14
	flat_store_dword v[10:11], v15 offset:64
	flat_store_dword v[12:13], v16
	flat_store_dword v[12:13], v17 offset:64
	s_andn2_b32 vcc_lo, exec_lo, s5
	s_cbranch_vccnz .LBB176_6
.LBB176_5:
	v_mul_lo_u32 v5, v5, s14
	v_mul_lo_u32 v12, v2, s15
	v_mad_u64_u32 v[10:11], null, v2, s14, 0
	s_lshl_b64 s[6:7], s[16:17], 2
	s_add_u32 s5, s12, s6
	s_addc_u32 s6, s13, s7
	v_add3_u32 v11, v11, v12, v5
	v_mad_u64_u32 v[12:13], null, v2, s0, 0
	s_lshl_b64 s[0:1], s[0:1], 6
	v_lshlrev_b64 v[10:11], 2, v[10:11]
	v_add3_u32 v13, v13, v4, v3
	v_add_co_u32 v5, vcc_lo, s5, v10
	v_add_co_ci_u32_e64 v14, null, s6, v11, vcc_lo
	v_lshlrev_b64 v[2:3], 2, v[12:13]
	v_add_co_u32 v10, vcc_lo, v5, v0
	v_add_co_ci_u32_e64 v11, null, v14, v1, vcc_lo
	v_add_co_u32 v12, vcc_lo, s3, v2
	flat_load_dword v15, v[10:11]
	v_add_co_ci_u32_e64 v13, null, s4, v3, vcc_lo
	v_add_co_u32 v2, vcc_lo, v12, v0
	s_lshl_b64 s[4:5], s[14:15], 6
	v_add_co_ci_u32_e64 v3, null, v13, v1, vcc_lo
	s_waitcnt vmcnt(0) lgkmcnt(0)
	v_mul_f32_e32 v4, s8, v15
	v_fmac_f32_e32 v4, s2, v9
	flat_store_dword v[2:3], v4
	flat_load_dword v4, v[10:11] offset:64
	s_waitcnt vmcnt(0) lgkmcnt(0)
	v_mul_f32_e32 v9, s8, v4
	v_add_co_u32 v4, vcc_lo, v5, s4
	v_add_co_ci_u32_e64 v5, null, s5, v14, vcc_lo
	v_fmac_f32_e32 v9, s2, v8
	v_add_co_u32 v4, vcc_lo, v4, v0
	v_add_co_ci_u32_e64 v5, null, v5, v1, vcc_lo
	flat_store_dword v[2:3], v9 offset:64
	v_add_co_u32 v3, vcc_lo, v12, s0
	flat_load_dword v2, v[4:5]
	v_add_co_ci_u32_e64 v8, null, s1, v13, vcc_lo
	v_add_co_u32 v0, vcc_lo, v3, v0
	v_add_co_ci_u32_e64 v1, null, v8, v1, vcc_lo
	s_waitcnt vmcnt(0) lgkmcnt(0)
	v_mul_f32_e32 v2, s8, v2
	v_fmac_f32_e32 v2, s2, v7
	flat_store_dword v[0:1], v2
	flat_load_dword v2, v[4:5] offset:64
	s_waitcnt vmcnt(0) lgkmcnt(0)
	v_mul_f32_e32 v2, s8, v2
	v_fmac_f32_e32 v2, s2, v6
	flat_store_dword v[0:1], v2 offset:64
.LBB176_6:
	s_endpgm
.LBB176_7:
	s_branch .LBB176_5
	.section	.rodata,"a",@progbits
	.p2align	6, 0x0
	.amdhsa_kernel _ZN12_GLOBAL__N_127rocblas_gemm_batched_kernelIfLi16ELi16ELi32ELi32ELi8ELi32ELi8ELi8ELi32ELc78ELc78EKPK16rocblas_bfloat16KPKfKPfEEvlllT_PT11_llSC_llSA_PT12_llPT13_lli
		.amdhsa_group_segment_fixed_size 2048
		.amdhsa_private_segment_fixed_size 0
		.amdhsa_kernarg_size 140
		.amdhsa_user_sgpr_count 6
		.amdhsa_user_sgpr_private_segment_buffer 1
		.amdhsa_user_sgpr_dispatch_ptr 0
		.amdhsa_user_sgpr_queue_ptr 0
		.amdhsa_user_sgpr_kernarg_segment_ptr 1
		.amdhsa_user_sgpr_dispatch_id 0
		.amdhsa_user_sgpr_flat_scratch_init 0
		.amdhsa_user_sgpr_private_segment_size 0
		.amdhsa_wavefront_size32 1
		.amdhsa_uses_dynamic_stack 0
		.amdhsa_system_sgpr_private_segment_wavefront_offset 0
		.amdhsa_system_sgpr_workgroup_id_x 1
		.amdhsa_system_sgpr_workgroup_id_y 1
		.amdhsa_system_sgpr_workgroup_id_z 1
		.amdhsa_system_sgpr_workgroup_info 0
		.amdhsa_system_vgpr_workitem_id 1
		.amdhsa_next_free_vgpr 46
		.amdhsa_next_free_sgpr 36
		.amdhsa_reserve_vcc 1
		.amdhsa_reserve_flat_scratch 0
		.amdhsa_float_round_mode_32 0
		.amdhsa_float_round_mode_16_64 0
		.amdhsa_float_denorm_mode_32 3
		.amdhsa_float_denorm_mode_16_64 3
		.amdhsa_dx10_clamp 1
		.amdhsa_ieee_mode 1
		.amdhsa_fp16_overflow 0
		.amdhsa_workgroup_processor_mode 1
		.amdhsa_memory_ordered 1
		.amdhsa_forward_progress 1
		.amdhsa_shared_vgpr_count 0
		.amdhsa_exception_fp_ieee_invalid_op 0
		.amdhsa_exception_fp_denorm_src 0
		.amdhsa_exception_fp_ieee_div_zero 0
		.amdhsa_exception_fp_ieee_overflow 0
		.amdhsa_exception_fp_ieee_underflow 0
		.amdhsa_exception_fp_ieee_inexact 0
		.amdhsa_exception_int_div_zero 0
	.end_amdhsa_kernel
	.section	.text._ZN12_GLOBAL__N_127rocblas_gemm_batched_kernelIfLi16ELi16ELi32ELi32ELi8ELi32ELi8ELi8ELi32ELc78ELc78EKPK16rocblas_bfloat16KPKfKPfEEvlllT_PT11_llSC_llSA_PT12_llPT13_lli,"axG",@progbits,_ZN12_GLOBAL__N_127rocblas_gemm_batched_kernelIfLi16ELi16ELi32ELi32ELi8ELi32ELi8ELi8ELi32ELc78ELc78EKPK16rocblas_bfloat16KPKfKPfEEvlllT_PT11_llSC_llSA_PT12_llPT13_lli,comdat
.Lfunc_end176:
	.size	_ZN12_GLOBAL__N_127rocblas_gemm_batched_kernelIfLi16ELi16ELi32ELi32ELi8ELi32ELi8ELi8ELi32ELc78ELc78EKPK16rocblas_bfloat16KPKfKPfEEvlllT_PT11_llSC_llSA_PT12_llPT13_lli, .Lfunc_end176-_ZN12_GLOBAL__N_127rocblas_gemm_batched_kernelIfLi16ELi16ELi32ELi32ELi8ELi32ELi8ELi8ELi32ELc78ELc78EKPK16rocblas_bfloat16KPKfKPfEEvlllT_PT11_llSC_llSA_PT12_llPT13_lli
                                        ; -- End function
	.set _ZN12_GLOBAL__N_127rocblas_gemm_batched_kernelIfLi16ELi16ELi32ELi32ELi8ELi32ELi8ELi8ELi32ELc78ELc78EKPK16rocblas_bfloat16KPKfKPfEEvlllT_PT11_llSC_llSA_PT12_llPT13_lli.num_vgpr, 46
	.set _ZN12_GLOBAL__N_127rocblas_gemm_batched_kernelIfLi16ELi16ELi32ELi32ELi8ELi32ELi8ELi8ELi32ELc78ELc78EKPK16rocblas_bfloat16KPKfKPfEEvlllT_PT11_llSC_llSA_PT12_llPT13_lli.num_agpr, 0
	.set _ZN12_GLOBAL__N_127rocblas_gemm_batched_kernelIfLi16ELi16ELi32ELi32ELi8ELi32ELi8ELi8ELi32ELc78ELc78EKPK16rocblas_bfloat16KPKfKPfEEvlllT_PT11_llSC_llSA_PT12_llPT13_lli.numbered_sgpr, 36
	.set _ZN12_GLOBAL__N_127rocblas_gemm_batched_kernelIfLi16ELi16ELi32ELi32ELi8ELi32ELi8ELi8ELi32ELc78ELc78EKPK16rocblas_bfloat16KPKfKPfEEvlllT_PT11_llSC_llSA_PT12_llPT13_lli.num_named_barrier, 0
	.set _ZN12_GLOBAL__N_127rocblas_gemm_batched_kernelIfLi16ELi16ELi32ELi32ELi8ELi32ELi8ELi8ELi32ELc78ELc78EKPK16rocblas_bfloat16KPKfKPfEEvlllT_PT11_llSC_llSA_PT12_llPT13_lli.private_seg_size, 0
	.set _ZN12_GLOBAL__N_127rocblas_gemm_batched_kernelIfLi16ELi16ELi32ELi32ELi8ELi32ELi8ELi8ELi32ELc78ELc78EKPK16rocblas_bfloat16KPKfKPfEEvlllT_PT11_llSC_llSA_PT12_llPT13_lli.uses_vcc, 1
	.set _ZN12_GLOBAL__N_127rocblas_gemm_batched_kernelIfLi16ELi16ELi32ELi32ELi8ELi32ELi8ELi8ELi32ELc78ELc78EKPK16rocblas_bfloat16KPKfKPfEEvlllT_PT11_llSC_llSA_PT12_llPT13_lli.uses_flat_scratch, 0
	.set _ZN12_GLOBAL__N_127rocblas_gemm_batched_kernelIfLi16ELi16ELi32ELi32ELi8ELi32ELi8ELi8ELi32ELc78ELc78EKPK16rocblas_bfloat16KPKfKPfEEvlllT_PT11_llSC_llSA_PT12_llPT13_lli.has_dyn_sized_stack, 0
	.set _ZN12_GLOBAL__N_127rocblas_gemm_batched_kernelIfLi16ELi16ELi32ELi32ELi8ELi32ELi8ELi8ELi32ELc78ELc78EKPK16rocblas_bfloat16KPKfKPfEEvlllT_PT11_llSC_llSA_PT12_llPT13_lli.has_recursion, 0
	.set _ZN12_GLOBAL__N_127rocblas_gemm_batched_kernelIfLi16ELi16ELi32ELi32ELi8ELi32ELi8ELi8ELi32ELc78ELc78EKPK16rocblas_bfloat16KPKfKPfEEvlllT_PT11_llSC_llSA_PT12_llPT13_lli.has_indirect_call, 0
	.section	.AMDGPU.csdata,"",@progbits
; Kernel info:
; codeLenInByte = 1404
; TotalNumSgprs: 38
; NumVgprs: 46
; ScratchSize: 0
; MemoryBound: 0
; FloatMode: 240
; IeeeMode: 1
; LDSByteSize: 2048 bytes/workgroup (compile time only)
; SGPRBlocks: 0
; VGPRBlocks: 5
; NumSGPRsForWavesPerEU: 38
; NumVGPRsForWavesPerEU: 46
; Occupancy: 16
; WaveLimiterHint : 1
; COMPUTE_PGM_RSRC2:SCRATCH_EN: 0
; COMPUTE_PGM_RSRC2:USER_SGPR: 6
; COMPUTE_PGM_RSRC2:TRAP_HANDLER: 0
; COMPUTE_PGM_RSRC2:TGID_X_EN: 1
; COMPUTE_PGM_RSRC2:TGID_Y_EN: 1
; COMPUTE_PGM_RSRC2:TGID_Z_EN: 1
; COMPUTE_PGM_RSRC2:TIDIG_COMP_CNT: 1
	.section	.text._ZN12_GLOBAL__N_127rocblas_gemm_batched_kernelIfLi16ELi16ELi32ELi32ELi8ELi32ELi8ELi8ELi32ELc84ELc78EKPK16rocblas_bfloat16KPKfKPfEEvlllT_PT11_llSC_llSA_PT12_llPT13_lli,"axG",@progbits,_ZN12_GLOBAL__N_127rocblas_gemm_batched_kernelIfLi16ELi16ELi32ELi32ELi8ELi32ELi8ELi8ELi32ELc84ELc78EKPK16rocblas_bfloat16KPKfKPfEEvlllT_PT11_llSC_llSA_PT12_llPT13_lli,comdat
	.globl	_ZN12_GLOBAL__N_127rocblas_gemm_batched_kernelIfLi16ELi16ELi32ELi32ELi8ELi32ELi8ELi8ELi32ELc84ELc78EKPK16rocblas_bfloat16KPKfKPfEEvlllT_PT11_llSC_llSA_PT12_llPT13_lli ; -- Begin function _ZN12_GLOBAL__N_127rocblas_gemm_batched_kernelIfLi16ELi16ELi32ELi32ELi8ELi32ELi8ELi8ELi32ELc84ELc78EKPK16rocblas_bfloat16KPKfKPfEEvlllT_PT11_llSC_llSA_PT12_llPT13_lli
	.p2align	8
	.type	_ZN12_GLOBAL__N_127rocblas_gemm_batched_kernelIfLi16ELi16ELi32ELi32ELi8ELi32ELi8ELi8ELi32ELc84ELc78EKPK16rocblas_bfloat16KPKfKPfEEvlllT_PT11_llSC_llSA_PT12_llPT13_lli,@function
_ZN12_GLOBAL__N_127rocblas_gemm_batched_kernelIfLi16ELi16ELi32ELi32ELi8ELi32ELi8ELi8ELi32ELc84ELc78EKPK16rocblas_bfloat16KPKfKPfEEvlllT_PT11_llSC_llSA_PT12_llPT13_lli: ; @_ZN12_GLOBAL__N_127rocblas_gemm_batched_kernelIfLi16ELi16ELi32ELi32ELi8ELi32ELi8ELi8ELi32ELc84ELc78EKPK16rocblas_bfloat16KPKfKPfEEvlllT_PT11_llSC_llSA_PT12_llPT13_lli
; %bb.0:
	s_clause 0x1
	s_load_dwordx8 s[12:19], s[4:5], 0x58
	s_load_dwordx2 s[28:29], s[4:5], 0x10
	s_mov_b32 s9, 0
	s_load_dwordx4 s[0:3], s[4:5], 0x78
	s_lshl_b64 s[34:35], s[8:9], 3
	s_mov_b32 s10, s7
	v_mov_b32_e32 v9, 0
	v_mov_b32_e32 v8, 0
	;; [unrolled: 1-line block ×4, first 2 shown]
	s_waitcnt lgkmcnt(0)
	s_add_u32 s8, s12, s34
	s_addc_u32 s9, s13, s35
	s_add_u32 s18, s18, s34
	s_addc_u32 s19, s19, s35
	s_load_dwordx2 s[12:13], s[8:9], 0x0
	s_load_dwordx2 s[18:19], s[18:19], 0x0
	v_cmp_lt_i64_e64 s8, s[28:29], 1
	s_ashr_i32 s7, s6, 31
	s_ashr_i32 s11, s10, 31
	s_lshl_b64 s[6:7], s[6:7], 5
	s_lshl_b64 s[30:31], s[10:11], 5
	s_and_b32 vcc_lo, exec_lo, s8
	s_cbranch_vccnz .LBB177_3
; %bb.1:
	s_clause 0x1
	s_load_dwordx8 s[20:27], s[4:5], 0x20
	s_load_dwordx4 s[8:11], s[4:5], 0x40
	v_lshl_add_u32 v2, v1, 4, v0
	v_and_b32_e32 v7, 7, v0
	v_lshrrev_b32_e32 v6, 3, v2
	v_and_b32_e32 v8, 31, v2
	v_lshrrev_b32_e32 v9, 5, v2
	v_lshlrev_b32_e32 v10, 2, v7
	v_lshlrev_b32_e32 v7, 1, v7
	v_add_co_u32 v2, s33, v6, s30
	v_add_co_ci_u32_e64 v3, null, 0, s31, s33
	v_add_co_u32 v4, s33, s6, v8
	v_add_co_ci_u32_e64 v5, null, s7, 0, s33
	s_waitcnt lgkmcnt(0)
	s_add_u32 s20, s20, s34
	v_mul_lo_u32 v11, s9, v2
	v_mul_lo_u32 v12, s8, v3
	v_mad_u64_u32 v[2:3], null, s8, v2, 0
	v_mul_lo_u32 v13, s23, v4
	v_mul_lo_u32 v14, s22, v5
	v_mad_u64_u32 v[4:5], null, s22, v4, 0
	s_addc_u32 s21, s21, s35
	s_add_u32 s26, s26, s34
	v_add3_u32 v3, v3, v12, v11
	s_addc_u32 s27, s27, s35
	s_load_dwordx2 s[20:21], s[20:21], 0x0
	s_load_dwordx2 s[8:9], s[26:27], 0x0
	v_add3_u32 v5, v5, v14, v13
	v_lshlrev_b64 v[2:3], 1, v[2:3]
	s_lshl_b64 s[10:11], s[10:11], 1
	v_lshlrev_b32_e32 v8, 2, v8
	v_lshl_or_b32 v15, v6, 5, v10
	v_lshlrev_b64 v[4:5], 1, v[4:5]
	v_mov_b32_e32 v6, 0
	v_add_co_u32 v2, vcc_lo, v2, s10
	v_add_co_ci_u32_e64 v3, null, s11, v3, vcc_lo
	s_lshl_b64 s[10:11], s[24:25], 1
	v_lshl_or_b32 v10, v9, 7, v8
	v_add_co_u32 v4, vcc_lo, v4, s10
	v_lshlrev_b32_e32 v8, 1, v9
	v_add_co_ci_u32_e64 v5, null, s11, v5, vcc_lo
	v_add_co_u32 v2, vcc_lo, v2, v7
	v_add_co_ci_u32_e64 v3, null, 0, v3, vcc_lo
	v_add_co_u32 v4, vcc_lo, v4, v8
	v_add_co_ci_u32_e64 v5, null, 0, v5, vcc_lo
	s_waitcnt lgkmcnt(0)
	v_add_co_u32 v2, vcc_lo, s8, v2
	v_add_co_ci_u32_e64 v3, null, s9, v3, vcc_lo
	v_add_co_u32 v4, vcc_lo, s20, v4
	v_add_nc_u32_e32 v11, 0x400, v15
	v_lshlrev_b32_e32 v12, 2, v0
	v_lshl_add_u32 v13, v1, 5, 0x400
	v_add_co_ci_u32_e64 v5, null, s21, v5, vcc_lo
	v_mov_b32_e32 v7, 0
	v_mov_b32_e32 v8, 0
	;; [unrolled: 1-line block ×3, first 2 shown]
	s_mov_b64 s[8:9], 0
.LBB177_2:                              ; =>This Inner Loop Header: Depth=1
	flat_load_ushort v14, v[4:5]
	flat_load_ushort v15, v[2:3]
	s_add_u32 s8, s8, 8
	s_addc_u32 s9, s9, 0
	v_add_co_u32 v2, vcc_lo, v2, 16
	v_cmp_lt_i64_e64 s10, s[8:9], s[28:29]
	v_add_co_ci_u32_e64 v3, null, 0, v3, vcc_lo
	v_add_co_u32 v4, vcc_lo, v4, 16
	v_add_co_ci_u32_e64 v5, null, 0, v5, vcc_lo
	s_and_b32 vcc_lo, exec_lo, s10
	s_waitcnt vmcnt(1) lgkmcnt(1)
	v_lshlrev_b32_e32 v14, 16, v14
	s_waitcnt vmcnt(0) lgkmcnt(0)
	v_lshlrev_b32_e32 v15, 16, v15
	ds_write_b32 v10, v14
	ds_write_b32 v11, v15
	s_waitcnt lgkmcnt(0)
	s_barrier
	buffer_gl0_inv
	ds_read_b128 v[14:17], v13
	ds_read2_b32 v[30:31], v12 offset1:16
	ds_read_b128 v[18:21], v13 offset:512
	ds_read2_b32 v[32:33], v12 offset0:32 offset1:48
	ds_read2_b32 v[34:35], v12 offset0:64 offset1:80
	ds_read_b128 v[22:25], v13 offset:16
	ds_read2_b32 v[36:37], v12 offset0:96 offset1:112
	ds_read2_b32 v[38:39], v12 offset0:128 offset1:144
	;; [unrolled: 3-line block ×3, first 2 shown]
	ds_read2_b32 v[44:45], v12 offset0:224 offset1:240
	s_waitcnt lgkmcnt(0)
	s_barrier
	buffer_gl0_inv
	v_fmac_f32_e32 v9, v30, v14
	v_fmac_f32_e32 v8, v31, v14
	v_fmac_f32_e32 v7, v30, v18
	v_fmac_f32_e32 v6, v31, v18
	v_fmac_f32_e32 v9, v32, v15
	v_fmac_f32_e32 v8, v33, v15
	v_fmac_f32_e32 v7, v32, v19
	v_fmac_f32_e32 v6, v33, v19
	v_fmac_f32_e32 v9, v34, v16
	v_fmac_f32_e32 v8, v35, v16
	v_fmac_f32_e32 v7, v34, v20
	v_fmac_f32_e32 v6, v35, v20
	v_fmac_f32_e32 v9, v36, v17
	v_fmac_f32_e32 v8, v37, v17
	v_fmac_f32_e32 v7, v36, v21
	v_fmac_f32_e32 v6, v37, v21
	v_fmac_f32_e32 v9, v38, v22
	v_fmac_f32_e32 v8, v39, v22
	v_fmac_f32_e32 v7, v38, v26
	v_fmac_f32_e32 v6, v39, v26
	v_fmac_f32_e32 v9, v40, v23
	v_fmac_f32_e32 v8, v41, v23
	v_fmac_f32_e32 v7, v40, v27
	v_fmac_f32_e32 v6, v41, v27
	v_fmac_f32_e32 v9, v42, v24
	v_fmac_f32_e32 v8, v43, v24
	v_fmac_f32_e32 v7, v42, v28
	v_fmac_f32_e32 v6, v43, v28
	v_fmac_f32_e32 v9, v44, v25
	v_fmac_f32_e32 v8, v45, v25
	v_fmac_f32_e32 v7, v44, v29
	v_fmac_f32_e32 v6, v45, v29
	s_cbranch_vccnz .LBB177_2
.LBB177_3:
	s_load_dword s8, s[4:5], 0x50
	s_lshl_b64 s[10:11], s[2:3], 2
	s_load_dword s2, s[4:5], 0x18
	v_add_co_u32 v2, s4, s30, v1
	v_add_co_ci_u32_e64 v5, null, s31, 0, s4
	v_add_co_u32 v0, s4, s6, v0
	v_add_co_ci_u32_e64 v1, null, s7, 0, s4
	v_mul_lo_u32 v3, v5, s0
	v_mul_lo_u32 v4, v2, s1
	s_waitcnt lgkmcnt(0)
	s_add_u32 s3, s18, s10
	v_lshlrev_b64 v[0:1], 2, v[0:1]
	s_addc_u32 s4, s19, s11
	v_cmp_neq_f32_e64 s5, s8, 0
	s_and_b32 vcc_lo, exec_lo, s5
	s_mov_b32 s5, 0
	s_cbranch_vccnz .LBB177_7
; %bb.4:
	v_mad_u64_u32 v[10:11], null, v2, s0, 0
	s_lshl_b64 s[6:7], s[0:1], 6
	v_mul_f32_e32 v14, s2, v9
	v_mul_f32_e32 v15, s2, v8
	;; [unrolled: 1-line block ×4, first 2 shown]
	v_add3_u32 v11, v11, v4, v3
	v_lshlrev_b64 v[10:11], 2, v[10:11]
	v_add_co_u32 v10, vcc_lo, s3, v10
	v_add_co_ci_u32_e64 v11, null, s4, v11, vcc_lo
	v_add_co_u32 v12, vcc_lo, v10, s6
	v_add_co_ci_u32_e64 v13, null, s7, v11, vcc_lo
	;; [unrolled: 2-line block ×4, first 2 shown]
	flat_store_dword v[10:11], v14
	flat_store_dword v[10:11], v15 offset:64
	flat_store_dword v[12:13], v16
	flat_store_dword v[12:13], v17 offset:64
	s_andn2_b32 vcc_lo, exec_lo, s5
	s_cbranch_vccnz .LBB177_6
.LBB177_5:
	v_mul_lo_u32 v5, v5, s14
	v_mul_lo_u32 v12, v2, s15
	v_mad_u64_u32 v[10:11], null, v2, s14, 0
	s_lshl_b64 s[6:7], s[16:17], 2
	s_add_u32 s5, s12, s6
	s_addc_u32 s6, s13, s7
	v_add3_u32 v11, v11, v12, v5
	v_mad_u64_u32 v[12:13], null, v2, s0, 0
	s_lshl_b64 s[0:1], s[0:1], 6
	v_lshlrev_b64 v[10:11], 2, v[10:11]
	v_add3_u32 v13, v13, v4, v3
	v_add_co_u32 v5, vcc_lo, s5, v10
	v_add_co_ci_u32_e64 v14, null, s6, v11, vcc_lo
	v_lshlrev_b64 v[2:3], 2, v[12:13]
	v_add_co_u32 v10, vcc_lo, v5, v0
	v_add_co_ci_u32_e64 v11, null, v14, v1, vcc_lo
	v_add_co_u32 v12, vcc_lo, s3, v2
	flat_load_dword v15, v[10:11]
	v_add_co_ci_u32_e64 v13, null, s4, v3, vcc_lo
	v_add_co_u32 v2, vcc_lo, v12, v0
	s_lshl_b64 s[4:5], s[14:15], 6
	v_add_co_ci_u32_e64 v3, null, v13, v1, vcc_lo
	s_waitcnt vmcnt(0) lgkmcnt(0)
	v_mul_f32_e32 v4, s8, v15
	v_fmac_f32_e32 v4, s2, v9
	flat_store_dword v[2:3], v4
	flat_load_dword v4, v[10:11] offset:64
	s_waitcnt vmcnt(0) lgkmcnt(0)
	v_mul_f32_e32 v9, s8, v4
	v_add_co_u32 v4, vcc_lo, v5, s4
	v_add_co_ci_u32_e64 v5, null, s5, v14, vcc_lo
	v_fmac_f32_e32 v9, s2, v8
	v_add_co_u32 v4, vcc_lo, v4, v0
	v_add_co_ci_u32_e64 v5, null, v5, v1, vcc_lo
	flat_store_dword v[2:3], v9 offset:64
	v_add_co_u32 v3, vcc_lo, v12, s0
	flat_load_dword v2, v[4:5]
	v_add_co_ci_u32_e64 v8, null, s1, v13, vcc_lo
	v_add_co_u32 v0, vcc_lo, v3, v0
	v_add_co_ci_u32_e64 v1, null, v8, v1, vcc_lo
	s_waitcnt vmcnt(0) lgkmcnt(0)
	v_mul_f32_e32 v2, s8, v2
	v_fmac_f32_e32 v2, s2, v7
	flat_store_dword v[0:1], v2
	flat_load_dword v2, v[4:5] offset:64
	s_waitcnt vmcnt(0) lgkmcnt(0)
	v_mul_f32_e32 v2, s8, v2
	v_fmac_f32_e32 v2, s2, v6
	flat_store_dword v[0:1], v2 offset:64
.LBB177_6:
	s_endpgm
.LBB177_7:
	s_branch .LBB177_5
	.section	.rodata,"a",@progbits
	.p2align	6, 0x0
	.amdhsa_kernel _ZN12_GLOBAL__N_127rocblas_gemm_batched_kernelIfLi16ELi16ELi32ELi32ELi8ELi32ELi8ELi8ELi32ELc84ELc78EKPK16rocblas_bfloat16KPKfKPfEEvlllT_PT11_llSC_llSA_PT12_llPT13_lli
		.amdhsa_group_segment_fixed_size 2048
		.amdhsa_private_segment_fixed_size 0
		.amdhsa_kernarg_size 140
		.amdhsa_user_sgpr_count 6
		.amdhsa_user_sgpr_private_segment_buffer 1
		.amdhsa_user_sgpr_dispatch_ptr 0
		.amdhsa_user_sgpr_queue_ptr 0
		.amdhsa_user_sgpr_kernarg_segment_ptr 1
		.amdhsa_user_sgpr_dispatch_id 0
		.amdhsa_user_sgpr_flat_scratch_init 0
		.amdhsa_user_sgpr_private_segment_size 0
		.amdhsa_wavefront_size32 1
		.amdhsa_uses_dynamic_stack 0
		.amdhsa_system_sgpr_private_segment_wavefront_offset 0
		.amdhsa_system_sgpr_workgroup_id_x 1
		.amdhsa_system_sgpr_workgroup_id_y 1
		.amdhsa_system_sgpr_workgroup_id_z 1
		.amdhsa_system_sgpr_workgroup_info 0
		.amdhsa_system_vgpr_workitem_id 1
		.amdhsa_next_free_vgpr 46
		.amdhsa_next_free_sgpr 36
		.amdhsa_reserve_vcc 1
		.amdhsa_reserve_flat_scratch 0
		.amdhsa_float_round_mode_32 0
		.amdhsa_float_round_mode_16_64 0
		.amdhsa_float_denorm_mode_32 3
		.amdhsa_float_denorm_mode_16_64 3
		.amdhsa_dx10_clamp 1
		.amdhsa_ieee_mode 1
		.amdhsa_fp16_overflow 0
		.amdhsa_workgroup_processor_mode 1
		.amdhsa_memory_ordered 1
		.amdhsa_forward_progress 1
		.amdhsa_shared_vgpr_count 0
		.amdhsa_exception_fp_ieee_invalid_op 0
		.amdhsa_exception_fp_denorm_src 0
		.amdhsa_exception_fp_ieee_div_zero 0
		.amdhsa_exception_fp_ieee_overflow 0
		.amdhsa_exception_fp_ieee_underflow 0
		.amdhsa_exception_fp_ieee_inexact 0
		.amdhsa_exception_int_div_zero 0
	.end_amdhsa_kernel
	.section	.text._ZN12_GLOBAL__N_127rocblas_gemm_batched_kernelIfLi16ELi16ELi32ELi32ELi8ELi32ELi8ELi8ELi32ELc84ELc78EKPK16rocblas_bfloat16KPKfKPfEEvlllT_PT11_llSC_llSA_PT12_llPT13_lli,"axG",@progbits,_ZN12_GLOBAL__N_127rocblas_gemm_batched_kernelIfLi16ELi16ELi32ELi32ELi8ELi32ELi8ELi8ELi32ELc84ELc78EKPK16rocblas_bfloat16KPKfKPfEEvlllT_PT11_llSC_llSA_PT12_llPT13_lli,comdat
.Lfunc_end177:
	.size	_ZN12_GLOBAL__N_127rocblas_gemm_batched_kernelIfLi16ELi16ELi32ELi32ELi8ELi32ELi8ELi8ELi32ELc84ELc78EKPK16rocblas_bfloat16KPKfKPfEEvlllT_PT11_llSC_llSA_PT12_llPT13_lli, .Lfunc_end177-_ZN12_GLOBAL__N_127rocblas_gemm_batched_kernelIfLi16ELi16ELi32ELi32ELi8ELi32ELi8ELi8ELi32ELc84ELc78EKPK16rocblas_bfloat16KPKfKPfEEvlllT_PT11_llSC_llSA_PT12_llPT13_lli
                                        ; -- End function
	.set _ZN12_GLOBAL__N_127rocblas_gemm_batched_kernelIfLi16ELi16ELi32ELi32ELi8ELi32ELi8ELi8ELi32ELc84ELc78EKPK16rocblas_bfloat16KPKfKPfEEvlllT_PT11_llSC_llSA_PT12_llPT13_lli.num_vgpr, 46
	.set _ZN12_GLOBAL__N_127rocblas_gemm_batched_kernelIfLi16ELi16ELi32ELi32ELi8ELi32ELi8ELi8ELi32ELc84ELc78EKPK16rocblas_bfloat16KPKfKPfEEvlllT_PT11_llSC_llSA_PT12_llPT13_lli.num_agpr, 0
	.set _ZN12_GLOBAL__N_127rocblas_gemm_batched_kernelIfLi16ELi16ELi32ELi32ELi8ELi32ELi8ELi8ELi32ELc84ELc78EKPK16rocblas_bfloat16KPKfKPfEEvlllT_PT11_llSC_llSA_PT12_llPT13_lli.numbered_sgpr, 36
	.set _ZN12_GLOBAL__N_127rocblas_gemm_batched_kernelIfLi16ELi16ELi32ELi32ELi8ELi32ELi8ELi8ELi32ELc84ELc78EKPK16rocblas_bfloat16KPKfKPfEEvlllT_PT11_llSC_llSA_PT12_llPT13_lli.num_named_barrier, 0
	.set _ZN12_GLOBAL__N_127rocblas_gemm_batched_kernelIfLi16ELi16ELi32ELi32ELi8ELi32ELi8ELi8ELi32ELc84ELc78EKPK16rocblas_bfloat16KPKfKPfEEvlllT_PT11_llSC_llSA_PT12_llPT13_lli.private_seg_size, 0
	.set _ZN12_GLOBAL__N_127rocblas_gemm_batched_kernelIfLi16ELi16ELi32ELi32ELi8ELi32ELi8ELi8ELi32ELc84ELc78EKPK16rocblas_bfloat16KPKfKPfEEvlllT_PT11_llSC_llSA_PT12_llPT13_lli.uses_vcc, 1
	.set _ZN12_GLOBAL__N_127rocblas_gemm_batched_kernelIfLi16ELi16ELi32ELi32ELi8ELi32ELi8ELi8ELi32ELc84ELc78EKPK16rocblas_bfloat16KPKfKPfEEvlllT_PT11_llSC_llSA_PT12_llPT13_lli.uses_flat_scratch, 0
	.set _ZN12_GLOBAL__N_127rocblas_gemm_batched_kernelIfLi16ELi16ELi32ELi32ELi8ELi32ELi8ELi8ELi32ELc84ELc78EKPK16rocblas_bfloat16KPKfKPfEEvlllT_PT11_llSC_llSA_PT12_llPT13_lli.has_dyn_sized_stack, 0
	.set _ZN12_GLOBAL__N_127rocblas_gemm_batched_kernelIfLi16ELi16ELi32ELi32ELi8ELi32ELi8ELi8ELi32ELc84ELc78EKPK16rocblas_bfloat16KPKfKPfEEvlllT_PT11_llSC_llSA_PT12_llPT13_lli.has_recursion, 0
	.set _ZN12_GLOBAL__N_127rocblas_gemm_batched_kernelIfLi16ELi16ELi32ELi32ELi8ELi32ELi8ELi8ELi32ELc84ELc78EKPK16rocblas_bfloat16KPKfKPfEEvlllT_PT11_llSC_llSA_PT12_llPT13_lli.has_indirect_call, 0
	.section	.AMDGPU.csdata,"",@progbits
; Kernel info:
; codeLenInByte = 1448
; TotalNumSgprs: 38
; NumVgprs: 46
; ScratchSize: 0
; MemoryBound: 0
; FloatMode: 240
; IeeeMode: 1
; LDSByteSize: 2048 bytes/workgroup (compile time only)
; SGPRBlocks: 0
; VGPRBlocks: 5
; NumSGPRsForWavesPerEU: 38
; NumVGPRsForWavesPerEU: 46
; Occupancy: 16
; WaveLimiterHint : 1
; COMPUTE_PGM_RSRC2:SCRATCH_EN: 0
; COMPUTE_PGM_RSRC2:USER_SGPR: 6
; COMPUTE_PGM_RSRC2:TRAP_HANDLER: 0
; COMPUTE_PGM_RSRC2:TGID_X_EN: 1
; COMPUTE_PGM_RSRC2:TGID_Y_EN: 1
; COMPUTE_PGM_RSRC2:TGID_Z_EN: 1
; COMPUTE_PGM_RSRC2:TIDIG_COMP_CNT: 1
	.section	.text._ZN12_GLOBAL__N_127rocblas_gemm_batched_kernelIfLi16ELi16ELi32ELi32ELi8ELi32ELi8ELi8ELi32ELc78ELc84EKPK16rocblas_bfloat16KPKfKPfEEvlllT_PT11_llSC_llSA_PT12_llPT13_lli,"axG",@progbits,_ZN12_GLOBAL__N_127rocblas_gemm_batched_kernelIfLi16ELi16ELi32ELi32ELi8ELi32ELi8ELi8ELi32ELc78ELc84EKPK16rocblas_bfloat16KPKfKPfEEvlllT_PT11_llSC_llSA_PT12_llPT13_lli,comdat
	.globl	_ZN12_GLOBAL__N_127rocblas_gemm_batched_kernelIfLi16ELi16ELi32ELi32ELi8ELi32ELi8ELi8ELi32ELc78ELc84EKPK16rocblas_bfloat16KPKfKPfEEvlllT_PT11_llSC_llSA_PT12_llPT13_lli ; -- Begin function _ZN12_GLOBAL__N_127rocblas_gemm_batched_kernelIfLi16ELi16ELi32ELi32ELi8ELi32ELi8ELi8ELi32ELc78ELc84EKPK16rocblas_bfloat16KPKfKPfEEvlllT_PT11_llSC_llSA_PT12_llPT13_lli
	.p2align	8
	.type	_ZN12_GLOBAL__N_127rocblas_gemm_batched_kernelIfLi16ELi16ELi32ELi32ELi8ELi32ELi8ELi8ELi32ELc78ELc84EKPK16rocblas_bfloat16KPKfKPfEEvlllT_PT11_llSC_llSA_PT12_llPT13_lli,@function
_ZN12_GLOBAL__N_127rocblas_gemm_batched_kernelIfLi16ELi16ELi32ELi32ELi8ELi32ELi8ELi8ELi32ELc78ELc84EKPK16rocblas_bfloat16KPKfKPfEEvlllT_PT11_llSC_llSA_PT12_llPT13_lli: ; @_ZN12_GLOBAL__N_127rocblas_gemm_batched_kernelIfLi16ELi16ELi32ELi32ELi8ELi32ELi8ELi8ELi32ELc78ELc84EKPK16rocblas_bfloat16KPKfKPfEEvlllT_PT11_llSC_llSA_PT12_llPT13_lli
; %bb.0:
	s_clause 0x1
	s_load_dwordx8 s[12:19], s[4:5], 0x58
	s_load_dwordx2 s[28:29], s[4:5], 0x10
	s_mov_b32 s9, 0
	s_load_dwordx4 s[0:3], s[4:5], 0x78
	s_lshl_b64 s[34:35], s[8:9], 3
	s_mov_b32 s10, s7
	v_mov_b32_e32 v9, 0
	v_mov_b32_e32 v8, 0
	;; [unrolled: 1-line block ×4, first 2 shown]
	s_waitcnt lgkmcnt(0)
	s_add_u32 s8, s12, s34
	s_addc_u32 s9, s13, s35
	s_add_u32 s18, s18, s34
	s_addc_u32 s19, s19, s35
	s_load_dwordx2 s[12:13], s[8:9], 0x0
	s_load_dwordx2 s[18:19], s[18:19], 0x0
	v_cmp_lt_i64_e64 s8, s[28:29], 1
	s_ashr_i32 s7, s6, 31
	s_ashr_i32 s11, s10, 31
	s_lshl_b64 s[6:7], s[6:7], 5
	s_lshl_b64 s[30:31], s[10:11], 5
	s_and_b32 vcc_lo, exec_lo, s8
	s_cbranch_vccnz .LBB178_3
; %bb.1:
	s_clause 0x1
	s_load_dwordx8 s[20:27], s[4:5], 0x20
	s_load_dwordx4 s[8:11], s[4:5], 0x40
	v_lshl_add_u32 v4, v1, 4, v0
	v_mov_b32_e32 v3, 0
	v_and_b32_e32 v8, 7, v0
	v_lshlrev_b32_e32 v10, 2, v0
	v_lshl_add_u32 v11, v1, 5, 0x400
	v_lshrrev_b32_e32 v2, 3, v4
	v_lshrrev_b32_e32 v9, 5, v4
	v_and_b32_e32 v14, 31, v4
	v_lshlrev_b32_e32 v12, 2, v8
	v_lshlrev_b32_e32 v13, 2, v14
	v_lshl_or_b32 v15, v2, 5, v12
	v_lshl_or_b32 v12, v9, 7, v13
	s_waitcnt lgkmcnt(0)
	v_mad_u64_u32 v[6:7], null, s22, v9, s[6:7]
	v_mad_u64_u32 v[4:5], null, s8, v8, v[2:3]
	s_add_u32 s20, s20, s34
	s_addc_u32 s21, s21, s35
	s_add_u32 s26, s26, s34
	s_addc_u32 s27, s27, s35
	s_load_dwordx2 s[20:21], s[20:21], 0x0
	s_load_dwordx2 s[26:27], s[26:27], 0x0
	v_mov_b32_e32 v2, v5
	v_mov_b32_e32 v5, v7
	v_add_co_u32 v4, vcc_lo, v4, s30
	s_lshl_b64 s[10:11], s[10:11], 1
	v_mad_u64_u32 v[7:8], null, s9, v8, v[2:3]
	v_mad_u64_u32 v[8:9], null, s23, v9, v[5:6]
	v_add_nc_u32_e32 v13, 0x400, v15
	v_mov_b32_e32 v2, v3
	v_mov_b32_e32 v9, v3
	v_add_co_ci_u32_e64 v5, null, s31, v7, vcc_lo
	v_add_co_u32 v6, vcc_lo, v6, v14
	v_add_co_ci_u32_e64 v7, null, 0, v8, vcc_lo
	v_lshlrev_b64 v[4:5], 1, v[4:5]
	s_waitcnt lgkmcnt(0)
	s_add_u32 s26, s26, s10
	s_addc_u32 s27, s27, s11
	v_lshlrev_b64 v[6:7], 1, v[6:7]
	s_lshl_b64 s[10:11], s[24:25], 1
	s_lshl_b64 s[8:9], s[8:9], 4
	s_add_u32 s10, s20, s10
	v_add_co_u32 v4, vcc_lo, s26, v4
	s_addc_u32 s11, s21, s11
	v_add_co_ci_u32_e64 v5, null, s27, v5, vcc_lo
	v_add_co_u32 v6, vcc_lo, s10, v6
	v_add_co_ci_u32_e64 v7, null, s11, v7, vcc_lo
	v_mov_b32_e32 v8, v3
	s_lshl_b64 s[10:11], s[22:23], 4
	s_mov_b64 s[20:21], 0
.LBB178_2:                              ; =>This Inner Loop Header: Depth=1
	flat_load_ushort v14, v[6:7]
	flat_load_ushort v15, v[4:5]
	s_add_u32 s20, s20, 8
	s_addc_u32 s21, s21, 0
	v_add_co_u32 v4, vcc_lo, v4, s8
	v_cmp_lt_i64_e64 s22, s[20:21], s[28:29]
	v_add_co_ci_u32_e64 v5, null, s9, v5, vcc_lo
	v_add_co_u32 v6, vcc_lo, v6, s10
	v_add_co_ci_u32_e64 v7, null, s11, v7, vcc_lo
	s_and_b32 vcc_lo, exec_lo, s22
	s_waitcnt vmcnt(1) lgkmcnt(1)
	v_lshlrev_b32_e32 v14, 16, v14
	s_waitcnt vmcnt(0) lgkmcnt(0)
	v_lshlrev_b32_e32 v15, 16, v15
	ds_write_b32 v12, v14
	ds_write_b32 v13, v15
	s_waitcnt lgkmcnt(0)
	s_barrier
	buffer_gl0_inv
	ds_read_b128 v[14:17], v11
	ds_read2_b32 v[30:31], v10 offset1:16
	ds_read_b128 v[18:21], v11 offset:512
	ds_read2_b32 v[32:33], v10 offset0:32 offset1:48
	ds_read2_b32 v[34:35], v10 offset0:64 offset1:80
	ds_read_b128 v[22:25], v11 offset:16
	ds_read2_b32 v[36:37], v10 offset0:96 offset1:112
	ds_read2_b32 v[38:39], v10 offset0:128 offset1:144
	;; [unrolled: 3-line block ×3, first 2 shown]
	ds_read2_b32 v[44:45], v10 offset0:224 offset1:240
	s_waitcnt lgkmcnt(0)
	s_barrier
	buffer_gl0_inv
	v_fmac_f32_e32 v9, v30, v14
	v_fmac_f32_e32 v8, v31, v14
	;; [unrolled: 1-line block ×32, first 2 shown]
	s_cbranch_vccnz .LBB178_2
.LBB178_3:
	s_load_dword s8, s[4:5], 0x50
	s_lshl_b64 s[10:11], s[2:3], 2
	s_load_dword s2, s[4:5], 0x18
	v_add_co_u32 v4, s4, s30, v1
	v_add_co_ci_u32_e64 v7, null, s31, 0, s4
	v_add_co_u32 v0, s4, s6, v0
	v_add_co_ci_u32_e64 v1, null, s7, 0, s4
	v_mul_lo_u32 v5, v7, s0
	v_mul_lo_u32 v6, v4, s1
	s_waitcnt lgkmcnt(0)
	s_add_u32 s3, s18, s10
	v_lshlrev_b64 v[0:1], 2, v[0:1]
	s_addc_u32 s4, s19, s11
	v_cmp_neq_f32_e64 s5, s8, 0
	s_and_b32 vcc_lo, exec_lo, s5
	s_mov_b32 s5, 0
	s_cbranch_vccnz .LBB178_7
; %bb.4:
	v_mad_u64_u32 v[10:11], null, v4, s0, 0
	s_lshl_b64 s[6:7], s[0:1], 6
	v_mul_f32_e32 v14, s2, v9
	v_mul_f32_e32 v15, s2, v8
	;; [unrolled: 1-line block ×4, first 2 shown]
	v_add3_u32 v11, v11, v6, v5
	v_lshlrev_b64 v[10:11], 2, v[10:11]
	v_add_co_u32 v10, vcc_lo, s3, v10
	v_add_co_ci_u32_e64 v11, null, s4, v11, vcc_lo
	v_add_co_u32 v12, vcc_lo, v10, s6
	v_add_co_ci_u32_e64 v13, null, s7, v11, vcc_lo
	;; [unrolled: 2-line block ×4, first 2 shown]
	flat_store_dword v[10:11], v14
	flat_store_dword v[10:11], v15 offset:64
	flat_store_dword v[12:13], v16
	flat_store_dword v[12:13], v17 offset:64
	s_andn2_b32 vcc_lo, exec_lo, s5
	s_cbranch_vccnz .LBB178_6
.LBB178_5:
	v_mul_lo_u32 v7, v7, s14
	v_mul_lo_u32 v12, v4, s15
	v_mad_u64_u32 v[10:11], null, v4, s14, 0
	s_lshl_b64 s[6:7], s[16:17], 2
	s_add_u32 s5, s12, s6
	s_addc_u32 s6, s13, s7
	v_add3_u32 v11, v11, v12, v7
	v_mad_u64_u32 v[12:13], null, v4, s0, 0
	s_lshl_b64 s[0:1], s[0:1], 6
	v_lshlrev_b64 v[10:11], 2, v[10:11]
	v_add3_u32 v13, v13, v6, v5
	v_add_co_u32 v7, vcc_lo, s5, v10
	v_add_co_ci_u32_e64 v14, null, s6, v11, vcc_lo
	v_lshlrev_b64 v[4:5], 2, v[12:13]
	v_add_co_u32 v10, vcc_lo, v7, v0
	v_add_co_ci_u32_e64 v11, null, v14, v1, vcc_lo
	v_add_co_u32 v12, vcc_lo, s3, v4
	flat_load_dword v15, v[10:11]
	v_add_co_ci_u32_e64 v13, null, s4, v5, vcc_lo
	v_add_co_u32 v4, vcc_lo, v12, v0
	s_lshl_b64 s[4:5], s[14:15], 6
	v_add_co_ci_u32_e64 v5, null, v13, v1, vcc_lo
	s_waitcnt vmcnt(0) lgkmcnt(0)
	v_mul_f32_e32 v6, s8, v15
	v_fmac_f32_e32 v6, s2, v9
	flat_store_dword v[4:5], v6
	flat_load_dword v6, v[10:11] offset:64
	s_waitcnt vmcnt(0) lgkmcnt(0)
	v_mul_f32_e32 v9, s8, v6
	v_add_co_u32 v6, vcc_lo, v7, s4
	v_add_co_ci_u32_e64 v7, null, s5, v14, vcc_lo
	v_fmac_f32_e32 v9, s2, v8
	v_add_co_u32 v6, vcc_lo, v6, v0
	v_add_co_ci_u32_e64 v7, null, v7, v1, vcc_lo
	flat_store_dword v[4:5], v9 offset:64
	v_add_co_u32 v5, vcc_lo, v12, s0
	flat_load_dword v4, v[6:7]
	v_add_co_ci_u32_e64 v8, null, s1, v13, vcc_lo
	v_add_co_u32 v0, vcc_lo, v5, v0
	v_add_co_ci_u32_e64 v1, null, v8, v1, vcc_lo
	s_waitcnt vmcnt(0) lgkmcnt(0)
	v_mul_f32_e32 v4, s8, v4
	v_fmac_f32_e32 v4, s2, v2
	flat_store_dword v[0:1], v4
	flat_load_dword v2, v[6:7] offset:64
	s_waitcnt vmcnt(0) lgkmcnt(0)
	v_mul_f32_e32 v2, s8, v2
	v_fmac_f32_e32 v2, s2, v3
	flat_store_dword v[0:1], v2 offset:64
.LBB178_6:
	s_endpgm
.LBB178_7:
	s_branch .LBB178_5
	.section	.rodata,"a",@progbits
	.p2align	6, 0x0
	.amdhsa_kernel _ZN12_GLOBAL__N_127rocblas_gemm_batched_kernelIfLi16ELi16ELi32ELi32ELi8ELi32ELi8ELi8ELi32ELc78ELc84EKPK16rocblas_bfloat16KPKfKPfEEvlllT_PT11_llSC_llSA_PT12_llPT13_lli
		.amdhsa_group_segment_fixed_size 2048
		.amdhsa_private_segment_fixed_size 0
		.amdhsa_kernarg_size 140
		.amdhsa_user_sgpr_count 6
		.amdhsa_user_sgpr_private_segment_buffer 1
		.amdhsa_user_sgpr_dispatch_ptr 0
		.amdhsa_user_sgpr_queue_ptr 0
		.amdhsa_user_sgpr_kernarg_segment_ptr 1
		.amdhsa_user_sgpr_dispatch_id 0
		.amdhsa_user_sgpr_flat_scratch_init 0
		.amdhsa_user_sgpr_private_segment_size 0
		.amdhsa_wavefront_size32 1
		.amdhsa_uses_dynamic_stack 0
		.amdhsa_system_sgpr_private_segment_wavefront_offset 0
		.amdhsa_system_sgpr_workgroup_id_x 1
		.amdhsa_system_sgpr_workgroup_id_y 1
		.amdhsa_system_sgpr_workgroup_id_z 1
		.amdhsa_system_sgpr_workgroup_info 0
		.amdhsa_system_vgpr_workitem_id 1
		.amdhsa_next_free_vgpr 46
		.amdhsa_next_free_sgpr 36
		.amdhsa_reserve_vcc 1
		.amdhsa_reserve_flat_scratch 0
		.amdhsa_float_round_mode_32 0
		.amdhsa_float_round_mode_16_64 0
		.amdhsa_float_denorm_mode_32 3
		.amdhsa_float_denorm_mode_16_64 3
		.amdhsa_dx10_clamp 1
		.amdhsa_ieee_mode 1
		.amdhsa_fp16_overflow 0
		.amdhsa_workgroup_processor_mode 1
		.amdhsa_memory_ordered 1
		.amdhsa_forward_progress 1
		.amdhsa_shared_vgpr_count 0
		.amdhsa_exception_fp_ieee_invalid_op 0
		.amdhsa_exception_fp_denorm_src 0
		.amdhsa_exception_fp_ieee_div_zero 0
		.amdhsa_exception_fp_ieee_overflow 0
		.amdhsa_exception_fp_ieee_underflow 0
		.amdhsa_exception_fp_ieee_inexact 0
		.amdhsa_exception_int_div_zero 0
	.end_amdhsa_kernel
	.section	.text._ZN12_GLOBAL__N_127rocblas_gemm_batched_kernelIfLi16ELi16ELi32ELi32ELi8ELi32ELi8ELi8ELi32ELc78ELc84EKPK16rocblas_bfloat16KPKfKPfEEvlllT_PT11_llSC_llSA_PT12_llPT13_lli,"axG",@progbits,_ZN12_GLOBAL__N_127rocblas_gemm_batched_kernelIfLi16ELi16ELi32ELi32ELi8ELi32ELi8ELi8ELi32ELc78ELc84EKPK16rocblas_bfloat16KPKfKPfEEvlllT_PT11_llSC_llSA_PT12_llPT13_lli,comdat
.Lfunc_end178:
	.size	_ZN12_GLOBAL__N_127rocblas_gemm_batched_kernelIfLi16ELi16ELi32ELi32ELi8ELi32ELi8ELi8ELi32ELc78ELc84EKPK16rocblas_bfloat16KPKfKPfEEvlllT_PT11_llSC_llSA_PT12_llPT13_lli, .Lfunc_end178-_ZN12_GLOBAL__N_127rocblas_gemm_batched_kernelIfLi16ELi16ELi32ELi32ELi8ELi32ELi8ELi8ELi32ELc78ELc84EKPK16rocblas_bfloat16KPKfKPfEEvlllT_PT11_llSC_llSA_PT12_llPT13_lli
                                        ; -- End function
	.set _ZN12_GLOBAL__N_127rocblas_gemm_batched_kernelIfLi16ELi16ELi32ELi32ELi8ELi32ELi8ELi8ELi32ELc78ELc84EKPK16rocblas_bfloat16KPKfKPfEEvlllT_PT11_llSC_llSA_PT12_llPT13_lli.num_vgpr, 46
	.set _ZN12_GLOBAL__N_127rocblas_gemm_batched_kernelIfLi16ELi16ELi32ELi32ELi8ELi32ELi8ELi8ELi32ELc78ELc84EKPK16rocblas_bfloat16KPKfKPfEEvlllT_PT11_llSC_llSA_PT12_llPT13_lli.num_agpr, 0
	.set _ZN12_GLOBAL__N_127rocblas_gemm_batched_kernelIfLi16ELi16ELi32ELi32ELi8ELi32ELi8ELi8ELi32ELc78ELc84EKPK16rocblas_bfloat16KPKfKPfEEvlllT_PT11_llSC_llSA_PT12_llPT13_lli.numbered_sgpr, 36
	.set _ZN12_GLOBAL__N_127rocblas_gemm_batched_kernelIfLi16ELi16ELi32ELi32ELi8ELi32ELi8ELi8ELi32ELc78ELc84EKPK16rocblas_bfloat16KPKfKPfEEvlllT_PT11_llSC_llSA_PT12_llPT13_lli.num_named_barrier, 0
	.set _ZN12_GLOBAL__N_127rocblas_gemm_batched_kernelIfLi16ELi16ELi32ELi32ELi8ELi32ELi8ELi8ELi32ELc78ELc84EKPK16rocblas_bfloat16KPKfKPfEEvlllT_PT11_llSC_llSA_PT12_llPT13_lli.private_seg_size, 0
	.set _ZN12_GLOBAL__N_127rocblas_gemm_batched_kernelIfLi16ELi16ELi32ELi32ELi8ELi32ELi8ELi8ELi32ELc78ELc84EKPK16rocblas_bfloat16KPKfKPfEEvlllT_PT11_llSC_llSA_PT12_llPT13_lli.uses_vcc, 1
	.set _ZN12_GLOBAL__N_127rocblas_gemm_batched_kernelIfLi16ELi16ELi32ELi32ELi8ELi32ELi8ELi8ELi32ELc78ELc84EKPK16rocblas_bfloat16KPKfKPfEEvlllT_PT11_llSC_llSA_PT12_llPT13_lli.uses_flat_scratch, 0
	.set _ZN12_GLOBAL__N_127rocblas_gemm_batched_kernelIfLi16ELi16ELi32ELi32ELi8ELi32ELi8ELi8ELi32ELc78ELc84EKPK16rocblas_bfloat16KPKfKPfEEvlllT_PT11_llSC_llSA_PT12_llPT13_lli.has_dyn_sized_stack, 0
	.set _ZN12_GLOBAL__N_127rocblas_gemm_batched_kernelIfLi16ELi16ELi32ELi32ELi8ELi32ELi8ELi8ELi32ELc78ELc84EKPK16rocblas_bfloat16KPKfKPfEEvlllT_PT11_llSC_llSA_PT12_llPT13_lli.has_recursion, 0
	.set _ZN12_GLOBAL__N_127rocblas_gemm_batched_kernelIfLi16ELi16ELi32ELi32ELi8ELi32ELi8ELi8ELi32ELc78ELc84EKPK16rocblas_bfloat16KPKfKPfEEvlllT_PT11_llSC_llSA_PT12_llPT13_lli.has_indirect_call, 0
	.section	.AMDGPU.csdata,"",@progbits
; Kernel info:
; codeLenInByte = 1376
; TotalNumSgprs: 38
; NumVgprs: 46
; ScratchSize: 0
; MemoryBound: 0
; FloatMode: 240
; IeeeMode: 1
; LDSByteSize: 2048 bytes/workgroup (compile time only)
; SGPRBlocks: 0
; VGPRBlocks: 5
; NumSGPRsForWavesPerEU: 38
; NumVGPRsForWavesPerEU: 46
; Occupancy: 16
; WaveLimiterHint : 1
; COMPUTE_PGM_RSRC2:SCRATCH_EN: 0
; COMPUTE_PGM_RSRC2:USER_SGPR: 6
; COMPUTE_PGM_RSRC2:TRAP_HANDLER: 0
; COMPUTE_PGM_RSRC2:TGID_X_EN: 1
; COMPUTE_PGM_RSRC2:TGID_Y_EN: 1
; COMPUTE_PGM_RSRC2:TGID_Z_EN: 1
; COMPUTE_PGM_RSRC2:TIDIG_COMP_CNT: 1
	.section	.text._ZN12_GLOBAL__N_127rocblas_gemm_batched_kernelIfLi16ELi16ELi32ELi32ELi8ELi32ELi8ELi8ELi32ELc84ELc84EKPK16rocblas_bfloat16KPKfKPfEEvlllT_PT11_llSC_llSA_PT12_llPT13_lli,"axG",@progbits,_ZN12_GLOBAL__N_127rocblas_gemm_batched_kernelIfLi16ELi16ELi32ELi32ELi8ELi32ELi8ELi8ELi32ELc84ELc84EKPK16rocblas_bfloat16KPKfKPfEEvlllT_PT11_llSC_llSA_PT12_llPT13_lli,comdat
	.globl	_ZN12_GLOBAL__N_127rocblas_gemm_batched_kernelIfLi16ELi16ELi32ELi32ELi8ELi32ELi8ELi8ELi32ELc84ELc84EKPK16rocblas_bfloat16KPKfKPfEEvlllT_PT11_llSC_llSA_PT12_llPT13_lli ; -- Begin function _ZN12_GLOBAL__N_127rocblas_gemm_batched_kernelIfLi16ELi16ELi32ELi32ELi8ELi32ELi8ELi8ELi32ELc84ELc84EKPK16rocblas_bfloat16KPKfKPfEEvlllT_PT11_llSC_llSA_PT12_llPT13_lli
	.p2align	8
	.type	_ZN12_GLOBAL__N_127rocblas_gemm_batched_kernelIfLi16ELi16ELi32ELi32ELi8ELi32ELi8ELi8ELi32ELc84ELc84EKPK16rocblas_bfloat16KPKfKPfEEvlllT_PT11_llSC_llSA_PT12_llPT13_lli,@function
_ZN12_GLOBAL__N_127rocblas_gemm_batched_kernelIfLi16ELi16ELi32ELi32ELi8ELi32ELi8ELi8ELi32ELc84ELc84EKPK16rocblas_bfloat16KPKfKPfEEvlllT_PT11_llSC_llSA_PT12_llPT13_lli: ; @_ZN12_GLOBAL__N_127rocblas_gemm_batched_kernelIfLi16ELi16ELi32ELi32ELi8ELi32ELi8ELi8ELi32ELc84ELc84EKPK16rocblas_bfloat16KPKfKPfEEvlllT_PT11_llSC_llSA_PT12_llPT13_lli
; %bb.0:
	s_clause 0x1
	s_load_dwordx8 s[12:19], s[4:5], 0x58
	s_load_dwordx2 s[28:29], s[4:5], 0x10
	s_mov_b32 s9, 0
	s_load_dwordx4 s[0:3], s[4:5], 0x78
	s_lshl_b64 s[34:35], s[8:9], 3
	s_mov_b32 s10, s7
	v_mov_b32_e32 v9, 0
	v_mov_b32_e32 v8, 0
	;; [unrolled: 1-line block ×4, first 2 shown]
	s_waitcnt lgkmcnt(0)
	s_add_u32 s8, s12, s34
	s_addc_u32 s9, s13, s35
	s_add_u32 s18, s18, s34
	s_addc_u32 s19, s19, s35
	s_load_dwordx2 s[12:13], s[8:9], 0x0
	s_load_dwordx2 s[18:19], s[18:19], 0x0
	v_cmp_lt_i64_e64 s8, s[28:29], 1
	s_ashr_i32 s7, s6, 31
	s_ashr_i32 s11, s10, 31
	s_lshl_b64 s[6:7], s[6:7], 5
	s_lshl_b64 s[30:31], s[10:11], 5
	s_and_b32 vcc_lo, exec_lo, s8
	s_cbranch_vccnz .LBB179_3
; %bb.1:
	s_clause 0x1
	s_load_dwordx8 s[20:27], s[4:5], 0x20
	s_load_dwordx4 s[8:11], s[4:5], 0x40
	v_lshl_add_u32 v8, v1, 4, v0
	v_and_b32_e32 v9, 7, v0
	v_mov_b32_e32 v3, 0
	v_lshlrev_b32_e32 v10, 2, v0
	v_and_b32_e32 v11, 31, v8
	v_lshrrev_b32_e32 v2, 3, v8
	v_lshlrev_b32_e32 v12, 2, v9
	v_lshrrev_b32_e32 v8, 5, v8
	v_add_co_u32 v6, s33, s6, v11
	v_add_co_ci_u32_e64 v7, null, s7, 0, s33
	v_lshlrev_b32_e32 v15, 2, v11
	v_lshl_or_b32 v16, v2, 5, v12
	v_lshlrev_b32_e32 v17, 1, v8
	v_lshl_add_u32 v11, v1, 5, 0x400
	s_waitcnt lgkmcnt(0)
	s_add_u32 s20, s20, s34
	s_addc_u32 s21, s21, s35
	s_add_u32 s26, s26, s34
	s_addc_u32 s27, s27, s35
	v_mad_u64_u32 v[4:5], null, s8, v9, v[2:3]
	s_load_dwordx2 s[26:27], s[26:27], 0x0
	v_mul_lo_u32 v13, s23, v6
	v_mul_lo_u32 v14, s22, v7
	v_mad_u64_u32 v[6:7], null, s22, v6, 0
	v_lshl_or_b32 v12, v8, 7, v15
	v_mov_b32_e32 v2, v5
	s_load_dwordx2 s[20:21], s[20:21], 0x0
	s_lshl_b64 s[10:11], s[10:11], 1
	v_add3_u32 v7, v7, v14, v13
	v_mad_u64_u32 v[8:9], null, s9, v9, v[2:3]
	v_add_nc_u32_e32 v13, 0x400, v16
	v_mov_b32_e32 v9, v3
	v_lshlrev_b64 v[5:6], 1, v[6:7]
	v_add_co_u32 v7, vcc_lo, v4, s30
	v_add_co_ci_u32_e64 v8, null, s31, v8, vcc_lo
	s_waitcnt lgkmcnt(0)
	s_add_u32 s22, s26, s10
	s_addc_u32 s23, s27, s11
	s_lshl_b64 s[10:11], s[24:25], 1
	s_lshl_b64 s[8:9], s[8:9], 4
	v_add_co_u32 v2, vcc_lo, v5, s10
	v_add_co_ci_u32_e64 v6, null, s11, v6, vcc_lo
	v_lshlrev_b64 v[4:5], 1, v[7:8]
	v_add_co_u32 v2, vcc_lo, v2, v17
	v_add_co_ci_u32_e64 v7, null, 0, v6, vcc_lo
	v_mov_b32_e32 v8, v3
	v_add_co_u32 v4, vcc_lo, s22, v4
	v_add_co_ci_u32_e64 v5, null, s23, v5, vcc_lo
	v_add_co_u32 v6, vcc_lo, s20, v2
	v_add_co_ci_u32_e64 v7, null, s21, v7, vcc_lo
	v_mov_b32_e32 v2, v3
	s_mov_b64 s[10:11], 0
.LBB179_2:                              ; =>This Inner Loop Header: Depth=1
	flat_load_ushort v14, v[6:7]
	flat_load_ushort v15, v[4:5]
	s_add_u32 s10, s10, 8
	s_addc_u32 s11, s11, 0
	v_add_co_u32 v4, vcc_lo, v4, s8
	v_cmp_lt_i64_e64 s20, s[10:11], s[28:29]
	v_add_co_ci_u32_e64 v5, null, s9, v5, vcc_lo
	v_add_co_u32 v6, vcc_lo, v6, 16
	v_add_co_ci_u32_e64 v7, null, 0, v7, vcc_lo
	s_and_b32 vcc_lo, exec_lo, s20
	s_waitcnt vmcnt(1) lgkmcnt(1)
	v_lshlrev_b32_e32 v14, 16, v14
	s_waitcnt vmcnt(0) lgkmcnt(0)
	v_lshlrev_b32_e32 v15, 16, v15
	ds_write_b32 v12, v14
	ds_write_b32 v13, v15
	s_waitcnt lgkmcnt(0)
	s_barrier
	buffer_gl0_inv
	ds_read_b128 v[14:17], v11
	ds_read2_b32 v[30:31], v10 offset1:16
	ds_read_b128 v[18:21], v11 offset:512
	ds_read2_b32 v[32:33], v10 offset0:32 offset1:48
	ds_read2_b32 v[34:35], v10 offset0:64 offset1:80
	ds_read_b128 v[22:25], v11 offset:16
	ds_read2_b32 v[36:37], v10 offset0:96 offset1:112
	ds_read2_b32 v[38:39], v10 offset0:128 offset1:144
	;; [unrolled: 3-line block ×3, first 2 shown]
	ds_read2_b32 v[44:45], v10 offset0:224 offset1:240
	s_waitcnt lgkmcnt(0)
	s_barrier
	buffer_gl0_inv
	v_fmac_f32_e32 v9, v30, v14
	v_fmac_f32_e32 v8, v31, v14
	;; [unrolled: 1-line block ×32, first 2 shown]
	s_cbranch_vccnz .LBB179_2
.LBB179_3:
	s_load_dword s8, s[4:5], 0x50
	s_lshl_b64 s[10:11], s[2:3], 2
	s_load_dword s2, s[4:5], 0x18
	v_add_co_u32 v4, s4, s30, v1
	v_add_co_ci_u32_e64 v7, null, s31, 0, s4
	v_add_co_u32 v0, s4, s6, v0
	v_add_co_ci_u32_e64 v1, null, s7, 0, s4
	v_mul_lo_u32 v5, v7, s0
	v_mul_lo_u32 v6, v4, s1
	s_waitcnt lgkmcnt(0)
	s_add_u32 s3, s18, s10
	v_lshlrev_b64 v[0:1], 2, v[0:1]
	s_addc_u32 s4, s19, s11
	v_cmp_neq_f32_e64 s5, s8, 0
	s_and_b32 vcc_lo, exec_lo, s5
	s_mov_b32 s5, 0
	s_cbranch_vccnz .LBB179_7
; %bb.4:
	v_mad_u64_u32 v[10:11], null, v4, s0, 0
	s_lshl_b64 s[6:7], s[0:1], 6
	v_mul_f32_e32 v14, s2, v9
	v_mul_f32_e32 v15, s2, v8
	;; [unrolled: 1-line block ×4, first 2 shown]
	v_add3_u32 v11, v11, v6, v5
	v_lshlrev_b64 v[10:11], 2, v[10:11]
	v_add_co_u32 v10, vcc_lo, s3, v10
	v_add_co_ci_u32_e64 v11, null, s4, v11, vcc_lo
	v_add_co_u32 v12, vcc_lo, v10, s6
	v_add_co_ci_u32_e64 v13, null, s7, v11, vcc_lo
	;; [unrolled: 2-line block ×4, first 2 shown]
	flat_store_dword v[10:11], v14
	flat_store_dword v[10:11], v15 offset:64
	flat_store_dword v[12:13], v16
	flat_store_dword v[12:13], v17 offset:64
	s_andn2_b32 vcc_lo, exec_lo, s5
	s_cbranch_vccnz .LBB179_6
.LBB179_5:
	v_mul_lo_u32 v7, v7, s14
	v_mul_lo_u32 v12, v4, s15
	v_mad_u64_u32 v[10:11], null, v4, s14, 0
	s_lshl_b64 s[6:7], s[16:17], 2
	s_add_u32 s5, s12, s6
	s_addc_u32 s6, s13, s7
	v_add3_u32 v11, v11, v12, v7
	v_mad_u64_u32 v[12:13], null, v4, s0, 0
	s_lshl_b64 s[0:1], s[0:1], 6
	v_lshlrev_b64 v[10:11], 2, v[10:11]
	v_add3_u32 v13, v13, v6, v5
	v_add_co_u32 v7, vcc_lo, s5, v10
	v_add_co_ci_u32_e64 v14, null, s6, v11, vcc_lo
	v_lshlrev_b64 v[4:5], 2, v[12:13]
	v_add_co_u32 v10, vcc_lo, v7, v0
	v_add_co_ci_u32_e64 v11, null, v14, v1, vcc_lo
	v_add_co_u32 v12, vcc_lo, s3, v4
	flat_load_dword v15, v[10:11]
	v_add_co_ci_u32_e64 v13, null, s4, v5, vcc_lo
	v_add_co_u32 v4, vcc_lo, v12, v0
	s_lshl_b64 s[4:5], s[14:15], 6
	v_add_co_ci_u32_e64 v5, null, v13, v1, vcc_lo
	s_waitcnt vmcnt(0) lgkmcnt(0)
	v_mul_f32_e32 v6, s8, v15
	v_fmac_f32_e32 v6, s2, v9
	flat_store_dword v[4:5], v6
	flat_load_dword v6, v[10:11] offset:64
	s_waitcnt vmcnt(0) lgkmcnt(0)
	v_mul_f32_e32 v9, s8, v6
	v_add_co_u32 v6, vcc_lo, v7, s4
	v_add_co_ci_u32_e64 v7, null, s5, v14, vcc_lo
	v_fmac_f32_e32 v9, s2, v8
	v_add_co_u32 v6, vcc_lo, v6, v0
	v_add_co_ci_u32_e64 v7, null, v7, v1, vcc_lo
	flat_store_dword v[4:5], v9 offset:64
	v_add_co_u32 v5, vcc_lo, v12, s0
	flat_load_dword v4, v[6:7]
	v_add_co_ci_u32_e64 v8, null, s1, v13, vcc_lo
	v_add_co_u32 v0, vcc_lo, v5, v0
	v_add_co_ci_u32_e64 v1, null, v8, v1, vcc_lo
	s_waitcnt vmcnt(0) lgkmcnt(0)
	v_mul_f32_e32 v4, s8, v4
	v_fmac_f32_e32 v4, s2, v2
	flat_store_dword v[0:1], v4
	flat_load_dword v2, v[6:7] offset:64
	s_waitcnt vmcnt(0) lgkmcnt(0)
	v_mul_f32_e32 v2, s8, v2
	v_fmac_f32_e32 v2, s2, v3
	flat_store_dword v[0:1], v2 offset:64
.LBB179_6:
	s_endpgm
.LBB179_7:
	s_branch .LBB179_5
	.section	.rodata,"a",@progbits
	.p2align	6, 0x0
	.amdhsa_kernel _ZN12_GLOBAL__N_127rocblas_gemm_batched_kernelIfLi16ELi16ELi32ELi32ELi8ELi32ELi8ELi8ELi32ELc84ELc84EKPK16rocblas_bfloat16KPKfKPfEEvlllT_PT11_llSC_llSA_PT12_llPT13_lli
		.amdhsa_group_segment_fixed_size 2048
		.amdhsa_private_segment_fixed_size 0
		.amdhsa_kernarg_size 140
		.amdhsa_user_sgpr_count 6
		.amdhsa_user_sgpr_private_segment_buffer 1
		.amdhsa_user_sgpr_dispatch_ptr 0
		.amdhsa_user_sgpr_queue_ptr 0
		.amdhsa_user_sgpr_kernarg_segment_ptr 1
		.amdhsa_user_sgpr_dispatch_id 0
		.amdhsa_user_sgpr_flat_scratch_init 0
		.amdhsa_user_sgpr_private_segment_size 0
		.amdhsa_wavefront_size32 1
		.amdhsa_uses_dynamic_stack 0
		.amdhsa_system_sgpr_private_segment_wavefront_offset 0
		.amdhsa_system_sgpr_workgroup_id_x 1
		.amdhsa_system_sgpr_workgroup_id_y 1
		.amdhsa_system_sgpr_workgroup_id_z 1
		.amdhsa_system_sgpr_workgroup_info 0
		.amdhsa_system_vgpr_workitem_id 1
		.amdhsa_next_free_vgpr 46
		.amdhsa_next_free_sgpr 36
		.amdhsa_reserve_vcc 1
		.amdhsa_reserve_flat_scratch 0
		.amdhsa_float_round_mode_32 0
		.amdhsa_float_round_mode_16_64 0
		.amdhsa_float_denorm_mode_32 3
		.amdhsa_float_denorm_mode_16_64 3
		.amdhsa_dx10_clamp 1
		.amdhsa_ieee_mode 1
		.amdhsa_fp16_overflow 0
		.amdhsa_workgroup_processor_mode 1
		.amdhsa_memory_ordered 1
		.amdhsa_forward_progress 1
		.amdhsa_shared_vgpr_count 0
		.amdhsa_exception_fp_ieee_invalid_op 0
		.amdhsa_exception_fp_denorm_src 0
		.amdhsa_exception_fp_ieee_div_zero 0
		.amdhsa_exception_fp_ieee_overflow 0
		.amdhsa_exception_fp_ieee_underflow 0
		.amdhsa_exception_fp_ieee_inexact 0
		.amdhsa_exception_int_div_zero 0
	.end_amdhsa_kernel
	.section	.text._ZN12_GLOBAL__N_127rocblas_gemm_batched_kernelIfLi16ELi16ELi32ELi32ELi8ELi32ELi8ELi8ELi32ELc84ELc84EKPK16rocblas_bfloat16KPKfKPfEEvlllT_PT11_llSC_llSA_PT12_llPT13_lli,"axG",@progbits,_ZN12_GLOBAL__N_127rocblas_gemm_batched_kernelIfLi16ELi16ELi32ELi32ELi8ELi32ELi8ELi8ELi32ELc84ELc84EKPK16rocblas_bfloat16KPKfKPfEEvlllT_PT11_llSC_llSA_PT12_llPT13_lli,comdat
.Lfunc_end179:
	.size	_ZN12_GLOBAL__N_127rocblas_gemm_batched_kernelIfLi16ELi16ELi32ELi32ELi8ELi32ELi8ELi8ELi32ELc84ELc84EKPK16rocblas_bfloat16KPKfKPfEEvlllT_PT11_llSC_llSA_PT12_llPT13_lli, .Lfunc_end179-_ZN12_GLOBAL__N_127rocblas_gemm_batched_kernelIfLi16ELi16ELi32ELi32ELi8ELi32ELi8ELi8ELi32ELc84ELc84EKPK16rocblas_bfloat16KPKfKPfEEvlllT_PT11_llSC_llSA_PT12_llPT13_lli
                                        ; -- End function
	.set _ZN12_GLOBAL__N_127rocblas_gemm_batched_kernelIfLi16ELi16ELi32ELi32ELi8ELi32ELi8ELi8ELi32ELc84ELc84EKPK16rocblas_bfloat16KPKfKPfEEvlllT_PT11_llSC_llSA_PT12_llPT13_lli.num_vgpr, 46
	.set _ZN12_GLOBAL__N_127rocblas_gemm_batched_kernelIfLi16ELi16ELi32ELi32ELi8ELi32ELi8ELi8ELi32ELc84ELc84EKPK16rocblas_bfloat16KPKfKPfEEvlllT_PT11_llSC_llSA_PT12_llPT13_lli.num_agpr, 0
	.set _ZN12_GLOBAL__N_127rocblas_gemm_batched_kernelIfLi16ELi16ELi32ELi32ELi8ELi32ELi8ELi8ELi32ELc84ELc84EKPK16rocblas_bfloat16KPKfKPfEEvlllT_PT11_llSC_llSA_PT12_llPT13_lli.numbered_sgpr, 36
	.set _ZN12_GLOBAL__N_127rocblas_gemm_batched_kernelIfLi16ELi16ELi32ELi32ELi8ELi32ELi8ELi8ELi32ELc84ELc84EKPK16rocblas_bfloat16KPKfKPfEEvlllT_PT11_llSC_llSA_PT12_llPT13_lli.num_named_barrier, 0
	.set _ZN12_GLOBAL__N_127rocblas_gemm_batched_kernelIfLi16ELi16ELi32ELi32ELi8ELi32ELi8ELi8ELi32ELc84ELc84EKPK16rocblas_bfloat16KPKfKPfEEvlllT_PT11_llSC_llSA_PT12_llPT13_lli.private_seg_size, 0
	.set _ZN12_GLOBAL__N_127rocblas_gemm_batched_kernelIfLi16ELi16ELi32ELi32ELi8ELi32ELi8ELi8ELi32ELc84ELc84EKPK16rocblas_bfloat16KPKfKPfEEvlllT_PT11_llSC_llSA_PT12_llPT13_lli.uses_vcc, 1
	.set _ZN12_GLOBAL__N_127rocblas_gemm_batched_kernelIfLi16ELi16ELi32ELi32ELi8ELi32ELi8ELi8ELi32ELc84ELc84EKPK16rocblas_bfloat16KPKfKPfEEvlllT_PT11_llSC_llSA_PT12_llPT13_lli.uses_flat_scratch, 0
	.set _ZN12_GLOBAL__N_127rocblas_gemm_batched_kernelIfLi16ELi16ELi32ELi32ELi8ELi32ELi8ELi8ELi32ELc84ELc84EKPK16rocblas_bfloat16KPKfKPfEEvlllT_PT11_llSC_llSA_PT12_llPT13_lli.has_dyn_sized_stack, 0
	.set _ZN12_GLOBAL__N_127rocblas_gemm_batched_kernelIfLi16ELi16ELi32ELi32ELi8ELi32ELi8ELi8ELi32ELc84ELc84EKPK16rocblas_bfloat16KPKfKPfEEvlllT_PT11_llSC_llSA_PT12_llPT13_lli.has_recursion, 0
	.set _ZN12_GLOBAL__N_127rocblas_gemm_batched_kernelIfLi16ELi16ELi32ELi32ELi8ELi32ELi8ELi8ELi32ELc84ELc84EKPK16rocblas_bfloat16KPKfKPfEEvlllT_PT11_llSC_llSA_PT12_llPT13_lli.has_indirect_call, 0
	.section	.AMDGPU.csdata,"",@progbits
; Kernel info:
; codeLenInByte = 1412
; TotalNumSgprs: 38
; NumVgprs: 46
; ScratchSize: 0
; MemoryBound: 0
; FloatMode: 240
; IeeeMode: 1
; LDSByteSize: 2048 bytes/workgroup (compile time only)
; SGPRBlocks: 0
; VGPRBlocks: 5
; NumSGPRsForWavesPerEU: 38
; NumVGPRsForWavesPerEU: 46
; Occupancy: 16
; WaveLimiterHint : 1
; COMPUTE_PGM_RSRC2:SCRATCH_EN: 0
; COMPUTE_PGM_RSRC2:USER_SGPR: 6
; COMPUTE_PGM_RSRC2:TRAP_HANDLER: 0
; COMPUTE_PGM_RSRC2:TGID_X_EN: 1
; COMPUTE_PGM_RSRC2:TGID_Y_EN: 1
; COMPUTE_PGM_RSRC2:TGID_Z_EN: 1
; COMPUTE_PGM_RSRC2:TIDIG_COMP_CNT: 1
	.section	.text._ZN12_GLOBAL__N_127rocblas_gemm_batched_kernelIfLi16ELi16ELi32ELi32ELi8ELi32ELi8ELi8ELi32ELc67ELc67EKPK16rocblas_bfloat16KPKfKPfEEvlllT_PT11_llSC_llSA_PT12_llPT13_lli,"axG",@progbits,_ZN12_GLOBAL__N_127rocblas_gemm_batched_kernelIfLi16ELi16ELi32ELi32ELi8ELi32ELi8ELi8ELi32ELc67ELc67EKPK16rocblas_bfloat16KPKfKPfEEvlllT_PT11_llSC_llSA_PT12_llPT13_lli,comdat
	.globl	_ZN12_GLOBAL__N_127rocblas_gemm_batched_kernelIfLi16ELi16ELi32ELi32ELi8ELi32ELi8ELi8ELi32ELc67ELc67EKPK16rocblas_bfloat16KPKfKPfEEvlllT_PT11_llSC_llSA_PT12_llPT13_lli ; -- Begin function _ZN12_GLOBAL__N_127rocblas_gemm_batched_kernelIfLi16ELi16ELi32ELi32ELi8ELi32ELi8ELi8ELi32ELc67ELc67EKPK16rocblas_bfloat16KPKfKPfEEvlllT_PT11_llSC_llSA_PT12_llPT13_lli
	.p2align	8
	.type	_ZN12_GLOBAL__N_127rocblas_gemm_batched_kernelIfLi16ELi16ELi32ELi32ELi8ELi32ELi8ELi8ELi32ELc67ELc67EKPK16rocblas_bfloat16KPKfKPfEEvlllT_PT11_llSC_llSA_PT12_llPT13_lli,@function
_ZN12_GLOBAL__N_127rocblas_gemm_batched_kernelIfLi16ELi16ELi32ELi32ELi8ELi32ELi8ELi8ELi32ELc67ELc67EKPK16rocblas_bfloat16KPKfKPfEEvlllT_PT11_llSC_llSA_PT12_llPT13_lli: ; @_ZN12_GLOBAL__N_127rocblas_gemm_batched_kernelIfLi16ELi16ELi32ELi32ELi8ELi32ELi8ELi8ELi32ELc67ELc67EKPK16rocblas_bfloat16KPKfKPfEEvlllT_PT11_llSC_llSA_PT12_llPT13_lli
; %bb.0:
	s_clause 0x1
	s_load_dwordx8 s[12:19], s[4:5], 0x58
	s_load_dwordx2 s[28:29], s[4:5], 0x10
	s_mov_b32 s9, 0
	s_load_dwordx4 s[0:3], s[4:5], 0x78
	s_lshl_b64 s[34:35], s[8:9], 3
	s_mov_b32 s10, s7
	v_mov_b32_e32 v9, 0
	v_mov_b32_e32 v8, 0
	;; [unrolled: 1-line block ×4, first 2 shown]
	s_waitcnt lgkmcnt(0)
	s_add_u32 s8, s12, s34
	s_addc_u32 s9, s13, s35
	s_add_u32 s18, s18, s34
	s_addc_u32 s19, s19, s35
	s_load_dwordx2 s[12:13], s[8:9], 0x0
	s_load_dwordx2 s[18:19], s[18:19], 0x0
	v_cmp_lt_i64_e64 s8, s[28:29], 1
	s_ashr_i32 s7, s6, 31
	s_ashr_i32 s11, s10, 31
	s_lshl_b64 s[6:7], s[6:7], 5
	s_lshl_b64 s[30:31], s[10:11], 5
	s_and_b32 vcc_lo, exec_lo, s8
	s_cbranch_vccnz .LBB180_3
; %bb.1:
	s_clause 0x1
	s_load_dwordx8 s[20:27], s[4:5], 0x20
	s_load_dwordx4 s[8:11], s[4:5], 0x40
	v_lshl_add_u32 v8, v1, 4, v0
	v_and_b32_e32 v9, 7, v0
	v_mov_b32_e32 v3, 0
	v_lshlrev_b32_e32 v10, 2, v0
	v_and_b32_e32 v11, 31, v8
	v_lshrrev_b32_e32 v2, 3, v8
	v_lshlrev_b32_e32 v12, 2, v9
	v_lshrrev_b32_e32 v8, 5, v8
	v_add_co_u32 v6, s33, s6, v11
	v_add_co_ci_u32_e64 v7, null, s7, 0, s33
	v_lshlrev_b32_e32 v15, 2, v11
	v_lshl_or_b32 v16, v2, 5, v12
	v_lshlrev_b32_e32 v17, 1, v8
	v_lshl_add_u32 v11, v1, 5, 0x400
	s_waitcnt lgkmcnt(0)
	s_add_u32 s20, s20, s34
	s_addc_u32 s21, s21, s35
	s_add_u32 s26, s26, s34
	s_addc_u32 s27, s27, s35
	v_mad_u64_u32 v[4:5], null, s8, v9, v[2:3]
	s_load_dwordx2 s[26:27], s[26:27], 0x0
	v_mul_lo_u32 v13, s23, v6
	v_mul_lo_u32 v14, s22, v7
	v_mad_u64_u32 v[6:7], null, s22, v6, 0
	v_lshl_or_b32 v12, v8, 7, v15
	v_mov_b32_e32 v2, v5
	s_load_dwordx2 s[20:21], s[20:21], 0x0
	s_lshl_b64 s[10:11], s[10:11], 1
	v_add3_u32 v7, v7, v14, v13
	v_mad_u64_u32 v[8:9], null, s9, v9, v[2:3]
	v_add_nc_u32_e32 v13, 0x400, v16
	v_mov_b32_e32 v9, v3
	v_lshlrev_b64 v[5:6], 1, v[6:7]
	v_add_co_u32 v7, vcc_lo, v4, s30
	v_add_co_ci_u32_e64 v8, null, s31, v8, vcc_lo
	s_waitcnt lgkmcnt(0)
	s_add_u32 s22, s26, s10
	s_addc_u32 s23, s27, s11
	s_lshl_b64 s[10:11], s[24:25], 1
	s_lshl_b64 s[8:9], s[8:9], 4
	v_add_co_u32 v2, vcc_lo, v5, s10
	v_add_co_ci_u32_e64 v6, null, s11, v6, vcc_lo
	v_lshlrev_b64 v[4:5], 1, v[7:8]
	v_add_co_u32 v2, vcc_lo, v2, v17
	v_add_co_ci_u32_e64 v7, null, 0, v6, vcc_lo
	v_mov_b32_e32 v8, v3
	v_add_co_u32 v4, vcc_lo, s22, v4
	v_add_co_ci_u32_e64 v5, null, s23, v5, vcc_lo
	v_add_co_u32 v6, vcc_lo, s20, v2
	v_add_co_ci_u32_e64 v7, null, s21, v7, vcc_lo
	v_mov_b32_e32 v2, v3
	s_mov_b64 s[10:11], 0
.LBB180_2:                              ; =>This Inner Loop Header: Depth=1
	flat_load_ushort v14, v[6:7]
	flat_load_ushort v15, v[4:5]
	s_add_u32 s10, s10, 8
	s_addc_u32 s11, s11, 0
	v_add_co_u32 v4, vcc_lo, v4, s8
	v_cmp_lt_i64_e64 s20, s[10:11], s[28:29]
	v_add_co_ci_u32_e64 v5, null, s9, v5, vcc_lo
	v_add_co_u32 v6, vcc_lo, v6, 16
	v_add_co_ci_u32_e64 v7, null, 0, v7, vcc_lo
	s_and_b32 vcc_lo, exec_lo, s20
	s_waitcnt vmcnt(1) lgkmcnt(1)
	v_lshlrev_b32_e32 v14, 16, v14
	s_waitcnt vmcnt(0) lgkmcnt(0)
	v_lshlrev_b32_e32 v15, 16, v15
	ds_write_b32 v12, v14
	ds_write_b32 v13, v15
	s_waitcnt lgkmcnt(0)
	s_barrier
	buffer_gl0_inv
	ds_read_b128 v[14:17], v11
	ds_read2_b32 v[30:31], v10 offset1:16
	ds_read_b128 v[18:21], v11 offset:512
	ds_read2_b32 v[32:33], v10 offset0:32 offset1:48
	ds_read2_b32 v[34:35], v10 offset0:64 offset1:80
	ds_read_b128 v[22:25], v11 offset:16
	ds_read2_b32 v[36:37], v10 offset0:96 offset1:112
	ds_read2_b32 v[38:39], v10 offset0:128 offset1:144
	;; [unrolled: 3-line block ×3, first 2 shown]
	ds_read2_b32 v[44:45], v10 offset0:224 offset1:240
	s_waitcnt lgkmcnt(0)
	s_barrier
	buffer_gl0_inv
	v_fmac_f32_e32 v9, v30, v14
	v_fmac_f32_e32 v8, v31, v14
	;; [unrolled: 1-line block ×32, first 2 shown]
	s_cbranch_vccnz .LBB180_2
.LBB180_3:
	s_load_dword s8, s[4:5], 0x50
	s_lshl_b64 s[10:11], s[2:3], 2
	s_load_dword s2, s[4:5], 0x18
	v_add_co_u32 v4, s4, s30, v1
	v_add_co_ci_u32_e64 v7, null, s31, 0, s4
	v_add_co_u32 v0, s4, s6, v0
	v_add_co_ci_u32_e64 v1, null, s7, 0, s4
	v_mul_lo_u32 v5, v7, s0
	v_mul_lo_u32 v6, v4, s1
	s_waitcnt lgkmcnt(0)
	s_add_u32 s3, s18, s10
	v_lshlrev_b64 v[0:1], 2, v[0:1]
	s_addc_u32 s4, s19, s11
	v_cmp_neq_f32_e64 s5, s8, 0
	s_and_b32 vcc_lo, exec_lo, s5
	s_mov_b32 s5, 0
	s_cbranch_vccnz .LBB180_7
; %bb.4:
	v_mad_u64_u32 v[10:11], null, v4, s0, 0
	s_lshl_b64 s[6:7], s[0:1], 6
	v_mul_f32_e32 v14, s2, v9
	v_mul_f32_e32 v15, s2, v8
	;; [unrolled: 1-line block ×4, first 2 shown]
	v_add3_u32 v11, v11, v6, v5
	v_lshlrev_b64 v[10:11], 2, v[10:11]
	v_add_co_u32 v10, vcc_lo, s3, v10
	v_add_co_ci_u32_e64 v11, null, s4, v11, vcc_lo
	v_add_co_u32 v12, vcc_lo, v10, s6
	v_add_co_ci_u32_e64 v13, null, s7, v11, vcc_lo
	;; [unrolled: 2-line block ×4, first 2 shown]
	flat_store_dword v[10:11], v14
	flat_store_dword v[10:11], v15 offset:64
	flat_store_dword v[12:13], v16
	flat_store_dword v[12:13], v17 offset:64
	s_andn2_b32 vcc_lo, exec_lo, s5
	s_cbranch_vccnz .LBB180_6
.LBB180_5:
	v_mul_lo_u32 v7, v7, s14
	v_mul_lo_u32 v12, v4, s15
	v_mad_u64_u32 v[10:11], null, v4, s14, 0
	s_lshl_b64 s[6:7], s[16:17], 2
	s_add_u32 s5, s12, s6
	s_addc_u32 s6, s13, s7
	v_add3_u32 v11, v11, v12, v7
	v_mad_u64_u32 v[12:13], null, v4, s0, 0
	s_lshl_b64 s[0:1], s[0:1], 6
	v_lshlrev_b64 v[10:11], 2, v[10:11]
	v_add3_u32 v13, v13, v6, v5
	v_add_co_u32 v7, vcc_lo, s5, v10
	v_add_co_ci_u32_e64 v14, null, s6, v11, vcc_lo
	v_lshlrev_b64 v[4:5], 2, v[12:13]
	v_add_co_u32 v10, vcc_lo, v7, v0
	v_add_co_ci_u32_e64 v11, null, v14, v1, vcc_lo
	v_add_co_u32 v12, vcc_lo, s3, v4
	flat_load_dword v15, v[10:11]
	v_add_co_ci_u32_e64 v13, null, s4, v5, vcc_lo
	v_add_co_u32 v4, vcc_lo, v12, v0
	s_lshl_b64 s[4:5], s[14:15], 6
	v_add_co_ci_u32_e64 v5, null, v13, v1, vcc_lo
	s_waitcnt vmcnt(0) lgkmcnt(0)
	v_mul_f32_e32 v6, s8, v15
	v_fmac_f32_e32 v6, s2, v9
	flat_store_dword v[4:5], v6
	flat_load_dword v6, v[10:11] offset:64
	s_waitcnt vmcnt(0) lgkmcnt(0)
	v_mul_f32_e32 v9, s8, v6
	v_add_co_u32 v6, vcc_lo, v7, s4
	v_add_co_ci_u32_e64 v7, null, s5, v14, vcc_lo
	v_fmac_f32_e32 v9, s2, v8
	v_add_co_u32 v6, vcc_lo, v6, v0
	v_add_co_ci_u32_e64 v7, null, v7, v1, vcc_lo
	flat_store_dword v[4:5], v9 offset:64
	v_add_co_u32 v5, vcc_lo, v12, s0
	flat_load_dword v4, v[6:7]
	v_add_co_ci_u32_e64 v8, null, s1, v13, vcc_lo
	v_add_co_u32 v0, vcc_lo, v5, v0
	v_add_co_ci_u32_e64 v1, null, v8, v1, vcc_lo
	s_waitcnt vmcnt(0) lgkmcnt(0)
	v_mul_f32_e32 v4, s8, v4
	v_fmac_f32_e32 v4, s2, v2
	flat_store_dword v[0:1], v4
	flat_load_dword v2, v[6:7] offset:64
	s_waitcnt vmcnt(0) lgkmcnt(0)
	v_mul_f32_e32 v2, s8, v2
	v_fmac_f32_e32 v2, s2, v3
	flat_store_dword v[0:1], v2 offset:64
.LBB180_6:
	s_endpgm
.LBB180_7:
	s_branch .LBB180_5
	.section	.rodata,"a",@progbits
	.p2align	6, 0x0
	.amdhsa_kernel _ZN12_GLOBAL__N_127rocblas_gemm_batched_kernelIfLi16ELi16ELi32ELi32ELi8ELi32ELi8ELi8ELi32ELc67ELc67EKPK16rocblas_bfloat16KPKfKPfEEvlllT_PT11_llSC_llSA_PT12_llPT13_lli
		.amdhsa_group_segment_fixed_size 2048
		.amdhsa_private_segment_fixed_size 0
		.amdhsa_kernarg_size 140
		.amdhsa_user_sgpr_count 6
		.amdhsa_user_sgpr_private_segment_buffer 1
		.amdhsa_user_sgpr_dispatch_ptr 0
		.amdhsa_user_sgpr_queue_ptr 0
		.amdhsa_user_sgpr_kernarg_segment_ptr 1
		.amdhsa_user_sgpr_dispatch_id 0
		.amdhsa_user_sgpr_flat_scratch_init 0
		.amdhsa_user_sgpr_private_segment_size 0
		.amdhsa_wavefront_size32 1
		.amdhsa_uses_dynamic_stack 0
		.amdhsa_system_sgpr_private_segment_wavefront_offset 0
		.amdhsa_system_sgpr_workgroup_id_x 1
		.amdhsa_system_sgpr_workgroup_id_y 1
		.amdhsa_system_sgpr_workgroup_id_z 1
		.amdhsa_system_sgpr_workgroup_info 0
		.amdhsa_system_vgpr_workitem_id 1
		.amdhsa_next_free_vgpr 46
		.amdhsa_next_free_sgpr 36
		.amdhsa_reserve_vcc 1
		.amdhsa_reserve_flat_scratch 0
		.amdhsa_float_round_mode_32 0
		.amdhsa_float_round_mode_16_64 0
		.amdhsa_float_denorm_mode_32 3
		.amdhsa_float_denorm_mode_16_64 3
		.amdhsa_dx10_clamp 1
		.amdhsa_ieee_mode 1
		.amdhsa_fp16_overflow 0
		.amdhsa_workgroup_processor_mode 1
		.amdhsa_memory_ordered 1
		.amdhsa_forward_progress 1
		.amdhsa_shared_vgpr_count 0
		.amdhsa_exception_fp_ieee_invalid_op 0
		.amdhsa_exception_fp_denorm_src 0
		.amdhsa_exception_fp_ieee_div_zero 0
		.amdhsa_exception_fp_ieee_overflow 0
		.amdhsa_exception_fp_ieee_underflow 0
		.amdhsa_exception_fp_ieee_inexact 0
		.amdhsa_exception_int_div_zero 0
	.end_amdhsa_kernel
	.section	.text._ZN12_GLOBAL__N_127rocblas_gemm_batched_kernelIfLi16ELi16ELi32ELi32ELi8ELi32ELi8ELi8ELi32ELc67ELc67EKPK16rocblas_bfloat16KPKfKPfEEvlllT_PT11_llSC_llSA_PT12_llPT13_lli,"axG",@progbits,_ZN12_GLOBAL__N_127rocblas_gemm_batched_kernelIfLi16ELi16ELi32ELi32ELi8ELi32ELi8ELi8ELi32ELc67ELc67EKPK16rocblas_bfloat16KPKfKPfEEvlllT_PT11_llSC_llSA_PT12_llPT13_lli,comdat
.Lfunc_end180:
	.size	_ZN12_GLOBAL__N_127rocblas_gemm_batched_kernelIfLi16ELi16ELi32ELi32ELi8ELi32ELi8ELi8ELi32ELc67ELc67EKPK16rocblas_bfloat16KPKfKPfEEvlllT_PT11_llSC_llSA_PT12_llPT13_lli, .Lfunc_end180-_ZN12_GLOBAL__N_127rocblas_gemm_batched_kernelIfLi16ELi16ELi32ELi32ELi8ELi32ELi8ELi8ELi32ELc67ELc67EKPK16rocblas_bfloat16KPKfKPfEEvlllT_PT11_llSC_llSA_PT12_llPT13_lli
                                        ; -- End function
	.set _ZN12_GLOBAL__N_127rocblas_gemm_batched_kernelIfLi16ELi16ELi32ELi32ELi8ELi32ELi8ELi8ELi32ELc67ELc67EKPK16rocblas_bfloat16KPKfKPfEEvlllT_PT11_llSC_llSA_PT12_llPT13_lli.num_vgpr, 46
	.set _ZN12_GLOBAL__N_127rocblas_gemm_batched_kernelIfLi16ELi16ELi32ELi32ELi8ELi32ELi8ELi8ELi32ELc67ELc67EKPK16rocblas_bfloat16KPKfKPfEEvlllT_PT11_llSC_llSA_PT12_llPT13_lli.num_agpr, 0
	.set _ZN12_GLOBAL__N_127rocblas_gemm_batched_kernelIfLi16ELi16ELi32ELi32ELi8ELi32ELi8ELi8ELi32ELc67ELc67EKPK16rocblas_bfloat16KPKfKPfEEvlllT_PT11_llSC_llSA_PT12_llPT13_lli.numbered_sgpr, 36
	.set _ZN12_GLOBAL__N_127rocblas_gemm_batched_kernelIfLi16ELi16ELi32ELi32ELi8ELi32ELi8ELi8ELi32ELc67ELc67EKPK16rocblas_bfloat16KPKfKPfEEvlllT_PT11_llSC_llSA_PT12_llPT13_lli.num_named_barrier, 0
	.set _ZN12_GLOBAL__N_127rocblas_gemm_batched_kernelIfLi16ELi16ELi32ELi32ELi8ELi32ELi8ELi8ELi32ELc67ELc67EKPK16rocblas_bfloat16KPKfKPfEEvlllT_PT11_llSC_llSA_PT12_llPT13_lli.private_seg_size, 0
	.set _ZN12_GLOBAL__N_127rocblas_gemm_batched_kernelIfLi16ELi16ELi32ELi32ELi8ELi32ELi8ELi8ELi32ELc67ELc67EKPK16rocblas_bfloat16KPKfKPfEEvlllT_PT11_llSC_llSA_PT12_llPT13_lli.uses_vcc, 1
	.set _ZN12_GLOBAL__N_127rocblas_gemm_batched_kernelIfLi16ELi16ELi32ELi32ELi8ELi32ELi8ELi8ELi32ELc67ELc67EKPK16rocblas_bfloat16KPKfKPfEEvlllT_PT11_llSC_llSA_PT12_llPT13_lli.uses_flat_scratch, 0
	.set _ZN12_GLOBAL__N_127rocblas_gemm_batched_kernelIfLi16ELi16ELi32ELi32ELi8ELi32ELi8ELi8ELi32ELc67ELc67EKPK16rocblas_bfloat16KPKfKPfEEvlllT_PT11_llSC_llSA_PT12_llPT13_lli.has_dyn_sized_stack, 0
	.set _ZN12_GLOBAL__N_127rocblas_gemm_batched_kernelIfLi16ELi16ELi32ELi32ELi8ELi32ELi8ELi8ELi32ELc67ELc67EKPK16rocblas_bfloat16KPKfKPfEEvlllT_PT11_llSC_llSA_PT12_llPT13_lli.has_recursion, 0
	.set _ZN12_GLOBAL__N_127rocblas_gemm_batched_kernelIfLi16ELi16ELi32ELi32ELi8ELi32ELi8ELi8ELi32ELc67ELc67EKPK16rocblas_bfloat16KPKfKPfEEvlllT_PT11_llSC_llSA_PT12_llPT13_lli.has_indirect_call, 0
	.section	.AMDGPU.csdata,"",@progbits
; Kernel info:
; codeLenInByte = 1412
; TotalNumSgprs: 38
; NumVgprs: 46
; ScratchSize: 0
; MemoryBound: 0
; FloatMode: 240
; IeeeMode: 1
; LDSByteSize: 2048 bytes/workgroup (compile time only)
; SGPRBlocks: 0
; VGPRBlocks: 5
; NumSGPRsForWavesPerEU: 38
; NumVGPRsForWavesPerEU: 46
; Occupancy: 16
; WaveLimiterHint : 1
; COMPUTE_PGM_RSRC2:SCRATCH_EN: 0
; COMPUTE_PGM_RSRC2:USER_SGPR: 6
; COMPUTE_PGM_RSRC2:TRAP_HANDLER: 0
; COMPUTE_PGM_RSRC2:TGID_X_EN: 1
; COMPUTE_PGM_RSRC2:TGID_Y_EN: 1
; COMPUTE_PGM_RSRC2:TGID_Z_EN: 1
; COMPUTE_PGM_RSRC2:TIDIG_COMP_CNT: 1
	.section	.text._ZN12_GLOBAL__N_127rocblas_gemm_batched_kernelIfLi16ELi16ELi32ELi32ELi8ELi32ELi8ELi8ELi32ELc67ELc78EKPK16rocblas_bfloat16KPKfKPfEEvlllT_PT11_llSC_llSA_PT12_llPT13_lli,"axG",@progbits,_ZN12_GLOBAL__N_127rocblas_gemm_batched_kernelIfLi16ELi16ELi32ELi32ELi8ELi32ELi8ELi8ELi32ELc67ELc78EKPK16rocblas_bfloat16KPKfKPfEEvlllT_PT11_llSC_llSA_PT12_llPT13_lli,comdat
	.globl	_ZN12_GLOBAL__N_127rocblas_gemm_batched_kernelIfLi16ELi16ELi32ELi32ELi8ELi32ELi8ELi8ELi32ELc67ELc78EKPK16rocblas_bfloat16KPKfKPfEEvlllT_PT11_llSC_llSA_PT12_llPT13_lli ; -- Begin function _ZN12_GLOBAL__N_127rocblas_gemm_batched_kernelIfLi16ELi16ELi32ELi32ELi8ELi32ELi8ELi8ELi32ELc67ELc78EKPK16rocblas_bfloat16KPKfKPfEEvlllT_PT11_llSC_llSA_PT12_llPT13_lli
	.p2align	8
	.type	_ZN12_GLOBAL__N_127rocblas_gemm_batched_kernelIfLi16ELi16ELi32ELi32ELi8ELi32ELi8ELi8ELi32ELc67ELc78EKPK16rocblas_bfloat16KPKfKPfEEvlllT_PT11_llSC_llSA_PT12_llPT13_lli,@function
_ZN12_GLOBAL__N_127rocblas_gemm_batched_kernelIfLi16ELi16ELi32ELi32ELi8ELi32ELi8ELi8ELi32ELc67ELc78EKPK16rocblas_bfloat16KPKfKPfEEvlllT_PT11_llSC_llSA_PT12_llPT13_lli: ; @_ZN12_GLOBAL__N_127rocblas_gemm_batched_kernelIfLi16ELi16ELi32ELi32ELi8ELi32ELi8ELi8ELi32ELc67ELc78EKPK16rocblas_bfloat16KPKfKPfEEvlllT_PT11_llSC_llSA_PT12_llPT13_lli
; %bb.0:
	s_clause 0x1
	s_load_dwordx8 s[12:19], s[4:5], 0x58
	s_load_dwordx2 s[28:29], s[4:5], 0x10
	s_mov_b32 s9, 0
	s_load_dwordx4 s[0:3], s[4:5], 0x78
	s_lshl_b64 s[34:35], s[8:9], 3
	s_mov_b32 s10, s7
	v_mov_b32_e32 v9, 0
	v_mov_b32_e32 v8, 0
	;; [unrolled: 1-line block ×4, first 2 shown]
	s_waitcnt lgkmcnt(0)
	s_add_u32 s8, s12, s34
	s_addc_u32 s9, s13, s35
	s_add_u32 s18, s18, s34
	s_addc_u32 s19, s19, s35
	s_load_dwordx2 s[12:13], s[8:9], 0x0
	s_load_dwordx2 s[18:19], s[18:19], 0x0
	v_cmp_lt_i64_e64 s8, s[28:29], 1
	s_ashr_i32 s7, s6, 31
	s_ashr_i32 s11, s10, 31
	s_lshl_b64 s[6:7], s[6:7], 5
	s_lshl_b64 s[30:31], s[10:11], 5
	s_and_b32 vcc_lo, exec_lo, s8
	s_cbranch_vccnz .LBB181_3
; %bb.1:
	s_clause 0x1
	s_load_dwordx8 s[20:27], s[4:5], 0x20
	s_load_dwordx4 s[8:11], s[4:5], 0x40
	v_lshl_add_u32 v2, v1, 4, v0
	v_and_b32_e32 v7, 7, v0
	v_lshrrev_b32_e32 v6, 3, v2
	v_and_b32_e32 v8, 31, v2
	v_lshrrev_b32_e32 v9, 5, v2
	v_lshlrev_b32_e32 v10, 2, v7
	v_lshlrev_b32_e32 v7, 1, v7
	v_add_co_u32 v2, s33, v6, s30
	v_add_co_ci_u32_e64 v3, null, 0, s31, s33
	v_add_co_u32 v4, s33, s6, v8
	v_add_co_ci_u32_e64 v5, null, s7, 0, s33
	s_waitcnt lgkmcnt(0)
	s_add_u32 s20, s20, s34
	v_mul_lo_u32 v11, s9, v2
	v_mul_lo_u32 v12, s8, v3
	v_mad_u64_u32 v[2:3], null, s8, v2, 0
	v_mul_lo_u32 v13, s23, v4
	v_mul_lo_u32 v14, s22, v5
	v_mad_u64_u32 v[4:5], null, s22, v4, 0
	s_addc_u32 s21, s21, s35
	s_add_u32 s26, s26, s34
	v_add3_u32 v3, v3, v12, v11
	s_addc_u32 s27, s27, s35
	s_load_dwordx2 s[20:21], s[20:21], 0x0
	s_load_dwordx2 s[8:9], s[26:27], 0x0
	v_add3_u32 v5, v5, v14, v13
	v_lshlrev_b64 v[2:3], 1, v[2:3]
	s_lshl_b64 s[10:11], s[10:11], 1
	v_lshlrev_b32_e32 v8, 2, v8
	v_lshl_or_b32 v15, v6, 5, v10
	v_lshlrev_b64 v[4:5], 1, v[4:5]
	v_mov_b32_e32 v6, 0
	v_add_co_u32 v2, vcc_lo, v2, s10
	v_add_co_ci_u32_e64 v3, null, s11, v3, vcc_lo
	s_lshl_b64 s[10:11], s[24:25], 1
	v_lshl_or_b32 v10, v9, 7, v8
	v_add_co_u32 v4, vcc_lo, v4, s10
	v_lshlrev_b32_e32 v8, 1, v9
	v_add_co_ci_u32_e64 v5, null, s11, v5, vcc_lo
	v_add_co_u32 v2, vcc_lo, v2, v7
	v_add_co_ci_u32_e64 v3, null, 0, v3, vcc_lo
	v_add_co_u32 v4, vcc_lo, v4, v8
	v_add_co_ci_u32_e64 v5, null, 0, v5, vcc_lo
	s_waitcnt lgkmcnt(0)
	v_add_co_u32 v2, vcc_lo, s8, v2
	v_add_co_ci_u32_e64 v3, null, s9, v3, vcc_lo
	v_add_co_u32 v4, vcc_lo, s20, v4
	v_add_nc_u32_e32 v11, 0x400, v15
	v_lshlrev_b32_e32 v12, 2, v0
	v_lshl_add_u32 v13, v1, 5, 0x400
	v_add_co_ci_u32_e64 v5, null, s21, v5, vcc_lo
	v_mov_b32_e32 v7, 0
	v_mov_b32_e32 v8, 0
	;; [unrolled: 1-line block ×3, first 2 shown]
	s_mov_b64 s[8:9], 0
.LBB181_2:                              ; =>This Inner Loop Header: Depth=1
	flat_load_ushort v14, v[4:5]
	flat_load_ushort v15, v[2:3]
	s_add_u32 s8, s8, 8
	s_addc_u32 s9, s9, 0
	v_add_co_u32 v2, vcc_lo, v2, 16
	v_cmp_lt_i64_e64 s10, s[8:9], s[28:29]
	v_add_co_ci_u32_e64 v3, null, 0, v3, vcc_lo
	v_add_co_u32 v4, vcc_lo, v4, 16
	v_add_co_ci_u32_e64 v5, null, 0, v5, vcc_lo
	s_and_b32 vcc_lo, exec_lo, s10
	s_waitcnt vmcnt(1) lgkmcnt(1)
	v_lshlrev_b32_e32 v14, 16, v14
	s_waitcnt vmcnt(0) lgkmcnt(0)
	v_lshlrev_b32_e32 v15, 16, v15
	ds_write_b32 v10, v14
	ds_write_b32 v11, v15
	s_waitcnt lgkmcnt(0)
	s_barrier
	buffer_gl0_inv
	ds_read_b128 v[14:17], v13
	ds_read2_b32 v[30:31], v12 offset1:16
	ds_read_b128 v[18:21], v13 offset:512
	ds_read2_b32 v[32:33], v12 offset0:32 offset1:48
	ds_read2_b32 v[34:35], v12 offset0:64 offset1:80
	ds_read_b128 v[22:25], v13 offset:16
	ds_read2_b32 v[36:37], v12 offset0:96 offset1:112
	ds_read2_b32 v[38:39], v12 offset0:128 offset1:144
	;; [unrolled: 3-line block ×3, first 2 shown]
	ds_read2_b32 v[44:45], v12 offset0:224 offset1:240
	s_waitcnt lgkmcnt(0)
	s_barrier
	buffer_gl0_inv
	v_fmac_f32_e32 v9, v30, v14
	v_fmac_f32_e32 v8, v31, v14
	;; [unrolled: 1-line block ×32, first 2 shown]
	s_cbranch_vccnz .LBB181_2
.LBB181_3:
	s_load_dword s8, s[4:5], 0x50
	s_lshl_b64 s[10:11], s[2:3], 2
	s_load_dword s2, s[4:5], 0x18
	v_add_co_u32 v2, s4, s30, v1
	v_add_co_ci_u32_e64 v5, null, s31, 0, s4
	v_add_co_u32 v0, s4, s6, v0
	v_add_co_ci_u32_e64 v1, null, s7, 0, s4
	v_mul_lo_u32 v3, v5, s0
	v_mul_lo_u32 v4, v2, s1
	s_waitcnt lgkmcnt(0)
	s_add_u32 s3, s18, s10
	v_lshlrev_b64 v[0:1], 2, v[0:1]
	s_addc_u32 s4, s19, s11
	v_cmp_neq_f32_e64 s5, s8, 0
	s_and_b32 vcc_lo, exec_lo, s5
	s_mov_b32 s5, 0
	s_cbranch_vccnz .LBB181_7
; %bb.4:
	v_mad_u64_u32 v[10:11], null, v2, s0, 0
	s_lshl_b64 s[6:7], s[0:1], 6
	v_mul_f32_e32 v14, s2, v9
	v_mul_f32_e32 v15, s2, v8
	;; [unrolled: 1-line block ×4, first 2 shown]
	v_add3_u32 v11, v11, v4, v3
	v_lshlrev_b64 v[10:11], 2, v[10:11]
	v_add_co_u32 v10, vcc_lo, s3, v10
	v_add_co_ci_u32_e64 v11, null, s4, v11, vcc_lo
	v_add_co_u32 v12, vcc_lo, v10, s6
	v_add_co_ci_u32_e64 v13, null, s7, v11, vcc_lo
	;; [unrolled: 2-line block ×4, first 2 shown]
	flat_store_dword v[10:11], v14
	flat_store_dword v[10:11], v15 offset:64
	flat_store_dword v[12:13], v16
	flat_store_dword v[12:13], v17 offset:64
	s_andn2_b32 vcc_lo, exec_lo, s5
	s_cbranch_vccnz .LBB181_6
.LBB181_5:
	v_mul_lo_u32 v5, v5, s14
	v_mul_lo_u32 v12, v2, s15
	v_mad_u64_u32 v[10:11], null, v2, s14, 0
	s_lshl_b64 s[6:7], s[16:17], 2
	s_add_u32 s5, s12, s6
	s_addc_u32 s6, s13, s7
	v_add3_u32 v11, v11, v12, v5
	v_mad_u64_u32 v[12:13], null, v2, s0, 0
	s_lshl_b64 s[0:1], s[0:1], 6
	v_lshlrev_b64 v[10:11], 2, v[10:11]
	v_add3_u32 v13, v13, v4, v3
	v_add_co_u32 v5, vcc_lo, s5, v10
	v_add_co_ci_u32_e64 v14, null, s6, v11, vcc_lo
	v_lshlrev_b64 v[2:3], 2, v[12:13]
	v_add_co_u32 v10, vcc_lo, v5, v0
	v_add_co_ci_u32_e64 v11, null, v14, v1, vcc_lo
	v_add_co_u32 v12, vcc_lo, s3, v2
	flat_load_dword v15, v[10:11]
	v_add_co_ci_u32_e64 v13, null, s4, v3, vcc_lo
	v_add_co_u32 v2, vcc_lo, v12, v0
	s_lshl_b64 s[4:5], s[14:15], 6
	v_add_co_ci_u32_e64 v3, null, v13, v1, vcc_lo
	s_waitcnt vmcnt(0) lgkmcnt(0)
	v_mul_f32_e32 v4, s8, v15
	v_fmac_f32_e32 v4, s2, v9
	flat_store_dword v[2:3], v4
	flat_load_dword v4, v[10:11] offset:64
	s_waitcnt vmcnt(0) lgkmcnt(0)
	v_mul_f32_e32 v9, s8, v4
	v_add_co_u32 v4, vcc_lo, v5, s4
	v_add_co_ci_u32_e64 v5, null, s5, v14, vcc_lo
	v_fmac_f32_e32 v9, s2, v8
	v_add_co_u32 v4, vcc_lo, v4, v0
	v_add_co_ci_u32_e64 v5, null, v5, v1, vcc_lo
	flat_store_dword v[2:3], v9 offset:64
	v_add_co_u32 v3, vcc_lo, v12, s0
	flat_load_dword v2, v[4:5]
	v_add_co_ci_u32_e64 v8, null, s1, v13, vcc_lo
	v_add_co_u32 v0, vcc_lo, v3, v0
	v_add_co_ci_u32_e64 v1, null, v8, v1, vcc_lo
	s_waitcnt vmcnt(0) lgkmcnt(0)
	v_mul_f32_e32 v2, s8, v2
	v_fmac_f32_e32 v2, s2, v7
	flat_store_dword v[0:1], v2
	flat_load_dword v2, v[4:5] offset:64
	s_waitcnt vmcnt(0) lgkmcnt(0)
	v_mul_f32_e32 v2, s8, v2
	v_fmac_f32_e32 v2, s2, v6
	flat_store_dword v[0:1], v2 offset:64
.LBB181_6:
	s_endpgm
.LBB181_7:
	s_branch .LBB181_5
	.section	.rodata,"a",@progbits
	.p2align	6, 0x0
	.amdhsa_kernel _ZN12_GLOBAL__N_127rocblas_gemm_batched_kernelIfLi16ELi16ELi32ELi32ELi8ELi32ELi8ELi8ELi32ELc67ELc78EKPK16rocblas_bfloat16KPKfKPfEEvlllT_PT11_llSC_llSA_PT12_llPT13_lli
		.amdhsa_group_segment_fixed_size 2048
		.amdhsa_private_segment_fixed_size 0
		.amdhsa_kernarg_size 140
		.amdhsa_user_sgpr_count 6
		.amdhsa_user_sgpr_private_segment_buffer 1
		.amdhsa_user_sgpr_dispatch_ptr 0
		.amdhsa_user_sgpr_queue_ptr 0
		.amdhsa_user_sgpr_kernarg_segment_ptr 1
		.amdhsa_user_sgpr_dispatch_id 0
		.amdhsa_user_sgpr_flat_scratch_init 0
		.amdhsa_user_sgpr_private_segment_size 0
		.amdhsa_wavefront_size32 1
		.amdhsa_uses_dynamic_stack 0
		.amdhsa_system_sgpr_private_segment_wavefront_offset 0
		.amdhsa_system_sgpr_workgroup_id_x 1
		.amdhsa_system_sgpr_workgroup_id_y 1
		.amdhsa_system_sgpr_workgroup_id_z 1
		.amdhsa_system_sgpr_workgroup_info 0
		.amdhsa_system_vgpr_workitem_id 1
		.amdhsa_next_free_vgpr 46
		.amdhsa_next_free_sgpr 36
		.amdhsa_reserve_vcc 1
		.amdhsa_reserve_flat_scratch 0
		.amdhsa_float_round_mode_32 0
		.amdhsa_float_round_mode_16_64 0
		.amdhsa_float_denorm_mode_32 3
		.amdhsa_float_denorm_mode_16_64 3
		.amdhsa_dx10_clamp 1
		.amdhsa_ieee_mode 1
		.amdhsa_fp16_overflow 0
		.amdhsa_workgroup_processor_mode 1
		.amdhsa_memory_ordered 1
		.amdhsa_forward_progress 1
		.amdhsa_shared_vgpr_count 0
		.amdhsa_exception_fp_ieee_invalid_op 0
		.amdhsa_exception_fp_denorm_src 0
		.amdhsa_exception_fp_ieee_div_zero 0
		.amdhsa_exception_fp_ieee_overflow 0
		.amdhsa_exception_fp_ieee_underflow 0
		.amdhsa_exception_fp_ieee_inexact 0
		.amdhsa_exception_int_div_zero 0
	.end_amdhsa_kernel
	.section	.text._ZN12_GLOBAL__N_127rocblas_gemm_batched_kernelIfLi16ELi16ELi32ELi32ELi8ELi32ELi8ELi8ELi32ELc67ELc78EKPK16rocblas_bfloat16KPKfKPfEEvlllT_PT11_llSC_llSA_PT12_llPT13_lli,"axG",@progbits,_ZN12_GLOBAL__N_127rocblas_gemm_batched_kernelIfLi16ELi16ELi32ELi32ELi8ELi32ELi8ELi8ELi32ELc67ELc78EKPK16rocblas_bfloat16KPKfKPfEEvlllT_PT11_llSC_llSA_PT12_llPT13_lli,comdat
.Lfunc_end181:
	.size	_ZN12_GLOBAL__N_127rocblas_gemm_batched_kernelIfLi16ELi16ELi32ELi32ELi8ELi32ELi8ELi8ELi32ELc67ELc78EKPK16rocblas_bfloat16KPKfKPfEEvlllT_PT11_llSC_llSA_PT12_llPT13_lli, .Lfunc_end181-_ZN12_GLOBAL__N_127rocblas_gemm_batched_kernelIfLi16ELi16ELi32ELi32ELi8ELi32ELi8ELi8ELi32ELc67ELc78EKPK16rocblas_bfloat16KPKfKPfEEvlllT_PT11_llSC_llSA_PT12_llPT13_lli
                                        ; -- End function
	.set _ZN12_GLOBAL__N_127rocblas_gemm_batched_kernelIfLi16ELi16ELi32ELi32ELi8ELi32ELi8ELi8ELi32ELc67ELc78EKPK16rocblas_bfloat16KPKfKPfEEvlllT_PT11_llSC_llSA_PT12_llPT13_lli.num_vgpr, 46
	.set _ZN12_GLOBAL__N_127rocblas_gemm_batched_kernelIfLi16ELi16ELi32ELi32ELi8ELi32ELi8ELi8ELi32ELc67ELc78EKPK16rocblas_bfloat16KPKfKPfEEvlllT_PT11_llSC_llSA_PT12_llPT13_lli.num_agpr, 0
	.set _ZN12_GLOBAL__N_127rocblas_gemm_batched_kernelIfLi16ELi16ELi32ELi32ELi8ELi32ELi8ELi8ELi32ELc67ELc78EKPK16rocblas_bfloat16KPKfKPfEEvlllT_PT11_llSC_llSA_PT12_llPT13_lli.numbered_sgpr, 36
	.set _ZN12_GLOBAL__N_127rocblas_gemm_batched_kernelIfLi16ELi16ELi32ELi32ELi8ELi32ELi8ELi8ELi32ELc67ELc78EKPK16rocblas_bfloat16KPKfKPfEEvlllT_PT11_llSC_llSA_PT12_llPT13_lli.num_named_barrier, 0
	.set _ZN12_GLOBAL__N_127rocblas_gemm_batched_kernelIfLi16ELi16ELi32ELi32ELi8ELi32ELi8ELi8ELi32ELc67ELc78EKPK16rocblas_bfloat16KPKfKPfEEvlllT_PT11_llSC_llSA_PT12_llPT13_lli.private_seg_size, 0
	.set _ZN12_GLOBAL__N_127rocblas_gemm_batched_kernelIfLi16ELi16ELi32ELi32ELi8ELi32ELi8ELi8ELi32ELc67ELc78EKPK16rocblas_bfloat16KPKfKPfEEvlllT_PT11_llSC_llSA_PT12_llPT13_lli.uses_vcc, 1
	.set _ZN12_GLOBAL__N_127rocblas_gemm_batched_kernelIfLi16ELi16ELi32ELi32ELi8ELi32ELi8ELi8ELi32ELc67ELc78EKPK16rocblas_bfloat16KPKfKPfEEvlllT_PT11_llSC_llSA_PT12_llPT13_lli.uses_flat_scratch, 0
	.set _ZN12_GLOBAL__N_127rocblas_gemm_batched_kernelIfLi16ELi16ELi32ELi32ELi8ELi32ELi8ELi8ELi32ELc67ELc78EKPK16rocblas_bfloat16KPKfKPfEEvlllT_PT11_llSC_llSA_PT12_llPT13_lli.has_dyn_sized_stack, 0
	.set _ZN12_GLOBAL__N_127rocblas_gemm_batched_kernelIfLi16ELi16ELi32ELi32ELi8ELi32ELi8ELi8ELi32ELc67ELc78EKPK16rocblas_bfloat16KPKfKPfEEvlllT_PT11_llSC_llSA_PT12_llPT13_lli.has_recursion, 0
	.set _ZN12_GLOBAL__N_127rocblas_gemm_batched_kernelIfLi16ELi16ELi32ELi32ELi8ELi32ELi8ELi8ELi32ELc67ELc78EKPK16rocblas_bfloat16KPKfKPfEEvlllT_PT11_llSC_llSA_PT12_llPT13_lli.has_indirect_call, 0
	.section	.AMDGPU.csdata,"",@progbits
; Kernel info:
; codeLenInByte = 1448
; TotalNumSgprs: 38
; NumVgprs: 46
; ScratchSize: 0
; MemoryBound: 0
; FloatMode: 240
; IeeeMode: 1
; LDSByteSize: 2048 bytes/workgroup (compile time only)
; SGPRBlocks: 0
; VGPRBlocks: 5
; NumSGPRsForWavesPerEU: 38
; NumVGPRsForWavesPerEU: 46
; Occupancy: 16
; WaveLimiterHint : 1
; COMPUTE_PGM_RSRC2:SCRATCH_EN: 0
; COMPUTE_PGM_RSRC2:USER_SGPR: 6
; COMPUTE_PGM_RSRC2:TRAP_HANDLER: 0
; COMPUTE_PGM_RSRC2:TGID_X_EN: 1
; COMPUTE_PGM_RSRC2:TGID_Y_EN: 1
; COMPUTE_PGM_RSRC2:TGID_Z_EN: 1
; COMPUTE_PGM_RSRC2:TIDIG_COMP_CNT: 1
	.section	.text._ZN12_GLOBAL__N_127rocblas_gemm_batched_kernelIfLi16ELi16ELi32ELi32ELi8ELi32ELi8ELi8ELi32ELc67ELc84EKPK16rocblas_bfloat16KPKfKPfEEvlllT_PT11_llSC_llSA_PT12_llPT13_lli,"axG",@progbits,_ZN12_GLOBAL__N_127rocblas_gemm_batched_kernelIfLi16ELi16ELi32ELi32ELi8ELi32ELi8ELi8ELi32ELc67ELc84EKPK16rocblas_bfloat16KPKfKPfEEvlllT_PT11_llSC_llSA_PT12_llPT13_lli,comdat
	.globl	_ZN12_GLOBAL__N_127rocblas_gemm_batched_kernelIfLi16ELi16ELi32ELi32ELi8ELi32ELi8ELi8ELi32ELc67ELc84EKPK16rocblas_bfloat16KPKfKPfEEvlllT_PT11_llSC_llSA_PT12_llPT13_lli ; -- Begin function _ZN12_GLOBAL__N_127rocblas_gemm_batched_kernelIfLi16ELi16ELi32ELi32ELi8ELi32ELi8ELi8ELi32ELc67ELc84EKPK16rocblas_bfloat16KPKfKPfEEvlllT_PT11_llSC_llSA_PT12_llPT13_lli
	.p2align	8
	.type	_ZN12_GLOBAL__N_127rocblas_gemm_batched_kernelIfLi16ELi16ELi32ELi32ELi8ELi32ELi8ELi8ELi32ELc67ELc84EKPK16rocblas_bfloat16KPKfKPfEEvlllT_PT11_llSC_llSA_PT12_llPT13_lli,@function
_ZN12_GLOBAL__N_127rocblas_gemm_batched_kernelIfLi16ELi16ELi32ELi32ELi8ELi32ELi8ELi8ELi32ELc67ELc84EKPK16rocblas_bfloat16KPKfKPfEEvlllT_PT11_llSC_llSA_PT12_llPT13_lli: ; @_ZN12_GLOBAL__N_127rocblas_gemm_batched_kernelIfLi16ELi16ELi32ELi32ELi8ELi32ELi8ELi8ELi32ELc67ELc84EKPK16rocblas_bfloat16KPKfKPfEEvlllT_PT11_llSC_llSA_PT12_llPT13_lli
; %bb.0:
	s_clause 0x1
	s_load_dwordx8 s[12:19], s[4:5], 0x58
	s_load_dwordx2 s[28:29], s[4:5], 0x10
	s_mov_b32 s9, 0
	s_load_dwordx4 s[0:3], s[4:5], 0x78
	s_lshl_b64 s[34:35], s[8:9], 3
	s_mov_b32 s10, s7
	v_mov_b32_e32 v9, 0
	v_mov_b32_e32 v8, 0
	;; [unrolled: 1-line block ×4, first 2 shown]
	s_waitcnt lgkmcnt(0)
	s_add_u32 s8, s12, s34
	s_addc_u32 s9, s13, s35
	s_add_u32 s18, s18, s34
	s_addc_u32 s19, s19, s35
	s_load_dwordx2 s[12:13], s[8:9], 0x0
	s_load_dwordx2 s[18:19], s[18:19], 0x0
	v_cmp_lt_i64_e64 s8, s[28:29], 1
	s_ashr_i32 s7, s6, 31
	s_ashr_i32 s11, s10, 31
	s_lshl_b64 s[6:7], s[6:7], 5
	s_lshl_b64 s[30:31], s[10:11], 5
	s_and_b32 vcc_lo, exec_lo, s8
	s_cbranch_vccnz .LBB182_3
; %bb.1:
	s_clause 0x1
	s_load_dwordx8 s[20:27], s[4:5], 0x20
	s_load_dwordx4 s[8:11], s[4:5], 0x40
	v_lshl_add_u32 v8, v1, 4, v0
	v_and_b32_e32 v9, 7, v0
	v_mov_b32_e32 v3, 0
	v_lshlrev_b32_e32 v10, 2, v0
	v_and_b32_e32 v11, 31, v8
	v_lshrrev_b32_e32 v2, 3, v8
	v_lshlrev_b32_e32 v12, 2, v9
	v_lshrrev_b32_e32 v8, 5, v8
	v_add_co_u32 v6, s33, s6, v11
	v_add_co_ci_u32_e64 v7, null, s7, 0, s33
	v_lshlrev_b32_e32 v15, 2, v11
	v_lshl_or_b32 v16, v2, 5, v12
	v_lshlrev_b32_e32 v17, 1, v8
	v_lshl_add_u32 v11, v1, 5, 0x400
	s_waitcnt lgkmcnt(0)
	s_add_u32 s20, s20, s34
	s_addc_u32 s21, s21, s35
	s_add_u32 s26, s26, s34
	s_addc_u32 s27, s27, s35
	v_mad_u64_u32 v[4:5], null, s8, v9, v[2:3]
	s_load_dwordx2 s[26:27], s[26:27], 0x0
	v_mul_lo_u32 v13, s23, v6
	v_mul_lo_u32 v14, s22, v7
	v_mad_u64_u32 v[6:7], null, s22, v6, 0
	v_lshl_or_b32 v12, v8, 7, v15
	v_mov_b32_e32 v2, v5
	s_load_dwordx2 s[20:21], s[20:21], 0x0
	s_lshl_b64 s[10:11], s[10:11], 1
	v_add3_u32 v7, v7, v14, v13
	v_mad_u64_u32 v[8:9], null, s9, v9, v[2:3]
	v_add_nc_u32_e32 v13, 0x400, v16
	v_mov_b32_e32 v9, v3
	v_lshlrev_b64 v[5:6], 1, v[6:7]
	v_add_co_u32 v7, vcc_lo, v4, s30
	v_add_co_ci_u32_e64 v8, null, s31, v8, vcc_lo
	s_waitcnt lgkmcnt(0)
	s_add_u32 s22, s26, s10
	s_addc_u32 s23, s27, s11
	s_lshl_b64 s[10:11], s[24:25], 1
	s_lshl_b64 s[8:9], s[8:9], 4
	v_add_co_u32 v2, vcc_lo, v5, s10
	v_add_co_ci_u32_e64 v6, null, s11, v6, vcc_lo
	v_lshlrev_b64 v[4:5], 1, v[7:8]
	v_add_co_u32 v2, vcc_lo, v2, v17
	v_add_co_ci_u32_e64 v7, null, 0, v6, vcc_lo
	v_mov_b32_e32 v8, v3
	v_add_co_u32 v4, vcc_lo, s22, v4
	v_add_co_ci_u32_e64 v5, null, s23, v5, vcc_lo
	v_add_co_u32 v6, vcc_lo, s20, v2
	v_add_co_ci_u32_e64 v7, null, s21, v7, vcc_lo
	v_mov_b32_e32 v2, v3
	s_mov_b64 s[10:11], 0
.LBB182_2:                              ; =>This Inner Loop Header: Depth=1
	flat_load_ushort v14, v[6:7]
	flat_load_ushort v15, v[4:5]
	s_add_u32 s10, s10, 8
	s_addc_u32 s11, s11, 0
	v_add_co_u32 v4, vcc_lo, v4, s8
	v_cmp_lt_i64_e64 s20, s[10:11], s[28:29]
	v_add_co_ci_u32_e64 v5, null, s9, v5, vcc_lo
	v_add_co_u32 v6, vcc_lo, v6, 16
	v_add_co_ci_u32_e64 v7, null, 0, v7, vcc_lo
	s_and_b32 vcc_lo, exec_lo, s20
	s_waitcnt vmcnt(1) lgkmcnt(1)
	v_lshlrev_b32_e32 v14, 16, v14
	s_waitcnt vmcnt(0) lgkmcnt(0)
	v_lshlrev_b32_e32 v15, 16, v15
	ds_write_b32 v12, v14
	ds_write_b32 v13, v15
	s_waitcnt lgkmcnt(0)
	s_barrier
	buffer_gl0_inv
	ds_read_b128 v[14:17], v11
	ds_read2_b32 v[30:31], v10 offset1:16
	ds_read_b128 v[18:21], v11 offset:512
	ds_read2_b32 v[32:33], v10 offset0:32 offset1:48
	ds_read2_b32 v[34:35], v10 offset0:64 offset1:80
	ds_read_b128 v[22:25], v11 offset:16
	ds_read2_b32 v[36:37], v10 offset0:96 offset1:112
	ds_read2_b32 v[38:39], v10 offset0:128 offset1:144
	;; [unrolled: 3-line block ×3, first 2 shown]
	ds_read2_b32 v[44:45], v10 offset0:224 offset1:240
	s_waitcnt lgkmcnt(0)
	s_barrier
	buffer_gl0_inv
	v_fmac_f32_e32 v9, v30, v14
	v_fmac_f32_e32 v8, v31, v14
	;; [unrolled: 1-line block ×32, first 2 shown]
	s_cbranch_vccnz .LBB182_2
.LBB182_3:
	s_load_dword s8, s[4:5], 0x50
	s_lshl_b64 s[10:11], s[2:3], 2
	s_load_dword s2, s[4:5], 0x18
	v_add_co_u32 v4, s4, s30, v1
	v_add_co_ci_u32_e64 v7, null, s31, 0, s4
	v_add_co_u32 v0, s4, s6, v0
	v_add_co_ci_u32_e64 v1, null, s7, 0, s4
	v_mul_lo_u32 v5, v7, s0
	v_mul_lo_u32 v6, v4, s1
	s_waitcnt lgkmcnt(0)
	s_add_u32 s3, s18, s10
	v_lshlrev_b64 v[0:1], 2, v[0:1]
	s_addc_u32 s4, s19, s11
	v_cmp_neq_f32_e64 s5, s8, 0
	s_and_b32 vcc_lo, exec_lo, s5
	s_mov_b32 s5, 0
	s_cbranch_vccnz .LBB182_7
; %bb.4:
	v_mad_u64_u32 v[10:11], null, v4, s0, 0
	s_lshl_b64 s[6:7], s[0:1], 6
	v_mul_f32_e32 v14, s2, v9
	v_mul_f32_e32 v15, s2, v8
	;; [unrolled: 1-line block ×4, first 2 shown]
	v_add3_u32 v11, v11, v6, v5
	v_lshlrev_b64 v[10:11], 2, v[10:11]
	v_add_co_u32 v10, vcc_lo, s3, v10
	v_add_co_ci_u32_e64 v11, null, s4, v11, vcc_lo
	v_add_co_u32 v12, vcc_lo, v10, s6
	v_add_co_ci_u32_e64 v13, null, s7, v11, vcc_lo
	;; [unrolled: 2-line block ×4, first 2 shown]
	flat_store_dword v[10:11], v14
	flat_store_dword v[10:11], v15 offset:64
	flat_store_dword v[12:13], v16
	flat_store_dword v[12:13], v17 offset:64
	s_andn2_b32 vcc_lo, exec_lo, s5
	s_cbranch_vccnz .LBB182_6
.LBB182_5:
	v_mul_lo_u32 v7, v7, s14
	v_mul_lo_u32 v12, v4, s15
	v_mad_u64_u32 v[10:11], null, v4, s14, 0
	s_lshl_b64 s[6:7], s[16:17], 2
	s_add_u32 s5, s12, s6
	s_addc_u32 s6, s13, s7
	v_add3_u32 v11, v11, v12, v7
	v_mad_u64_u32 v[12:13], null, v4, s0, 0
	s_lshl_b64 s[0:1], s[0:1], 6
	v_lshlrev_b64 v[10:11], 2, v[10:11]
	v_add3_u32 v13, v13, v6, v5
	v_add_co_u32 v7, vcc_lo, s5, v10
	v_add_co_ci_u32_e64 v14, null, s6, v11, vcc_lo
	v_lshlrev_b64 v[4:5], 2, v[12:13]
	v_add_co_u32 v10, vcc_lo, v7, v0
	v_add_co_ci_u32_e64 v11, null, v14, v1, vcc_lo
	v_add_co_u32 v12, vcc_lo, s3, v4
	flat_load_dword v15, v[10:11]
	v_add_co_ci_u32_e64 v13, null, s4, v5, vcc_lo
	v_add_co_u32 v4, vcc_lo, v12, v0
	s_lshl_b64 s[4:5], s[14:15], 6
	v_add_co_ci_u32_e64 v5, null, v13, v1, vcc_lo
	s_waitcnt vmcnt(0) lgkmcnt(0)
	v_mul_f32_e32 v6, s8, v15
	v_fmac_f32_e32 v6, s2, v9
	flat_store_dword v[4:5], v6
	flat_load_dword v6, v[10:11] offset:64
	s_waitcnt vmcnt(0) lgkmcnt(0)
	v_mul_f32_e32 v9, s8, v6
	v_add_co_u32 v6, vcc_lo, v7, s4
	v_add_co_ci_u32_e64 v7, null, s5, v14, vcc_lo
	v_fmac_f32_e32 v9, s2, v8
	v_add_co_u32 v6, vcc_lo, v6, v0
	v_add_co_ci_u32_e64 v7, null, v7, v1, vcc_lo
	flat_store_dword v[4:5], v9 offset:64
	v_add_co_u32 v5, vcc_lo, v12, s0
	flat_load_dword v4, v[6:7]
	v_add_co_ci_u32_e64 v8, null, s1, v13, vcc_lo
	v_add_co_u32 v0, vcc_lo, v5, v0
	v_add_co_ci_u32_e64 v1, null, v8, v1, vcc_lo
	s_waitcnt vmcnt(0) lgkmcnt(0)
	v_mul_f32_e32 v4, s8, v4
	v_fmac_f32_e32 v4, s2, v2
	flat_store_dword v[0:1], v4
	flat_load_dword v2, v[6:7] offset:64
	s_waitcnt vmcnt(0) lgkmcnt(0)
	v_mul_f32_e32 v2, s8, v2
	v_fmac_f32_e32 v2, s2, v3
	flat_store_dword v[0:1], v2 offset:64
.LBB182_6:
	s_endpgm
.LBB182_7:
	s_branch .LBB182_5
	.section	.rodata,"a",@progbits
	.p2align	6, 0x0
	.amdhsa_kernel _ZN12_GLOBAL__N_127rocblas_gemm_batched_kernelIfLi16ELi16ELi32ELi32ELi8ELi32ELi8ELi8ELi32ELc67ELc84EKPK16rocblas_bfloat16KPKfKPfEEvlllT_PT11_llSC_llSA_PT12_llPT13_lli
		.amdhsa_group_segment_fixed_size 2048
		.amdhsa_private_segment_fixed_size 0
		.amdhsa_kernarg_size 140
		.amdhsa_user_sgpr_count 6
		.amdhsa_user_sgpr_private_segment_buffer 1
		.amdhsa_user_sgpr_dispatch_ptr 0
		.amdhsa_user_sgpr_queue_ptr 0
		.amdhsa_user_sgpr_kernarg_segment_ptr 1
		.amdhsa_user_sgpr_dispatch_id 0
		.amdhsa_user_sgpr_flat_scratch_init 0
		.amdhsa_user_sgpr_private_segment_size 0
		.amdhsa_wavefront_size32 1
		.amdhsa_uses_dynamic_stack 0
		.amdhsa_system_sgpr_private_segment_wavefront_offset 0
		.amdhsa_system_sgpr_workgroup_id_x 1
		.amdhsa_system_sgpr_workgroup_id_y 1
		.amdhsa_system_sgpr_workgroup_id_z 1
		.amdhsa_system_sgpr_workgroup_info 0
		.amdhsa_system_vgpr_workitem_id 1
		.amdhsa_next_free_vgpr 46
		.amdhsa_next_free_sgpr 36
		.amdhsa_reserve_vcc 1
		.amdhsa_reserve_flat_scratch 0
		.amdhsa_float_round_mode_32 0
		.amdhsa_float_round_mode_16_64 0
		.amdhsa_float_denorm_mode_32 3
		.amdhsa_float_denorm_mode_16_64 3
		.amdhsa_dx10_clamp 1
		.amdhsa_ieee_mode 1
		.amdhsa_fp16_overflow 0
		.amdhsa_workgroup_processor_mode 1
		.amdhsa_memory_ordered 1
		.amdhsa_forward_progress 1
		.amdhsa_shared_vgpr_count 0
		.amdhsa_exception_fp_ieee_invalid_op 0
		.amdhsa_exception_fp_denorm_src 0
		.amdhsa_exception_fp_ieee_div_zero 0
		.amdhsa_exception_fp_ieee_overflow 0
		.amdhsa_exception_fp_ieee_underflow 0
		.amdhsa_exception_fp_ieee_inexact 0
		.amdhsa_exception_int_div_zero 0
	.end_amdhsa_kernel
	.section	.text._ZN12_GLOBAL__N_127rocblas_gemm_batched_kernelIfLi16ELi16ELi32ELi32ELi8ELi32ELi8ELi8ELi32ELc67ELc84EKPK16rocblas_bfloat16KPKfKPfEEvlllT_PT11_llSC_llSA_PT12_llPT13_lli,"axG",@progbits,_ZN12_GLOBAL__N_127rocblas_gemm_batched_kernelIfLi16ELi16ELi32ELi32ELi8ELi32ELi8ELi8ELi32ELc67ELc84EKPK16rocblas_bfloat16KPKfKPfEEvlllT_PT11_llSC_llSA_PT12_llPT13_lli,comdat
.Lfunc_end182:
	.size	_ZN12_GLOBAL__N_127rocblas_gemm_batched_kernelIfLi16ELi16ELi32ELi32ELi8ELi32ELi8ELi8ELi32ELc67ELc84EKPK16rocblas_bfloat16KPKfKPfEEvlllT_PT11_llSC_llSA_PT12_llPT13_lli, .Lfunc_end182-_ZN12_GLOBAL__N_127rocblas_gemm_batched_kernelIfLi16ELi16ELi32ELi32ELi8ELi32ELi8ELi8ELi32ELc67ELc84EKPK16rocblas_bfloat16KPKfKPfEEvlllT_PT11_llSC_llSA_PT12_llPT13_lli
                                        ; -- End function
	.set _ZN12_GLOBAL__N_127rocblas_gemm_batched_kernelIfLi16ELi16ELi32ELi32ELi8ELi32ELi8ELi8ELi32ELc67ELc84EKPK16rocblas_bfloat16KPKfKPfEEvlllT_PT11_llSC_llSA_PT12_llPT13_lli.num_vgpr, 46
	.set _ZN12_GLOBAL__N_127rocblas_gemm_batched_kernelIfLi16ELi16ELi32ELi32ELi8ELi32ELi8ELi8ELi32ELc67ELc84EKPK16rocblas_bfloat16KPKfKPfEEvlllT_PT11_llSC_llSA_PT12_llPT13_lli.num_agpr, 0
	.set _ZN12_GLOBAL__N_127rocblas_gemm_batched_kernelIfLi16ELi16ELi32ELi32ELi8ELi32ELi8ELi8ELi32ELc67ELc84EKPK16rocblas_bfloat16KPKfKPfEEvlllT_PT11_llSC_llSA_PT12_llPT13_lli.numbered_sgpr, 36
	.set _ZN12_GLOBAL__N_127rocblas_gemm_batched_kernelIfLi16ELi16ELi32ELi32ELi8ELi32ELi8ELi8ELi32ELc67ELc84EKPK16rocblas_bfloat16KPKfKPfEEvlllT_PT11_llSC_llSA_PT12_llPT13_lli.num_named_barrier, 0
	.set _ZN12_GLOBAL__N_127rocblas_gemm_batched_kernelIfLi16ELi16ELi32ELi32ELi8ELi32ELi8ELi8ELi32ELc67ELc84EKPK16rocblas_bfloat16KPKfKPfEEvlllT_PT11_llSC_llSA_PT12_llPT13_lli.private_seg_size, 0
	.set _ZN12_GLOBAL__N_127rocblas_gemm_batched_kernelIfLi16ELi16ELi32ELi32ELi8ELi32ELi8ELi8ELi32ELc67ELc84EKPK16rocblas_bfloat16KPKfKPfEEvlllT_PT11_llSC_llSA_PT12_llPT13_lli.uses_vcc, 1
	.set _ZN12_GLOBAL__N_127rocblas_gemm_batched_kernelIfLi16ELi16ELi32ELi32ELi8ELi32ELi8ELi8ELi32ELc67ELc84EKPK16rocblas_bfloat16KPKfKPfEEvlllT_PT11_llSC_llSA_PT12_llPT13_lli.uses_flat_scratch, 0
	.set _ZN12_GLOBAL__N_127rocblas_gemm_batched_kernelIfLi16ELi16ELi32ELi32ELi8ELi32ELi8ELi8ELi32ELc67ELc84EKPK16rocblas_bfloat16KPKfKPfEEvlllT_PT11_llSC_llSA_PT12_llPT13_lli.has_dyn_sized_stack, 0
	.set _ZN12_GLOBAL__N_127rocblas_gemm_batched_kernelIfLi16ELi16ELi32ELi32ELi8ELi32ELi8ELi8ELi32ELc67ELc84EKPK16rocblas_bfloat16KPKfKPfEEvlllT_PT11_llSC_llSA_PT12_llPT13_lli.has_recursion, 0
	.set _ZN12_GLOBAL__N_127rocblas_gemm_batched_kernelIfLi16ELi16ELi32ELi32ELi8ELi32ELi8ELi8ELi32ELc67ELc84EKPK16rocblas_bfloat16KPKfKPfEEvlllT_PT11_llSC_llSA_PT12_llPT13_lli.has_indirect_call, 0
	.section	.AMDGPU.csdata,"",@progbits
; Kernel info:
; codeLenInByte = 1412
; TotalNumSgprs: 38
; NumVgprs: 46
; ScratchSize: 0
; MemoryBound: 0
; FloatMode: 240
; IeeeMode: 1
; LDSByteSize: 2048 bytes/workgroup (compile time only)
; SGPRBlocks: 0
; VGPRBlocks: 5
; NumSGPRsForWavesPerEU: 38
; NumVGPRsForWavesPerEU: 46
; Occupancy: 16
; WaveLimiterHint : 1
; COMPUTE_PGM_RSRC2:SCRATCH_EN: 0
; COMPUTE_PGM_RSRC2:USER_SGPR: 6
; COMPUTE_PGM_RSRC2:TRAP_HANDLER: 0
; COMPUTE_PGM_RSRC2:TGID_X_EN: 1
; COMPUTE_PGM_RSRC2:TGID_Y_EN: 1
; COMPUTE_PGM_RSRC2:TGID_Z_EN: 1
; COMPUTE_PGM_RSRC2:TIDIG_COMP_CNT: 1
	.section	.text._ZN12_GLOBAL__N_127rocblas_gemm_batched_kernelIfLi16ELi16ELi32ELi32ELi8ELi32ELi8ELi8ELi32ELc78ELc67EKPK16rocblas_bfloat16KPKfKPfEEvlllT_PT11_llSC_llSA_PT12_llPT13_lli,"axG",@progbits,_ZN12_GLOBAL__N_127rocblas_gemm_batched_kernelIfLi16ELi16ELi32ELi32ELi8ELi32ELi8ELi8ELi32ELc78ELc67EKPK16rocblas_bfloat16KPKfKPfEEvlllT_PT11_llSC_llSA_PT12_llPT13_lli,comdat
	.globl	_ZN12_GLOBAL__N_127rocblas_gemm_batched_kernelIfLi16ELi16ELi32ELi32ELi8ELi32ELi8ELi8ELi32ELc78ELc67EKPK16rocblas_bfloat16KPKfKPfEEvlllT_PT11_llSC_llSA_PT12_llPT13_lli ; -- Begin function _ZN12_GLOBAL__N_127rocblas_gemm_batched_kernelIfLi16ELi16ELi32ELi32ELi8ELi32ELi8ELi8ELi32ELc78ELc67EKPK16rocblas_bfloat16KPKfKPfEEvlllT_PT11_llSC_llSA_PT12_llPT13_lli
	.p2align	8
	.type	_ZN12_GLOBAL__N_127rocblas_gemm_batched_kernelIfLi16ELi16ELi32ELi32ELi8ELi32ELi8ELi8ELi32ELc78ELc67EKPK16rocblas_bfloat16KPKfKPfEEvlllT_PT11_llSC_llSA_PT12_llPT13_lli,@function
_ZN12_GLOBAL__N_127rocblas_gemm_batched_kernelIfLi16ELi16ELi32ELi32ELi8ELi32ELi8ELi8ELi32ELc78ELc67EKPK16rocblas_bfloat16KPKfKPfEEvlllT_PT11_llSC_llSA_PT12_llPT13_lli: ; @_ZN12_GLOBAL__N_127rocblas_gemm_batched_kernelIfLi16ELi16ELi32ELi32ELi8ELi32ELi8ELi8ELi32ELc78ELc67EKPK16rocblas_bfloat16KPKfKPfEEvlllT_PT11_llSC_llSA_PT12_llPT13_lli
; %bb.0:
	s_clause 0x1
	s_load_dwordx8 s[12:19], s[4:5], 0x58
	s_load_dwordx2 s[28:29], s[4:5], 0x10
	s_mov_b32 s9, 0
	s_load_dwordx4 s[0:3], s[4:5], 0x78
	s_lshl_b64 s[34:35], s[8:9], 3
	s_mov_b32 s10, s7
	v_mov_b32_e32 v9, 0
	v_mov_b32_e32 v8, 0
	;; [unrolled: 1-line block ×4, first 2 shown]
	s_waitcnt lgkmcnt(0)
	s_add_u32 s8, s12, s34
	s_addc_u32 s9, s13, s35
	s_add_u32 s18, s18, s34
	s_addc_u32 s19, s19, s35
	s_load_dwordx2 s[12:13], s[8:9], 0x0
	s_load_dwordx2 s[18:19], s[18:19], 0x0
	v_cmp_lt_i64_e64 s8, s[28:29], 1
	s_ashr_i32 s7, s6, 31
	s_ashr_i32 s11, s10, 31
	s_lshl_b64 s[6:7], s[6:7], 5
	s_lshl_b64 s[30:31], s[10:11], 5
	s_and_b32 vcc_lo, exec_lo, s8
	s_cbranch_vccnz .LBB183_3
; %bb.1:
	s_clause 0x1
	s_load_dwordx8 s[20:27], s[4:5], 0x20
	s_load_dwordx4 s[8:11], s[4:5], 0x40
	v_lshl_add_u32 v4, v1, 4, v0
	v_mov_b32_e32 v3, 0
	v_and_b32_e32 v8, 7, v0
	v_lshlrev_b32_e32 v10, 2, v0
	v_lshl_add_u32 v11, v1, 5, 0x400
	v_lshrrev_b32_e32 v2, 3, v4
	v_lshrrev_b32_e32 v9, 5, v4
	v_and_b32_e32 v14, 31, v4
	v_lshlrev_b32_e32 v12, 2, v8
	v_lshlrev_b32_e32 v13, 2, v14
	v_lshl_or_b32 v15, v2, 5, v12
	v_lshl_or_b32 v12, v9, 7, v13
	s_waitcnt lgkmcnt(0)
	v_mad_u64_u32 v[6:7], null, s22, v9, s[6:7]
	v_mad_u64_u32 v[4:5], null, s8, v8, v[2:3]
	s_add_u32 s20, s20, s34
	s_addc_u32 s21, s21, s35
	s_add_u32 s26, s26, s34
	s_addc_u32 s27, s27, s35
	s_load_dwordx2 s[20:21], s[20:21], 0x0
	s_load_dwordx2 s[26:27], s[26:27], 0x0
	v_mov_b32_e32 v2, v5
	v_mov_b32_e32 v5, v7
	v_add_co_u32 v4, vcc_lo, v4, s30
	s_lshl_b64 s[10:11], s[10:11], 1
	v_mad_u64_u32 v[7:8], null, s9, v8, v[2:3]
	v_mad_u64_u32 v[8:9], null, s23, v9, v[5:6]
	v_add_nc_u32_e32 v13, 0x400, v15
	v_mov_b32_e32 v2, v3
	v_mov_b32_e32 v9, v3
	v_add_co_ci_u32_e64 v5, null, s31, v7, vcc_lo
	v_add_co_u32 v6, vcc_lo, v6, v14
	v_add_co_ci_u32_e64 v7, null, 0, v8, vcc_lo
	v_lshlrev_b64 v[4:5], 1, v[4:5]
	s_waitcnt lgkmcnt(0)
	s_add_u32 s26, s26, s10
	s_addc_u32 s27, s27, s11
	v_lshlrev_b64 v[6:7], 1, v[6:7]
	s_lshl_b64 s[10:11], s[24:25], 1
	s_lshl_b64 s[8:9], s[8:9], 4
	s_add_u32 s10, s20, s10
	v_add_co_u32 v4, vcc_lo, s26, v4
	s_addc_u32 s11, s21, s11
	v_add_co_ci_u32_e64 v5, null, s27, v5, vcc_lo
	v_add_co_u32 v6, vcc_lo, s10, v6
	v_add_co_ci_u32_e64 v7, null, s11, v7, vcc_lo
	v_mov_b32_e32 v8, v3
	s_lshl_b64 s[10:11], s[22:23], 4
	s_mov_b64 s[20:21], 0
.LBB183_2:                              ; =>This Inner Loop Header: Depth=1
	flat_load_ushort v14, v[6:7]
	flat_load_ushort v15, v[4:5]
	s_add_u32 s20, s20, 8
	s_addc_u32 s21, s21, 0
	v_add_co_u32 v4, vcc_lo, v4, s8
	v_cmp_lt_i64_e64 s22, s[20:21], s[28:29]
	v_add_co_ci_u32_e64 v5, null, s9, v5, vcc_lo
	v_add_co_u32 v6, vcc_lo, v6, s10
	v_add_co_ci_u32_e64 v7, null, s11, v7, vcc_lo
	s_and_b32 vcc_lo, exec_lo, s22
	s_waitcnt vmcnt(1) lgkmcnt(1)
	v_lshlrev_b32_e32 v14, 16, v14
	s_waitcnt vmcnt(0) lgkmcnt(0)
	v_lshlrev_b32_e32 v15, 16, v15
	ds_write_b32 v12, v14
	ds_write_b32 v13, v15
	s_waitcnt lgkmcnt(0)
	s_barrier
	buffer_gl0_inv
	ds_read_b128 v[14:17], v11
	ds_read2_b32 v[30:31], v10 offset1:16
	ds_read_b128 v[18:21], v11 offset:512
	ds_read2_b32 v[32:33], v10 offset0:32 offset1:48
	ds_read2_b32 v[34:35], v10 offset0:64 offset1:80
	ds_read_b128 v[22:25], v11 offset:16
	ds_read2_b32 v[36:37], v10 offset0:96 offset1:112
	ds_read2_b32 v[38:39], v10 offset0:128 offset1:144
	;; [unrolled: 3-line block ×3, first 2 shown]
	ds_read2_b32 v[44:45], v10 offset0:224 offset1:240
	s_waitcnt lgkmcnt(0)
	s_barrier
	buffer_gl0_inv
	v_fmac_f32_e32 v9, v30, v14
	v_fmac_f32_e32 v8, v31, v14
	;; [unrolled: 1-line block ×32, first 2 shown]
	s_cbranch_vccnz .LBB183_2
.LBB183_3:
	s_load_dword s8, s[4:5], 0x50
	s_lshl_b64 s[10:11], s[2:3], 2
	s_load_dword s2, s[4:5], 0x18
	v_add_co_u32 v4, s4, s30, v1
	v_add_co_ci_u32_e64 v7, null, s31, 0, s4
	v_add_co_u32 v0, s4, s6, v0
	v_add_co_ci_u32_e64 v1, null, s7, 0, s4
	v_mul_lo_u32 v5, v7, s0
	v_mul_lo_u32 v6, v4, s1
	s_waitcnt lgkmcnt(0)
	s_add_u32 s3, s18, s10
	v_lshlrev_b64 v[0:1], 2, v[0:1]
	s_addc_u32 s4, s19, s11
	v_cmp_neq_f32_e64 s5, s8, 0
	s_and_b32 vcc_lo, exec_lo, s5
	s_mov_b32 s5, 0
	s_cbranch_vccnz .LBB183_7
; %bb.4:
	v_mad_u64_u32 v[10:11], null, v4, s0, 0
	s_lshl_b64 s[6:7], s[0:1], 6
	v_mul_f32_e32 v14, s2, v9
	v_mul_f32_e32 v15, s2, v8
	;; [unrolled: 1-line block ×4, first 2 shown]
	v_add3_u32 v11, v11, v6, v5
	v_lshlrev_b64 v[10:11], 2, v[10:11]
	v_add_co_u32 v10, vcc_lo, s3, v10
	v_add_co_ci_u32_e64 v11, null, s4, v11, vcc_lo
	v_add_co_u32 v12, vcc_lo, v10, s6
	v_add_co_ci_u32_e64 v13, null, s7, v11, vcc_lo
	;; [unrolled: 2-line block ×4, first 2 shown]
	flat_store_dword v[10:11], v14
	flat_store_dword v[10:11], v15 offset:64
	flat_store_dword v[12:13], v16
	flat_store_dword v[12:13], v17 offset:64
	s_andn2_b32 vcc_lo, exec_lo, s5
	s_cbranch_vccnz .LBB183_6
.LBB183_5:
	v_mul_lo_u32 v7, v7, s14
	v_mul_lo_u32 v12, v4, s15
	v_mad_u64_u32 v[10:11], null, v4, s14, 0
	s_lshl_b64 s[6:7], s[16:17], 2
	s_add_u32 s5, s12, s6
	s_addc_u32 s6, s13, s7
	v_add3_u32 v11, v11, v12, v7
	v_mad_u64_u32 v[12:13], null, v4, s0, 0
	s_lshl_b64 s[0:1], s[0:1], 6
	v_lshlrev_b64 v[10:11], 2, v[10:11]
	v_add3_u32 v13, v13, v6, v5
	v_add_co_u32 v7, vcc_lo, s5, v10
	v_add_co_ci_u32_e64 v14, null, s6, v11, vcc_lo
	v_lshlrev_b64 v[4:5], 2, v[12:13]
	v_add_co_u32 v10, vcc_lo, v7, v0
	v_add_co_ci_u32_e64 v11, null, v14, v1, vcc_lo
	v_add_co_u32 v12, vcc_lo, s3, v4
	flat_load_dword v15, v[10:11]
	v_add_co_ci_u32_e64 v13, null, s4, v5, vcc_lo
	v_add_co_u32 v4, vcc_lo, v12, v0
	s_lshl_b64 s[4:5], s[14:15], 6
	v_add_co_ci_u32_e64 v5, null, v13, v1, vcc_lo
	s_waitcnt vmcnt(0) lgkmcnt(0)
	v_mul_f32_e32 v6, s8, v15
	v_fmac_f32_e32 v6, s2, v9
	flat_store_dword v[4:5], v6
	flat_load_dword v6, v[10:11] offset:64
	s_waitcnt vmcnt(0) lgkmcnt(0)
	v_mul_f32_e32 v9, s8, v6
	v_add_co_u32 v6, vcc_lo, v7, s4
	v_add_co_ci_u32_e64 v7, null, s5, v14, vcc_lo
	v_fmac_f32_e32 v9, s2, v8
	v_add_co_u32 v6, vcc_lo, v6, v0
	v_add_co_ci_u32_e64 v7, null, v7, v1, vcc_lo
	flat_store_dword v[4:5], v9 offset:64
	v_add_co_u32 v5, vcc_lo, v12, s0
	flat_load_dword v4, v[6:7]
	v_add_co_ci_u32_e64 v8, null, s1, v13, vcc_lo
	v_add_co_u32 v0, vcc_lo, v5, v0
	v_add_co_ci_u32_e64 v1, null, v8, v1, vcc_lo
	s_waitcnt vmcnt(0) lgkmcnt(0)
	v_mul_f32_e32 v4, s8, v4
	v_fmac_f32_e32 v4, s2, v2
	flat_store_dword v[0:1], v4
	flat_load_dword v2, v[6:7] offset:64
	s_waitcnt vmcnt(0) lgkmcnt(0)
	v_mul_f32_e32 v2, s8, v2
	v_fmac_f32_e32 v2, s2, v3
	flat_store_dword v[0:1], v2 offset:64
.LBB183_6:
	s_endpgm
.LBB183_7:
	s_branch .LBB183_5
	.section	.rodata,"a",@progbits
	.p2align	6, 0x0
	.amdhsa_kernel _ZN12_GLOBAL__N_127rocblas_gemm_batched_kernelIfLi16ELi16ELi32ELi32ELi8ELi32ELi8ELi8ELi32ELc78ELc67EKPK16rocblas_bfloat16KPKfKPfEEvlllT_PT11_llSC_llSA_PT12_llPT13_lli
		.amdhsa_group_segment_fixed_size 2048
		.amdhsa_private_segment_fixed_size 0
		.amdhsa_kernarg_size 140
		.amdhsa_user_sgpr_count 6
		.amdhsa_user_sgpr_private_segment_buffer 1
		.amdhsa_user_sgpr_dispatch_ptr 0
		.amdhsa_user_sgpr_queue_ptr 0
		.amdhsa_user_sgpr_kernarg_segment_ptr 1
		.amdhsa_user_sgpr_dispatch_id 0
		.amdhsa_user_sgpr_flat_scratch_init 0
		.amdhsa_user_sgpr_private_segment_size 0
		.amdhsa_wavefront_size32 1
		.amdhsa_uses_dynamic_stack 0
		.amdhsa_system_sgpr_private_segment_wavefront_offset 0
		.amdhsa_system_sgpr_workgroup_id_x 1
		.amdhsa_system_sgpr_workgroup_id_y 1
		.amdhsa_system_sgpr_workgroup_id_z 1
		.amdhsa_system_sgpr_workgroup_info 0
		.amdhsa_system_vgpr_workitem_id 1
		.amdhsa_next_free_vgpr 46
		.amdhsa_next_free_sgpr 36
		.amdhsa_reserve_vcc 1
		.amdhsa_reserve_flat_scratch 0
		.amdhsa_float_round_mode_32 0
		.amdhsa_float_round_mode_16_64 0
		.amdhsa_float_denorm_mode_32 3
		.amdhsa_float_denorm_mode_16_64 3
		.amdhsa_dx10_clamp 1
		.amdhsa_ieee_mode 1
		.amdhsa_fp16_overflow 0
		.amdhsa_workgroup_processor_mode 1
		.amdhsa_memory_ordered 1
		.amdhsa_forward_progress 1
		.amdhsa_shared_vgpr_count 0
		.amdhsa_exception_fp_ieee_invalid_op 0
		.amdhsa_exception_fp_denorm_src 0
		.amdhsa_exception_fp_ieee_div_zero 0
		.amdhsa_exception_fp_ieee_overflow 0
		.amdhsa_exception_fp_ieee_underflow 0
		.amdhsa_exception_fp_ieee_inexact 0
		.amdhsa_exception_int_div_zero 0
	.end_amdhsa_kernel
	.section	.text._ZN12_GLOBAL__N_127rocblas_gemm_batched_kernelIfLi16ELi16ELi32ELi32ELi8ELi32ELi8ELi8ELi32ELc78ELc67EKPK16rocblas_bfloat16KPKfKPfEEvlllT_PT11_llSC_llSA_PT12_llPT13_lli,"axG",@progbits,_ZN12_GLOBAL__N_127rocblas_gemm_batched_kernelIfLi16ELi16ELi32ELi32ELi8ELi32ELi8ELi8ELi32ELc78ELc67EKPK16rocblas_bfloat16KPKfKPfEEvlllT_PT11_llSC_llSA_PT12_llPT13_lli,comdat
.Lfunc_end183:
	.size	_ZN12_GLOBAL__N_127rocblas_gemm_batched_kernelIfLi16ELi16ELi32ELi32ELi8ELi32ELi8ELi8ELi32ELc78ELc67EKPK16rocblas_bfloat16KPKfKPfEEvlllT_PT11_llSC_llSA_PT12_llPT13_lli, .Lfunc_end183-_ZN12_GLOBAL__N_127rocblas_gemm_batched_kernelIfLi16ELi16ELi32ELi32ELi8ELi32ELi8ELi8ELi32ELc78ELc67EKPK16rocblas_bfloat16KPKfKPfEEvlllT_PT11_llSC_llSA_PT12_llPT13_lli
                                        ; -- End function
	.set _ZN12_GLOBAL__N_127rocblas_gemm_batched_kernelIfLi16ELi16ELi32ELi32ELi8ELi32ELi8ELi8ELi32ELc78ELc67EKPK16rocblas_bfloat16KPKfKPfEEvlllT_PT11_llSC_llSA_PT12_llPT13_lli.num_vgpr, 46
	.set _ZN12_GLOBAL__N_127rocblas_gemm_batched_kernelIfLi16ELi16ELi32ELi32ELi8ELi32ELi8ELi8ELi32ELc78ELc67EKPK16rocblas_bfloat16KPKfKPfEEvlllT_PT11_llSC_llSA_PT12_llPT13_lli.num_agpr, 0
	.set _ZN12_GLOBAL__N_127rocblas_gemm_batched_kernelIfLi16ELi16ELi32ELi32ELi8ELi32ELi8ELi8ELi32ELc78ELc67EKPK16rocblas_bfloat16KPKfKPfEEvlllT_PT11_llSC_llSA_PT12_llPT13_lli.numbered_sgpr, 36
	.set _ZN12_GLOBAL__N_127rocblas_gemm_batched_kernelIfLi16ELi16ELi32ELi32ELi8ELi32ELi8ELi8ELi32ELc78ELc67EKPK16rocblas_bfloat16KPKfKPfEEvlllT_PT11_llSC_llSA_PT12_llPT13_lli.num_named_barrier, 0
	.set _ZN12_GLOBAL__N_127rocblas_gemm_batched_kernelIfLi16ELi16ELi32ELi32ELi8ELi32ELi8ELi8ELi32ELc78ELc67EKPK16rocblas_bfloat16KPKfKPfEEvlllT_PT11_llSC_llSA_PT12_llPT13_lli.private_seg_size, 0
	.set _ZN12_GLOBAL__N_127rocblas_gemm_batched_kernelIfLi16ELi16ELi32ELi32ELi8ELi32ELi8ELi8ELi32ELc78ELc67EKPK16rocblas_bfloat16KPKfKPfEEvlllT_PT11_llSC_llSA_PT12_llPT13_lli.uses_vcc, 1
	.set _ZN12_GLOBAL__N_127rocblas_gemm_batched_kernelIfLi16ELi16ELi32ELi32ELi8ELi32ELi8ELi8ELi32ELc78ELc67EKPK16rocblas_bfloat16KPKfKPfEEvlllT_PT11_llSC_llSA_PT12_llPT13_lli.uses_flat_scratch, 0
	.set _ZN12_GLOBAL__N_127rocblas_gemm_batched_kernelIfLi16ELi16ELi32ELi32ELi8ELi32ELi8ELi8ELi32ELc78ELc67EKPK16rocblas_bfloat16KPKfKPfEEvlllT_PT11_llSC_llSA_PT12_llPT13_lli.has_dyn_sized_stack, 0
	.set _ZN12_GLOBAL__N_127rocblas_gemm_batched_kernelIfLi16ELi16ELi32ELi32ELi8ELi32ELi8ELi8ELi32ELc78ELc67EKPK16rocblas_bfloat16KPKfKPfEEvlllT_PT11_llSC_llSA_PT12_llPT13_lli.has_recursion, 0
	.set _ZN12_GLOBAL__N_127rocblas_gemm_batched_kernelIfLi16ELi16ELi32ELi32ELi8ELi32ELi8ELi8ELi32ELc78ELc67EKPK16rocblas_bfloat16KPKfKPfEEvlllT_PT11_llSC_llSA_PT12_llPT13_lli.has_indirect_call, 0
	.section	.AMDGPU.csdata,"",@progbits
; Kernel info:
; codeLenInByte = 1376
; TotalNumSgprs: 38
; NumVgprs: 46
; ScratchSize: 0
; MemoryBound: 0
; FloatMode: 240
; IeeeMode: 1
; LDSByteSize: 2048 bytes/workgroup (compile time only)
; SGPRBlocks: 0
; VGPRBlocks: 5
; NumSGPRsForWavesPerEU: 38
; NumVGPRsForWavesPerEU: 46
; Occupancy: 16
; WaveLimiterHint : 1
; COMPUTE_PGM_RSRC2:SCRATCH_EN: 0
; COMPUTE_PGM_RSRC2:USER_SGPR: 6
; COMPUTE_PGM_RSRC2:TRAP_HANDLER: 0
; COMPUTE_PGM_RSRC2:TGID_X_EN: 1
; COMPUTE_PGM_RSRC2:TGID_Y_EN: 1
; COMPUTE_PGM_RSRC2:TGID_Z_EN: 1
; COMPUTE_PGM_RSRC2:TIDIG_COMP_CNT: 1
	.section	.text._ZN12_GLOBAL__N_127rocblas_gemm_batched_kernelIfLi16ELi16ELi32ELi32ELi8ELi32ELi8ELi8ELi32ELc84ELc67EKPK16rocblas_bfloat16KPKfKPfEEvlllT_PT11_llSC_llSA_PT12_llPT13_lli,"axG",@progbits,_ZN12_GLOBAL__N_127rocblas_gemm_batched_kernelIfLi16ELi16ELi32ELi32ELi8ELi32ELi8ELi8ELi32ELc84ELc67EKPK16rocblas_bfloat16KPKfKPfEEvlllT_PT11_llSC_llSA_PT12_llPT13_lli,comdat
	.globl	_ZN12_GLOBAL__N_127rocblas_gemm_batched_kernelIfLi16ELi16ELi32ELi32ELi8ELi32ELi8ELi8ELi32ELc84ELc67EKPK16rocblas_bfloat16KPKfKPfEEvlllT_PT11_llSC_llSA_PT12_llPT13_lli ; -- Begin function _ZN12_GLOBAL__N_127rocblas_gemm_batched_kernelIfLi16ELi16ELi32ELi32ELi8ELi32ELi8ELi8ELi32ELc84ELc67EKPK16rocblas_bfloat16KPKfKPfEEvlllT_PT11_llSC_llSA_PT12_llPT13_lli
	.p2align	8
	.type	_ZN12_GLOBAL__N_127rocblas_gemm_batched_kernelIfLi16ELi16ELi32ELi32ELi8ELi32ELi8ELi8ELi32ELc84ELc67EKPK16rocblas_bfloat16KPKfKPfEEvlllT_PT11_llSC_llSA_PT12_llPT13_lli,@function
_ZN12_GLOBAL__N_127rocblas_gemm_batched_kernelIfLi16ELi16ELi32ELi32ELi8ELi32ELi8ELi8ELi32ELc84ELc67EKPK16rocblas_bfloat16KPKfKPfEEvlllT_PT11_llSC_llSA_PT12_llPT13_lli: ; @_ZN12_GLOBAL__N_127rocblas_gemm_batched_kernelIfLi16ELi16ELi32ELi32ELi8ELi32ELi8ELi8ELi32ELc84ELc67EKPK16rocblas_bfloat16KPKfKPfEEvlllT_PT11_llSC_llSA_PT12_llPT13_lli
; %bb.0:
	s_clause 0x1
	s_load_dwordx8 s[12:19], s[4:5], 0x58
	s_load_dwordx2 s[28:29], s[4:5], 0x10
	s_mov_b32 s9, 0
	s_load_dwordx4 s[0:3], s[4:5], 0x78
	s_lshl_b64 s[34:35], s[8:9], 3
	s_mov_b32 s10, s7
	v_mov_b32_e32 v9, 0
	v_mov_b32_e32 v8, 0
	v_mov_b32_e32 v2, 0
	v_mov_b32_e32 v3, 0
	s_waitcnt lgkmcnt(0)
	s_add_u32 s8, s12, s34
	s_addc_u32 s9, s13, s35
	s_add_u32 s18, s18, s34
	s_addc_u32 s19, s19, s35
	s_load_dwordx2 s[12:13], s[8:9], 0x0
	s_load_dwordx2 s[18:19], s[18:19], 0x0
	v_cmp_lt_i64_e64 s8, s[28:29], 1
	s_ashr_i32 s7, s6, 31
	s_ashr_i32 s11, s10, 31
	s_lshl_b64 s[6:7], s[6:7], 5
	s_lshl_b64 s[30:31], s[10:11], 5
	s_and_b32 vcc_lo, exec_lo, s8
	s_cbranch_vccnz .LBB184_3
; %bb.1:
	s_clause 0x1
	s_load_dwordx8 s[20:27], s[4:5], 0x20
	s_load_dwordx4 s[8:11], s[4:5], 0x40
	v_lshl_add_u32 v8, v1, 4, v0
	v_and_b32_e32 v9, 7, v0
	v_mov_b32_e32 v3, 0
	v_lshlrev_b32_e32 v10, 2, v0
	v_and_b32_e32 v11, 31, v8
	v_lshrrev_b32_e32 v2, 3, v8
	v_lshlrev_b32_e32 v12, 2, v9
	v_lshrrev_b32_e32 v8, 5, v8
	v_add_co_u32 v6, s33, s6, v11
	v_add_co_ci_u32_e64 v7, null, s7, 0, s33
	v_lshlrev_b32_e32 v15, 2, v11
	v_lshl_or_b32 v16, v2, 5, v12
	v_lshlrev_b32_e32 v17, 1, v8
	v_lshl_add_u32 v11, v1, 5, 0x400
	s_waitcnt lgkmcnt(0)
	s_add_u32 s20, s20, s34
	s_addc_u32 s21, s21, s35
	s_add_u32 s26, s26, s34
	s_addc_u32 s27, s27, s35
	v_mad_u64_u32 v[4:5], null, s8, v9, v[2:3]
	s_load_dwordx2 s[26:27], s[26:27], 0x0
	v_mul_lo_u32 v13, s23, v6
	v_mul_lo_u32 v14, s22, v7
	v_mad_u64_u32 v[6:7], null, s22, v6, 0
	v_lshl_or_b32 v12, v8, 7, v15
	v_mov_b32_e32 v2, v5
	s_load_dwordx2 s[20:21], s[20:21], 0x0
	s_lshl_b64 s[10:11], s[10:11], 1
	v_add3_u32 v7, v7, v14, v13
	v_mad_u64_u32 v[8:9], null, s9, v9, v[2:3]
	v_add_nc_u32_e32 v13, 0x400, v16
	v_mov_b32_e32 v9, v3
	v_lshlrev_b64 v[5:6], 1, v[6:7]
	v_add_co_u32 v7, vcc_lo, v4, s30
	v_add_co_ci_u32_e64 v8, null, s31, v8, vcc_lo
	s_waitcnt lgkmcnt(0)
	s_add_u32 s22, s26, s10
	s_addc_u32 s23, s27, s11
	s_lshl_b64 s[10:11], s[24:25], 1
	s_lshl_b64 s[8:9], s[8:9], 4
	v_add_co_u32 v2, vcc_lo, v5, s10
	v_add_co_ci_u32_e64 v6, null, s11, v6, vcc_lo
	v_lshlrev_b64 v[4:5], 1, v[7:8]
	v_add_co_u32 v2, vcc_lo, v2, v17
	v_add_co_ci_u32_e64 v7, null, 0, v6, vcc_lo
	v_mov_b32_e32 v8, v3
	v_add_co_u32 v4, vcc_lo, s22, v4
	v_add_co_ci_u32_e64 v5, null, s23, v5, vcc_lo
	v_add_co_u32 v6, vcc_lo, s20, v2
	v_add_co_ci_u32_e64 v7, null, s21, v7, vcc_lo
	v_mov_b32_e32 v2, v3
	s_mov_b64 s[10:11], 0
.LBB184_2:                              ; =>This Inner Loop Header: Depth=1
	flat_load_ushort v14, v[6:7]
	flat_load_ushort v15, v[4:5]
	s_add_u32 s10, s10, 8
	s_addc_u32 s11, s11, 0
	v_add_co_u32 v4, vcc_lo, v4, s8
	v_cmp_lt_i64_e64 s20, s[10:11], s[28:29]
	v_add_co_ci_u32_e64 v5, null, s9, v5, vcc_lo
	v_add_co_u32 v6, vcc_lo, v6, 16
	v_add_co_ci_u32_e64 v7, null, 0, v7, vcc_lo
	s_and_b32 vcc_lo, exec_lo, s20
	s_waitcnt vmcnt(1) lgkmcnt(1)
	v_lshlrev_b32_e32 v14, 16, v14
	s_waitcnt vmcnt(0) lgkmcnt(0)
	v_lshlrev_b32_e32 v15, 16, v15
	ds_write_b32 v12, v14
	ds_write_b32 v13, v15
	s_waitcnt lgkmcnt(0)
	s_barrier
	buffer_gl0_inv
	ds_read_b128 v[14:17], v11
	ds_read2_b32 v[30:31], v10 offset1:16
	ds_read_b128 v[18:21], v11 offset:512
	ds_read2_b32 v[32:33], v10 offset0:32 offset1:48
	ds_read2_b32 v[34:35], v10 offset0:64 offset1:80
	ds_read_b128 v[22:25], v11 offset:16
	ds_read2_b32 v[36:37], v10 offset0:96 offset1:112
	ds_read2_b32 v[38:39], v10 offset0:128 offset1:144
	;; [unrolled: 3-line block ×3, first 2 shown]
	ds_read2_b32 v[44:45], v10 offset0:224 offset1:240
	s_waitcnt lgkmcnt(0)
	s_barrier
	buffer_gl0_inv
	v_fmac_f32_e32 v9, v30, v14
	v_fmac_f32_e32 v8, v31, v14
	;; [unrolled: 1-line block ×32, first 2 shown]
	s_cbranch_vccnz .LBB184_2
.LBB184_3:
	s_load_dword s8, s[4:5], 0x50
	s_lshl_b64 s[10:11], s[2:3], 2
	s_load_dword s2, s[4:5], 0x18
	v_add_co_u32 v4, s4, s30, v1
	v_add_co_ci_u32_e64 v7, null, s31, 0, s4
	v_add_co_u32 v0, s4, s6, v0
	v_add_co_ci_u32_e64 v1, null, s7, 0, s4
	v_mul_lo_u32 v5, v7, s0
	v_mul_lo_u32 v6, v4, s1
	s_waitcnt lgkmcnt(0)
	s_add_u32 s3, s18, s10
	v_lshlrev_b64 v[0:1], 2, v[0:1]
	s_addc_u32 s4, s19, s11
	v_cmp_neq_f32_e64 s5, s8, 0
	s_and_b32 vcc_lo, exec_lo, s5
	s_mov_b32 s5, 0
	s_cbranch_vccnz .LBB184_7
; %bb.4:
	v_mad_u64_u32 v[10:11], null, v4, s0, 0
	s_lshl_b64 s[6:7], s[0:1], 6
	v_mul_f32_e32 v14, s2, v9
	v_mul_f32_e32 v15, s2, v8
	;; [unrolled: 1-line block ×4, first 2 shown]
	v_add3_u32 v11, v11, v6, v5
	v_lshlrev_b64 v[10:11], 2, v[10:11]
	v_add_co_u32 v10, vcc_lo, s3, v10
	v_add_co_ci_u32_e64 v11, null, s4, v11, vcc_lo
	v_add_co_u32 v12, vcc_lo, v10, s6
	v_add_co_ci_u32_e64 v13, null, s7, v11, vcc_lo
	;; [unrolled: 2-line block ×4, first 2 shown]
	flat_store_dword v[10:11], v14
	flat_store_dword v[10:11], v15 offset:64
	flat_store_dword v[12:13], v16
	flat_store_dword v[12:13], v17 offset:64
	s_andn2_b32 vcc_lo, exec_lo, s5
	s_cbranch_vccnz .LBB184_6
.LBB184_5:
	v_mul_lo_u32 v7, v7, s14
	v_mul_lo_u32 v12, v4, s15
	v_mad_u64_u32 v[10:11], null, v4, s14, 0
	s_lshl_b64 s[6:7], s[16:17], 2
	s_add_u32 s5, s12, s6
	s_addc_u32 s6, s13, s7
	v_add3_u32 v11, v11, v12, v7
	v_mad_u64_u32 v[12:13], null, v4, s0, 0
	s_lshl_b64 s[0:1], s[0:1], 6
	v_lshlrev_b64 v[10:11], 2, v[10:11]
	v_add3_u32 v13, v13, v6, v5
	v_add_co_u32 v7, vcc_lo, s5, v10
	v_add_co_ci_u32_e64 v14, null, s6, v11, vcc_lo
	v_lshlrev_b64 v[4:5], 2, v[12:13]
	v_add_co_u32 v10, vcc_lo, v7, v0
	v_add_co_ci_u32_e64 v11, null, v14, v1, vcc_lo
	v_add_co_u32 v12, vcc_lo, s3, v4
	flat_load_dword v15, v[10:11]
	v_add_co_ci_u32_e64 v13, null, s4, v5, vcc_lo
	v_add_co_u32 v4, vcc_lo, v12, v0
	s_lshl_b64 s[4:5], s[14:15], 6
	v_add_co_ci_u32_e64 v5, null, v13, v1, vcc_lo
	s_waitcnt vmcnt(0) lgkmcnt(0)
	v_mul_f32_e32 v6, s8, v15
	v_fmac_f32_e32 v6, s2, v9
	flat_store_dword v[4:5], v6
	flat_load_dword v6, v[10:11] offset:64
	s_waitcnt vmcnt(0) lgkmcnt(0)
	v_mul_f32_e32 v9, s8, v6
	v_add_co_u32 v6, vcc_lo, v7, s4
	v_add_co_ci_u32_e64 v7, null, s5, v14, vcc_lo
	v_fmac_f32_e32 v9, s2, v8
	v_add_co_u32 v6, vcc_lo, v6, v0
	v_add_co_ci_u32_e64 v7, null, v7, v1, vcc_lo
	flat_store_dword v[4:5], v9 offset:64
	v_add_co_u32 v5, vcc_lo, v12, s0
	flat_load_dword v4, v[6:7]
	v_add_co_ci_u32_e64 v8, null, s1, v13, vcc_lo
	v_add_co_u32 v0, vcc_lo, v5, v0
	v_add_co_ci_u32_e64 v1, null, v8, v1, vcc_lo
	s_waitcnt vmcnt(0) lgkmcnt(0)
	v_mul_f32_e32 v4, s8, v4
	v_fmac_f32_e32 v4, s2, v2
	flat_store_dword v[0:1], v4
	flat_load_dword v2, v[6:7] offset:64
	s_waitcnt vmcnt(0) lgkmcnt(0)
	v_mul_f32_e32 v2, s8, v2
	v_fmac_f32_e32 v2, s2, v3
	flat_store_dword v[0:1], v2 offset:64
.LBB184_6:
	s_endpgm
.LBB184_7:
	s_branch .LBB184_5
	.section	.rodata,"a",@progbits
	.p2align	6, 0x0
	.amdhsa_kernel _ZN12_GLOBAL__N_127rocblas_gemm_batched_kernelIfLi16ELi16ELi32ELi32ELi8ELi32ELi8ELi8ELi32ELc84ELc67EKPK16rocblas_bfloat16KPKfKPfEEvlllT_PT11_llSC_llSA_PT12_llPT13_lli
		.amdhsa_group_segment_fixed_size 2048
		.amdhsa_private_segment_fixed_size 0
		.amdhsa_kernarg_size 140
		.amdhsa_user_sgpr_count 6
		.amdhsa_user_sgpr_private_segment_buffer 1
		.amdhsa_user_sgpr_dispatch_ptr 0
		.amdhsa_user_sgpr_queue_ptr 0
		.amdhsa_user_sgpr_kernarg_segment_ptr 1
		.amdhsa_user_sgpr_dispatch_id 0
		.amdhsa_user_sgpr_flat_scratch_init 0
		.amdhsa_user_sgpr_private_segment_size 0
		.amdhsa_wavefront_size32 1
		.amdhsa_uses_dynamic_stack 0
		.amdhsa_system_sgpr_private_segment_wavefront_offset 0
		.amdhsa_system_sgpr_workgroup_id_x 1
		.amdhsa_system_sgpr_workgroup_id_y 1
		.amdhsa_system_sgpr_workgroup_id_z 1
		.amdhsa_system_sgpr_workgroup_info 0
		.amdhsa_system_vgpr_workitem_id 1
		.amdhsa_next_free_vgpr 46
		.amdhsa_next_free_sgpr 36
		.amdhsa_reserve_vcc 1
		.amdhsa_reserve_flat_scratch 0
		.amdhsa_float_round_mode_32 0
		.amdhsa_float_round_mode_16_64 0
		.amdhsa_float_denorm_mode_32 3
		.amdhsa_float_denorm_mode_16_64 3
		.amdhsa_dx10_clamp 1
		.amdhsa_ieee_mode 1
		.amdhsa_fp16_overflow 0
		.amdhsa_workgroup_processor_mode 1
		.amdhsa_memory_ordered 1
		.amdhsa_forward_progress 1
		.amdhsa_shared_vgpr_count 0
		.amdhsa_exception_fp_ieee_invalid_op 0
		.amdhsa_exception_fp_denorm_src 0
		.amdhsa_exception_fp_ieee_div_zero 0
		.amdhsa_exception_fp_ieee_overflow 0
		.amdhsa_exception_fp_ieee_underflow 0
		.amdhsa_exception_fp_ieee_inexact 0
		.amdhsa_exception_int_div_zero 0
	.end_amdhsa_kernel
	.section	.text._ZN12_GLOBAL__N_127rocblas_gemm_batched_kernelIfLi16ELi16ELi32ELi32ELi8ELi32ELi8ELi8ELi32ELc84ELc67EKPK16rocblas_bfloat16KPKfKPfEEvlllT_PT11_llSC_llSA_PT12_llPT13_lli,"axG",@progbits,_ZN12_GLOBAL__N_127rocblas_gemm_batched_kernelIfLi16ELi16ELi32ELi32ELi8ELi32ELi8ELi8ELi32ELc84ELc67EKPK16rocblas_bfloat16KPKfKPfEEvlllT_PT11_llSC_llSA_PT12_llPT13_lli,comdat
.Lfunc_end184:
	.size	_ZN12_GLOBAL__N_127rocblas_gemm_batched_kernelIfLi16ELi16ELi32ELi32ELi8ELi32ELi8ELi8ELi32ELc84ELc67EKPK16rocblas_bfloat16KPKfKPfEEvlllT_PT11_llSC_llSA_PT12_llPT13_lli, .Lfunc_end184-_ZN12_GLOBAL__N_127rocblas_gemm_batched_kernelIfLi16ELi16ELi32ELi32ELi8ELi32ELi8ELi8ELi32ELc84ELc67EKPK16rocblas_bfloat16KPKfKPfEEvlllT_PT11_llSC_llSA_PT12_llPT13_lli
                                        ; -- End function
	.set _ZN12_GLOBAL__N_127rocblas_gemm_batched_kernelIfLi16ELi16ELi32ELi32ELi8ELi32ELi8ELi8ELi32ELc84ELc67EKPK16rocblas_bfloat16KPKfKPfEEvlllT_PT11_llSC_llSA_PT12_llPT13_lli.num_vgpr, 46
	.set _ZN12_GLOBAL__N_127rocblas_gemm_batched_kernelIfLi16ELi16ELi32ELi32ELi8ELi32ELi8ELi8ELi32ELc84ELc67EKPK16rocblas_bfloat16KPKfKPfEEvlllT_PT11_llSC_llSA_PT12_llPT13_lli.num_agpr, 0
	.set _ZN12_GLOBAL__N_127rocblas_gemm_batched_kernelIfLi16ELi16ELi32ELi32ELi8ELi32ELi8ELi8ELi32ELc84ELc67EKPK16rocblas_bfloat16KPKfKPfEEvlllT_PT11_llSC_llSA_PT12_llPT13_lli.numbered_sgpr, 36
	.set _ZN12_GLOBAL__N_127rocblas_gemm_batched_kernelIfLi16ELi16ELi32ELi32ELi8ELi32ELi8ELi8ELi32ELc84ELc67EKPK16rocblas_bfloat16KPKfKPfEEvlllT_PT11_llSC_llSA_PT12_llPT13_lli.num_named_barrier, 0
	.set _ZN12_GLOBAL__N_127rocblas_gemm_batched_kernelIfLi16ELi16ELi32ELi32ELi8ELi32ELi8ELi8ELi32ELc84ELc67EKPK16rocblas_bfloat16KPKfKPfEEvlllT_PT11_llSC_llSA_PT12_llPT13_lli.private_seg_size, 0
	.set _ZN12_GLOBAL__N_127rocblas_gemm_batched_kernelIfLi16ELi16ELi32ELi32ELi8ELi32ELi8ELi8ELi32ELc84ELc67EKPK16rocblas_bfloat16KPKfKPfEEvlllT_PT11_llSC_llSA_PT12_llPT13_lli.uses_vcc, 1
	.set _ZN12_GLOBAL__N_127rocblas_gemm_batched_kernelIfLi16ELi16ELi32ELi32ELi8ELi32ELi8ELi8ELi32ELc84ELc67EKPK16rocblas_bfloat16KPKfKPfEEvlllT_PT11_llSC_llSA_PT12_llPT13_lli.uses_flat_scratch, 0
	.set _ZN12_GLOBAL__N_127rocblas_gemm_batched_kernelIfLi16ELi16ELi32ELi32ELi8ELi32ELi8ELi8ELi32ELc84ELc67EKPK16rocblas_bfloat16KPKfKPfEEvlllT_PT11_llSC_llSA_PT12_llPT13_lli.has_dyn_sized_stack, 0
	.set _ZN12_GLOBAL__N_127rocblas_gemm_batched_kernelIfLi16ELi16ELi32ELi32ELi8ELi32ELi8ELi8ELi32ELc84ELc67EKPK16rocblas_bfloat16KPKfKPfEEvlllT_PT11_llSC_llSA_PT12_llPT13_lli.has_recursion, 0
	.set _ZN12_GLOBAL__N_127rocblas_gemm_batched_kernelIfLi16ELi16ELi32ELi32ELi8ELi32ELi8ELi8ELi32ELc84ELc67EKPK16rocblas_bfloat16KPKfKPfEEvlllT_PT11_llSC_llSA_PT12_llPT13_lli.has_indirect_call, 0
	.section	.AMDGPU.csdata,"",@progbits
; Kernel info:
; codeLenInByte = 1412
; TotalNumSgprs: 38
; NumVgprs: 46
; ScratchSize: 0
; MemoryBound: 0
; FloatMode: 240
; IeeeMode: 1
; LDSByteSize: 2048 bytes/workgroup (compile time only)
; SGPRBlocks: 0
; VGPRBlocks: 5
; NumSGPRsForWavesPerEU: 38
; NumVGPRsForWavesPerEU: 46
; Occupancy: 16
; WaveLimiterHint : 1
; COMPUTE_PGM_RSRC2:SCRATCH_EN: 0
; COMPUTE_PGM_RSRC2:USER_SGPR: 6
; COMPUTE_PGM_RSRC2:TRAP_HANDLER: 0
; COMPUTE_PGM_RSRC2:TGID_X_EN: 1
; COMPUTE_PGM_RSRC2:TGID_Y_EN: 1
; COMPUTE_PGM_RSRC2:TGID_Z_EN: 1
; COMPUTE_PGM_RSRC2:TIDIG_COMP_CNT: 1
	.section	.text._ZN12_GLOBAL__N_135rocblas_gemm_batched_general_kernelIfLi16ELi16ELi32ELi32ELi8ELi32ELi8ELi8ELi32ELc78ELc78EKPK16rocblas_bfloat16KPKfKPfEEvlllT_PT11_llSC_llSA_PT12_llPT13_lli,"axG",@progbits,_ZN12_GLOBAL__N_135rocblas_gemm_batched_general_kernelIfLi16ELi16ELi32ELi32ELi8ELi32ELi8ELi8ELi32ELc78ELc78EKPK16rocblas_bfloat16KPKfKPfEEvlllT_PT11_llSC_llSA_PT12_llPT13_lli,comdat
	.globl	_ZN12_GLOBAL__N_135rocblas_gemm_batched_general_kernelIfLi16ELi16ELi32ELi32ELi8ELi32ELi8ELi8ELi32ELc78ELc78EKPK16rocblas_bfloat16KPKfKPfEEvlllT_PT11_llSC_llSA_PT12_llPT13_lli ; -- Begin function _ZN12_GLOBAL__N_135rocblas_gemm_batched_general_kernelIfLi16ELi16ELi32ELi32ELi8ELi32ELi8ELi8ELi32ELc78ELc78EKPK16rocblas_bfloat16KPKfKPfEEvlllT_PT11_llSC_llSA_PT12_llPT13_lli
	.p2align	8
	.type	_ZN12_GLOBAL__N_135rocblas_gemm_batched_general_kernelIfLi16ELi16ELi32ELi32ELi8ELi32ELi8ELi8ELi32ELc78ELc78EKPK16rocblas_bfloat16KPKfKPfEEvlllT_PT11_llSC_llSA_PT12_llPT13_lli,@function
_ZN12_GLOBAL__N_135rocblas_gemm_batched_general_kernelIfLi16ELi16ELi32ELi32ELi8ELi32ELi8ELi8ELi32ELc78ELc78EKPK16rocblas_bfloat16KPKfKPfEEvlllT_PT11_llSC_llSA_PT12_llPT13_lli: ; @_ZN12_GLOBAL__N_135rocblas_gemm_batched_general_kernelIfLi16ELi16ELi32ELi32ELi8ELi32ELi8ELi8ELi32ELc78ELc78EKPK16rocblas_bfloat16KPKfKPfEEvlllT_PT11_llSC_llSA_PT12_llPT13_lli
; %bb.0:
	s_clause 0x1
	s_load_dwordx8 s[12:19], s[4:5], 0x58
	s_load_dwordx2 s[36:37], s[4:5], 0x10
	s_mov_b32 s9, 0
	s_load_dwordx4 s[28:31], s[4:5], 0x0
	s_lshl_b64 s[40:41], s[8:9], 3
	s_load_dwordx4 s[8:11], s[4:5], 0x78
	s_mov_b32 s0, s7
	v_mov_b32_e32 v10, 0
	v_mov_b32_e32 v9, 0
	;; [unrolled: 1-line block ×4, first 2 shown]
	s_waitcnt lgkmcnt(0)
	s_add_u32 s2, s12, s40
	s_addc_u32 s3, s13, s41
	s_add_u32 s18, s18, s40
	s_addc_u32 s19, s19, s41
	s_load_dwordx2 s[12:13], s[2:3], 0x0
	s_load_dwordx2 s[34:35], s[18:19], 0x0
	v_cmp_lt_i64_e64 s2, s[36:37], 1
	s_ashr_i32 s7, s6, 31
	s_ashr_i32 s1, s0, 31
	s_lshl_b64 s[18:19], s[6:7], 5
	s_lshl_b64 s[38:39], s[0:1], 5
	s_and_b32 vcc_lo, exec_lo, s2
	s_cbranch_vccnz .LBB185_7
; %bb.1:
	s_clause 0x1
	s_load_dwordx4 s[0:3], s[4:5], 0x40
	s_load_dwordx8 s[20:27], s[4:5], 0x20
	v_lshl_add_u32 v2, v1, 4, v0
	v_mov_b32_e32 v3, s19
	v_and_b32_e32 v6, 7, v0
	v_mov_b32_e32 v7, 0
	v_lshlrev_b32_e32 v11, 2, v0
	v_lshrrev_b32_e32 v10, 3, v2
	v_lshrrev_b32_e32 v13, 5, v2
	v_and_b32_e32 v18, 31, v2
	v_lshlrev_b32_e32 v14, 2, v6
	v_lshl_add_u32 v12, v1, 5, 0x400
	v_add_co_u32 v4, s33, v10, s38
	v_add_co_ci_u32_e64 v5, null, 0, s39, s33
	v_or_b32_e32 v2, s18, v18
	v_lshlrev_b32_e32 v15, 2, v18
	v_lshl_or_b32 v10, v10, 5, v14
	s_waitcnt lgkmcnt(0)
	v_mul_lo_u32 v19, s1, v4
	v_mad_u64_u32 v[8:9], null, s22, v13, 0
	v_mul_lo_u32 v20, s0, v5
	v_mad_u64_u32 v[16:17], null, s0, v4, 0
	v_cmp_gt_i64_e64 s0, s[28:29], v[2:3]
	s_add_u32 s26, s26, s40
	s_addc_u32 s27, s27, s41
	v_mov_b32_e32 v2, v9
	s_add_u32 s20, s20, s40
	v_cmp_gt_i64_e64 s1, s[30:31], v[4:5]
	v_add3_u32 v17, v17, v20, v19
	s_load_dwordx2 s[26:27], s[26:27], 0x0
	v_mad_u64_u32 v[2:3], null, s23, v13, v[2:3]
	s_addc_u32 s21, s21, s41
	v_lshlrev_b64 v[3:4], 1, v[16:17]
	s_load_dwordx2 s[20:21], s[20:21], 0x0
	s_lshl_b64 s[2:3], s[2:3], 1
	v_lshl_or_b32 v14, v13, 7, v15
	v_add_nc_u32_e32 v15, 0x400, v10
	v_mov_b32_e32 v9, v2
	v_add_co_u32 v5, vcc_lo, v3, s2
	v_add_co_ci_u32_e64 v4, null, s3, v4, vcc_lo
	v_lshlrev_b64 v[2:3], 1, v[8:9]
	s_lshl_b64 s[2:3], s[6:7], 6
	s_lshl_b64 s[6:7], s[24:25], 1
	v_lshlrev_b32_e32 v8, 1, v6
	s_add_u32 s2, s6, s2
	s_addc_u32 s3, s7, s3
	v_add_co_u32 v2, vcc_lo, s2, v2
	v_lshlrev_b32_e32 v9, 1, v18
	v_add_co_ci_u32_e64 v3, null, s3, v3, vcc_lo
	v_add_co_u32 v5, vcc_lo, v5, v8
	v_add_co_ci_u32_e64 v4, null, 0, v4, vcc_lo
	v_add_co_u32 v8, vcc_lo, v2, v9
	v_add_co_ci_u32_e64 v9, null, 0, v3, vcc_lo
	s_waitcnt lgkmcnt(0)
	v_add_co_u32 v2, vcc_lo, s26, v5
	v_add_co_ci_u32_e64 v3, null, s27, v4, vcc_lo
	v_add_co_u32 v4, vcc_lo, s20, v8
	v_add_co_ci_u32_e64 v5, null, s21, v9, vcc_lo
	v_mov_b32_e32 v8, 0
	v_mov_b32_e32 v9, 0
	v_mov_b32_e32 v10, 0
	s_lshl_b64 s[2:3], s[22:23], 4
	s_mov_b64 s[6:7], 0
	s_branch .LBB185_3
.LBB185_2:                              ;   in Loop: Header=BB185_3 Depth=1
	s_or_b32 exec_lo, exec_lo, s20
	ds_write_b32 v15, v17
	s_waitcnt lgkmcnt(0)
	s_barrier
	buffer_gl0_inv
	ds_read_b128 v[16:19], v12
	ds_read2_b32 v[32:33], v11 offset1:16
	ds_read_b128 v[20:23], v12 offset:512
	ds_read2_b32 v[34:35], v11 offset0:32 offset1:48
	ds_read2_b32 v[36:37], v11 offset0:64 offset1:80
	;; [unrolled: 1-line block ×3, first 2 shown]
	ds_read_b128 v[24:27], v12 offset:16
	ds_read2_b32 v[40:41], v11 offset0:128 offset1:144
	ds_read_b128 v[28:31], v12 offset:528
	ds_read2_b32 v[42:43], v11 offset0:160 offset1:176
	s_add_u32 s6, s6, 8
	s_addc_u32 s7, s7, 0
	v_add_co_u32 v2, vcc_lo, v2, 16
	v_cmp_lt_i64_e64 s20, s[6:7], s[36:37]
	v_add_co_ci_u32_e64 v3, null, 0, v3, vcc_lo
	v_add_co_u32 v4, vcc_lo, v4, s2
	v_add_co_ci_u32_e64 v5, null, s3, v5, vcc_lo
	s_waitcnt lgkmcnt(8)
	v_fmac_f32_e32 v10, v32, v16
	v_fmac_f32_e32 v9, v33, v16
	s_waitcnt lgkmcnt(7)
	v_fmac_f32_e32 v8, v32, v20
	v_fmac_f32_e32 v7, v33, v20
	ds_read2_b32 v[32:33], v11 offset0:192 offset1:208
	s_waitcnt lgkmcnt(7)
	v_fmac_f32_e32 v10, v34, v17
	v_fmac_f32_e32 v9, v35, v17
	;; [unrolled: 1-line block ×4, first 2 shown]
	ds_read2_b32 v[16:17], v11 offset0:224 offset1:240
	s_waitcnt lgkmcnt(7)
	v_fmac_f32_e32 v10, v36, v18
	v_fmac_f32_e32 v9, v37, v18
	;; [unrolled: 1-line block ×4, first 2 shown]
	s_and_b32 vcc_lo, exec_lo, s20
	s_waitcnt lgkmcnt(6)
	v_fmac_f32_e32 v10, v38, v19
	v_fmac_f32_e32 v9, v39, v19
	;; [unrolled: 1-line block ×4, first 2 shown]
	s_waitcnt lgkmcnt(0)
	v_fmac_f32_e32 v10, v40, v24
	v_fmac_f32_e32 v9, v41, v24
	;; [unrolled: 1-line block ×4, first 2 shown]
	s_barrier
	v_fmac_f32_e32 v10, v42, v25
	v_fmac_f32_e32 v9, v43, v25
	;; [unrolled: 1-line block ×4, first 2 shown]
	buffer_gl0_inv
	v_fmac_f32_e32 v10, v32, v26
	v_fmac_f32_e32 v9, v33, v26
	;; [unrolled: 1-line block ×8, first 2 shown]
	s_cbranch_vccz .LBB185_7
.LBB185_3:                              ; =>This Inner Loop Header: Depth=1
	v_add_co_u32 v16, s20, v13, s6
	v_add_co_ci_u32_e64 v17, null, 0, s7, s20
	v_cmp_gt_i64_e32 vcc_lo, s[36:37], v[16:17]
	v_mov_b32_e32 v16, 0
	s_and_b32 s21, s0, vcc_lo
	s_and_saveexec_b32 s20, s21
	s_cbranch_execz .LBB185_5
; %bb.4:                                ;   in Loop: Header=BB185_3 Depth=1
	flat_load_ushort v16, v[4:5]
	s_waitcnt vmcnt(0) lgkmcnt(0)
	v_lshlrev_b32_e32 v16, 16, v16
.LBB185_5:                              ;   in Loop: Header=BB185_3 Depth=1
	s_or_b32 exec_lo, exec_lo, s20
	v_add_co_u32 v17, s20, v6, s6
	v_add_co_ci_u32_e64 v18, null, 0, s7, s20
	ds_write_b32 v14, v16
	v_cmp_gt_i64_e32 vcc_lo, s[36:37], v[17:18]
	v_mov_b32_e32 v17, 0
	s_and_b32 s21, vcc_lo, s1
	s_and_saveexec_b32 s20, s21
	s_cbranch_execz .LBB185_2
; %bb.6:                                ;   in Loop: Header=BB185_3 Depth=1
	flat_load_ushort v16, v[2:3]
	s_waitcnt vmcnt(0) lgkmcnt(0)
	v_lshlrev_b32_e32 v17, 16, v16
	s_branch .LBB185_2
.LBB185_7:
	s_clause 0x1
	s_load_dword s6, s[4:5], 0x50
	s_load_dword s3, s[4:5], 0x18
	v_add_co_u32 v1, s2, s38, v1
	v_add_co_ci_u32_e64 v2, null, s39, 0, s2
	s_lshl_b64 s[0:1], s[10:11], 2
	s_waitcnt lgkmcnt(0)
	s_add_u32 s4, s34, s0
	v_cmp_gt_i64_e64 s0, s[30:31], v[1:2]
	s_addc_u32 s5, s35, s1
	v_cmp_neq_f32_e64 s2, s6, 0
	s_and_b32 vcc_lo, exec_lo, s2
	s_cbranch_vccnz .LBB185_20
; %bb.8:
	s_and_saveexec_b32 s7, s0
	s_cbranch_execz .LBB185_18
; %bb.9:
	v_mul_lo_u32 v5, v2, s8
	v_mul_lo_u32 v6, v1, s9
	v_mad_u64_u32 v[3:4], null, v1, s8, 0
	v_add3_u32 v4, v4, v6, v5
	v_add_co_u32 v5, s1, s18, v0
	v_add_co_ci_u32_e64 v6, null, s19, 0, s1
	v_lshlrev_b64 v[11:12], 2, v[3:4]
	v_cmp_gt_i64_e32 vcc_lo, s[28:29], v[5:6]
	v_lshlrev_b64 v[3:4], 2, v[5:6]
	v_add_co_u32 v11, s1, s4, v11
	v_add_co_ci_u32_e64 v12, null, s5, v12, s1
	s_and_saveexec_b32 s2, vcc_lo
	s_cbranch_execz .LBB185_11
; %bb.10:
	v_add_co_u32 v13, s1, v11, v3
	v_add_co_ci_u32_e64 v14, null, v12, v4, s1
	v_mul_f32_e32 v15, s3, v10
	flat_store_dword v[13:14], v15
.LBB185_11:
	s_or_b32 exec_lo, exec_lo, s2
	v_add_co_u32 v5, s1, v5, 16
	v_add_co_ci_u32_e64 v6, null, 0, v6, s1
	v_cmp_gt_i64_e64 s1, s[28:29], v[5:6]
	s_and_saveexec_b32 s10, s1
	s_cbranch_execz .LBB185_13
; %bb.12:
	v_add_co_u32 v5, s2, v11, v3
	v_add_co_ci_u32_e64 v6, null, v12, v4, s2
	v_mul_f32_e32 v13, s3, v9
	flat_store_dword v[5:6], v13 offset:64
.LBB185_13:
	s_or_b32 exec_lo, exec_lo, s10
	v_add_co_u32 v5, s2, v1, 16
	v_add_co_ci_u32_e64 v6, null, 0, v2, s2
	v_cmp_gt_i64_e64 s2, s[30:31], v[5:6]
	s_and_b32 exec_lo, exec_lo, s2
	s_cbranch_execz .LBB185_18
; %bb.14:
	s_lshl_b64 s[10:11], s[8:9], 6
	v_add_co_u32 v5, s2, v11, s10
	v_add_co_ci_u32_e64 v6, null, s11, v12, s2
	v_add_co_u32 v3, s2, v5, v3
	v_add_co_ci_u32_e64 v4, null, v6, v4, s2
	s_and_saveexec_b32 s2, vcc_lo
	s_cbranch_execz .LBB185_16
; %bb.15:
	v_mul_f32_e32 v5, s3, v8
	flat_store_dword v[3:4], v5
.LBB185_16:
	s_or_b32 exec_lo, exec_lo, s2
	s_and_b32 exec_lo, exec_lo, s1
	s_cbranch_execz .LBB185_18
; %bb.17:
	v_mul_f32_e32 v5, s3, v7
	flat_store_dword v[3:4], v5 offset:64
.LBB185_18:
	s_or_b32 exec_lo, exec_lo, s7
	s_cbranch_execz .LBB185_21
.LBB185_19:
	s_endpgm
.LBB185_20:
.LBB185_21:
	s_and_saveexec_b32 s1, s0
	s_cbranch_execz .LBB185_19
; %bb.22:
	v_mul_lo_u32 v5, v2, s14
	v_mul_lo_u32 v6, v1, s15
	v_mad_u64_u32 v[3:4], null, v1, s14, 0
	v_mul_lo_u32 v13, v2, s8
	v_mul_lo_u32 v14, v1, s9
	v_mad_u64_u32 v[11:12], null, v1, s8, 0
	s_lshl_b64 s[0:1], s[16:17], 2
	v_add3_u32 v4, v4, v6, v5
	v_add_co_u32 v5, s2, s18, v0
	v_add_co_ci_u32_e64 v6, null, s19, 0, s2
	v_add3_u32 v12, v12, v14, v13
	v_lshlrev_b64 v[3:4], 2, v[3:4]
	s_add_u32 s0, s12, s0
	s_addc_u32 s1, s13, s1
	v_cmp_gt_i64_e32 vcc_lo, s[28:29], v[5:6]
	v_lshlrev_b64 v[12:13], 2, v[11:12]
	v_add_co_u32 v0, s0, s0, v3
	v_add_co_ci_u32_e64 v11, null, s1, v4, s0
	v_add_co_u32 v12, s0, s4, v12
	v_lshlrev_b64 v[3:4], 2, v[5:6]
	v_add_co_ci_u32_e64 v13, null, s5, v13, s0
	s_and_saveexec_b32 s1, vcc_lo
	s_cbranch_execz .LBB185_24
; %bb.23:
	v_add_co_u32 v14, s0, v0, v3
	v_add_co_ci_u32_e64 v15, null, v11, v4, s0
	flat_load_dword v14, v[14:15]
	s_waitcnt vmcnt(0) lgkmcnt(0)
	v_mul_f32_e32 v16, s6, v14
	v_add_co_u32 v14, s0, v12, v3
	v_add_co_ci_u32_e64 v15, null, v13, v4, s0
	v_fmac_f32_e32 v16, s3, v10
	flat_store_dword v[14:15], v16
.LBB185_24:
	s_or_b32 exec_lo, exec_lo, s1
	v_add_co_u32 v5, s0, v5, 16
	v_add_co_ci_u32_e64 v6, null, 0, v6, s0
	v_cmp_gt_i64_e64 s0, s[28:29], v[5:6]
	s_and_saveexec_b32 s2, s0
	s_cbranch_execz .LBB185_26
; %bb.25:
	v_add_co_u32 v5, s1, v0, v3
	v_add_co_ci_u32_e64 v6, null, v11, v4, s1
	flat_load_dword v5, v[5:6] offset:64
	s_waitcnt vmcnt(0) lgkmcnt(0)
	v_mul_f32_e32 v10, s6, v5
	v_add_co_u32 v5, s1, v12, v3
	v_add_co_ci_u32_e64 v6, null, v13, v4, s1
	v_fmac_f32_e32 v10, s3, v9
	flat_store_dword v[5:6], v10 offset:64
.LBB185_26:
	s_or_b32 exec_lo, exec_lo, s2
	v_add_co_u32 v1, s1, v1, 16
	v_add_co_ci_u32_e64 v2, null, 0, v2, s1
	v_cmp_gt_i64_e64 s1, s[30:31], v[1:2]
	s_and_b32 exec_lo, exec_lo, s1
	s_cbranch_execz .LBB185_19
; %bb.27:
	s_lshl_b64 s[4:5], s[14:15], 6
	v_add_co_u32 v0, s1, v0, s4
	v_add_co_ci_u32_e64 v1, null, s5, v11, s1
	s_lshl_b64 s[4:5], s[8:9], 6
	v_add_co_u32 v2, s1, v12, s4
	v_add_co_ci_u32_e64 v5, null, s5, v13, s1
	v_add_co_u32 v0, s1, v0, v3
	v_add_co_ci_u32_e64 v1, null, v1, v4, s1
	;; [unrolled: 2-line block ×3, first 2 shown]
	s_and_saveexec_b32 s1, vcc_lo
	s_cbranch_execz .LBB185_29
; %bb.28:
	flat_load_dword v4, v[0:1]
	s_waitcnt vmcnt(0) lgkmcnt(0)
	v_mul_f32_e32 v4, s6, v4
	v_fmac_f32_e32 v4, s3, v8
	flat_store_dword v[2:3], v4
.LBB185_29:
	s_or_b32 exec_lo, exec_lo, s1
	s_and_b32 exec_lo, exec_lo, s0
	s_cbranch_execz .LBB185_19
; %bb.30:
	flat_load_dword v0, v[0:1] offset:64
	s_waitcnt vmcnt(0) lgkmcnt(0)
	v_mul_f32_e32 v0, s6, v0
	v_fmac_f32_e32 v0, s3, v7
	flat_store_dword v[2:3], v0 offset:64
	s_endpgm
	.section	.rodata,"a",@progbits
	.p2align	6, 0x0
	.amdhsa_kernel _ZN12_GLOBAL__N_135rocblas_gemm_batched_general_kernelIfLi16ELi16ELi32ELi32ELi8ELi32ELi8ELi8ELi32ELc78ELc78EKPK16rocblas_bfloat16KPKfKPfEEvlllT_PT11_llSC_llSA_PT12_llPT13_lli
		.amdhsa_group_segment_fixed_size 2048
		.amdhsa_private_segment_fixed_size 0
		.amdhsa_kernarg_size 140
		.amdhsa_user_sgpr_count 6
		.amdhsa_user_sgpr_private_segment_buffer 1
		.amdhsa_user_sgpr_dispatch_ptr 0
		.amdhsa_user_sgpr_queue_ptr 0
		.amdhsa_user_sgpr_kernarg_segment_ptr 1
		.amdhsa_user_sgpr_dispatch_id 0
		.amdhsa_user_sgpr_flat_scratch_init 0
		.amdhsa_user_sgpr_private_segment_size 0
		.amdhsa_wavefront_size32 1
		.amdhsa_uses_dynamic_stack 0
		.amdhsa_system_sgpr_private_segment_wavefront_offset 0
		.amdhsa_system_sgpr_workgroup_id_x 1
		.amdhsa_system_sgpr_workgroup_id_y 1
		.amdhsa_system_sgpr_workgroup_id_z 1
		.amdhsa_system_sgpr_workgroup_info 0
		.amdhsa_system_vgpr_workitem_id 1
		.amdhsa_next_free_vgpr 44
		.amdhsa_next_free_sgpr 42
		.amdhsa_reserve_vcc 1
		.amdhsa_reserve_flat_scratch 0
		.amdhsa_float_round_mode_32 0
		.amdhsa_float_round_mode_16_64 0
		.amdhsa_float_denorm_mode_32 3
		.amdhsa_float_denorm_mode_16_64 3
		.amdhsa_dx10_clamp 1
		.amdhsa_ieee_mode 1
		.amdhsa_fp16_overflow 0
		.amdhsa_workgroup_processor_mode 1
		.amdhsa_memory_ordered 1
		.amdhsa_forward_progress 1
		.amdhsa_shared_vgpr_count 0
		.amdhsa_exception_fp_ieee_invalid_op 0
		.amdhsa_exception_fp_denorm_src 0
		.amdhsa_exception_fp_ieee_div_zero 0
		.amdhsa_exception_fp_ieee_overflow 0
		.amdhsa_exception_fp_ieee_underflow 0
		.amdhsa_exception_fp_ieee_inexact 0
		.amdhsa_exception_int_div_zero 0
	.end_amdhsa_kernel
	.section	.text._ZN12_GLOBAL__N_135rocblas_gemm_batched_general_kernelIfLi16ELi16ELi32ELi32ELi8ELi32ELi8ELi8ELi32ELc78ELc78EKPK16rocblas_bfloat16KPKfKPfEEvlllT_PT11_llSC_llSA_PT12_llPT13_lli,"axG",@progbits,_ZN12_GLOBAL__N_135rocblas_gemm_batched_general_kernelIfLi16ELi16ELi32ELi32ELi8ELi32ELi8ELi8ELi32ELc78ELc78EKPK16rocblas_bfloat16KPKfKPfEEvlllT_PT11_llSC_llSA_PT12_llPT13_lli,comdat
.Lfunc_end185:
	.size	_ZN12_GLOBAL__N_135rocblas_gemm_batched_general_kernelIfLi16ELi16ELi32ELi32ELi8ELi32ELi8ELi8ELi32ELc78ELc78EKPK16rocblas_bfloat16KPKfKPfEEvlllT_PT11_llSC_llSA_PT12_llPT13_lli, .Lfunc_end185-_ZN12_GLOBAL__N_135rocblas_gemm_batched_general_kernelIfLi16ELi16ELi32ELi32ELi8ELi32ELi8ELi8ELi32ELc78ELc78EKPK16rocblas_bfloat16KPKfKPfEEvlllT_PT11_llSC_llSA_PT12_llPT13_lli
                                        ; -- End function
	.set _ZN12_GLOBAL__N_135rocblas_gemm_batched_general_kernelIfLi16ELi16ELi32ELi32ELi8ELi32ELi8ELi8ELi32ELc78ELc78EKPK16rocblas_bfloat16KPKfKPfEEvlllT_PT11_llSC_llSA_PT12_llPT13_lli.num_vgpr, 44
	.set _ZN12_GLOBAL__N_135rocblas_gemm_batched_general_kernelIfLi16ELi16ELi32ELi32ELi8ELi32ELi8ELi8ELi32ELc78ELc78EKPK16rocblas_bfloat16KPKfKPfEEvlllT_PT11_llSC_llSA_PT12_llPT13_lli.num_agpr, 0
	.set _ZN12_GLOBAL__N_135rocblas_gemm_batched_general_kernelIfLi16ELi16ELi32ELi32ELi8ELi32ELi8ELi8ELi32ELc78ELc78EKPK16rocblas_bfloat16KPKfKPfEEvlllT_PT11_llSC_llSA_PT12_llPT13_lli.numbered_sgpr, 42
	.set _ZN12_GLOBAL__N_135rocblas_gemm_batched_general_kernelIfLi16ELi16ELi32ELi32ELi8ELi32ELi8ELi8ELi32ELc78ELc78EKPK16rocblas_bfloat16KPKfKPfEEvlllT_PT11_llSC_llSA_PT12_llPT13_lli.num_named_barrier, 0
	.set _ZN12_GLOBAL__N_135rocblas_gemm_batched_general_kernelIfLi16ELi16ELi32ELi32ELi8ELi32ELi8ELi8ELi32ELc78ELc78EKPK16rocblas_bfloat16KPKfKPfEEvlllT_PT11_llSC_llSA_PT12_llPT13_lli.private_seg_size, 0
	.set _ZN12_GLOBAL__N_135rocblas_gemm_batched_general_kernelIfLi16ELi16ELi32ELi32ELi8ELi32ELi8ELi8ELi32ELc78ELc78EKPK16rocblas_bfloat16KPKfKPfEEvlllT_PT11_llSC_llSA_PT12_llPT13_lli.uses_vcc, 1
	.set _ZN12_GLOBAL__N_135rocblas_gemm_batched_general_kernelIfLi16ELi16ELi32ELi32ELi8ELi32ELi8ELi8ELi32ELc78ELc78EKPK16rocblas_bfloat16KPKfKPfEEvlllT_PT11_llSC_llSA_PT12_llPT13_lli.uses_flat_scratch, 0
	.set _ZN12_GLOBAL__N_135rocblas_gemm_batched_general_kernelIfLi16ELi16ELi32ELi32ELi8ELi32ELi8ELi8ELi32ELc78ELc78EKPK16rocblas_bfloat16KPKfKPfEEvlllT_PT11_llSC_llSA_PT12_llPT13_lli.has_dyn_sized_stack, 0
	.set _ZN12_GLOBAL__N_135rocblas_gemm_batched_general_kernelIfLi16ELi16ELi32ELi32ELi8ELi32ELi8ELi8ELi32ELc78ELc78EKPK16rocblas_bfloat16KPKfKPfEEvlllT_PT11_llSC_llSA_PT12_llPT13_lli.has_recursion, 0
	.set _ZN12_GLOBAL__N_135rocblas_gemm_batched_general_kernelIfLi16ELi16ELi32ELi32ELi8ELi32ELi8ELi8ELi32ELc78ELc78EKPK16rocblas_bfloat16KPKfKPfEEvlllT_PT11_llSC_llSA_PT12_llPT13_lli.has_indirect_call, 0
	.section	.AMDGPU.csdata,"",@progbits
; Kernel info:
; codeLenInByte = 1900
; TotalNumSgprs: 44
; NumVgprs: 44
; ScratchSize: 0
; MemoryBound: 0
; FloatMode: 240
; IeeeMode: 1
; LDSByteSize: 2048 bytes/workgroup (compile time only)
; SGPRBlocks: 0
; VGPRBlocks: 5
; NumSGPRsForWavesPerEU: 44
; NumVGPRsForWavesPerEU: 44
; Occupancy: 16
; WaveLimiterHint : 1
; COMPUTE_PGM_RSRC2:SCRATCH_EN: 0
; COMPUTE_PGM_RSRC2:USER_SGPR: 6
; COMPUTE_PGM_RSRC2:TRAP_HANDLER: 0
; COMPUTE_PGM_RSRC2:TGID_X_EN: 1
; COMPUTE_PGM_RSRC2:TGID_Y_EN: 1
; COMPUTE_PGM_RSRC2:TGID_Z_EN: 1
; COMPUTE_PGM_RSRC2:TIDIG_COMP_CNT: 1
	.section	.text._ZN12_GLOBAL__N_135rocblas_gemm_batched_general_kernelIfLi16ELi16ELi32ELi32ELi8ELi32ELi8ELi8ELi32ELc84ELc78EKPK16rocblas_bfloat16KPKfKPfEEvlllT_PT11_llSC_llSA_PT12_llPT13_lli,"axG",@progbits,_ZN12_GLOBAL__N_135rocblas_gemm_batched_general_kernelIfLi16ELi16ELi32ELi32ELi8ELi32ELi8ELi8ELi32ELc84ELc78EKPK16rocblas_bfloat16KPKfKPfEEvlllT_PT11_llSC_llSA_PT12_llPT13_lli,comdat
	.globl	_ZN12_GLOBAL__N_135rocblas_gemm_batched_general_kernelIfLi16ELi16ELi32ELi32ELi8ELi32ELi8ELi8ELi32ELc84ELc78EKPK16rocblas_bfloat16KPKfKPfEEvlllT_PT11_llSC_llSA_PT12_llPT13_lli ; -- Begin function _ZN12_GLOBAL__N_135rocblas_gemm_batched_general_kernelIfLi16ELi16ELi32ELi32ELi8ELi32ELi8ELi8ELi32ELc84ELc78EKPK16rocblas_bfloat16KPKfKPfEEvlllT_PT11_llSC_llSA_PT12_llPT13_lli
	.p2align	8
	.type	_ZN12_GLOBAL__N_135rocblas_gemm_batched_general_kernelIfLi16ELi16ELi32ELi32ELi8ELi32ELi8ELi8ELi32ELc84ELc78EKPK16rocblas_bfloat16KPKfKPfEEvlllT_PT11_llSC_llSA_PT12_llPT13_lli,@function
_ZN12_GLOBAL__N_135rocblas_gemm_batched_general_kernelIfLi16ELi16ELi32ELi32ELi8ELi32ELi8ELi8ELi32ELc84ELc78EKPK16rocblas_bfloat16KPKfKPfEEvlllT_PT11_llSC_llSA_PT12_llPT13_lli: ; @_ZN12_GLOBAL__N_135rocblas_gemm_batched_general_kernelIfLi16ELi16ELi32ELi32ELi8ELi32ELi8ELi8ELi32ELc84ELc78EKPK16rocblas_bfloat16KPKfKPfEEvlllT_PT11_llSC_llSA_PT12_llPT13_lli
; %bb.0:
	s_clause 0x1
	s_load_dwordx8 s[12:19], s[4:5], 0x58
	s_load_dwordx2 s[34:35], s[4:5], 0x10
	s_mov_b32 s9, 0
	s_load_dwordx4 s[28:31], s[4:5], 0x0
	s_lshl_b64 s[38:39], s[8:9], 3
	s_load_dwordx4 s[8:11], s[4:5], 0x78
	s_mov_b32 s0, s7
	v_mov_b32_e32 v10, 0
	v_mov_b32_e32 v9, 0
	;; [unrolled: 1-line block ×4, first 2 shown]
	s_waitcnt lgkmcnt(0)
	s_add_u32 s2, s12, s38
	s_addc_u32 s3, s13, s39
	s_add_u32 s18, s18, s38
	s_addc_u32 s19, s19, s39
	s_load_dwordx2 s[12:13], s[2:3], 0x0
	s_load_dwordx2 s[18:19], s[18:19], 0x0
	v_cmp_lt_i64_e64 s2, s[34:35], 1
	s_ashr_i32 s7, s6, 31
	s_ashr_i32 s1, s0, 31
	s_lshl_b64 s[6:7], s[6:7], 5
	s_lshl_b64 s[36:37], s[0:1], 5
	s_and_b32 vcc_lo, exec_lo, s2
	s_cbranch_vccnz .LBB186_7
; %bb.1:
	s_clause 0x1
	s_load_dwordx8 s[20:27], s[4:5], 0x20
	s_load_dwordx4 s[0:3], s[4:5], 0x40
	v_lshl_add_u32 v2, v1, 4, v0
	v_mov_b32_e32 v3, s7
	v_and_b32_e32 v6, 7, v0
	v_mov_b32_e32 v7, 0
	v_lshrrev_b32_e32 v10, 3, v2
	v_and_b32_e32 v8, 31, v2
	v_lshrrev_b32_e32 v11, 5, v2
	v_lshlrev_b32_e32 v12, 2, v6
	v_add_co_u32 v4, s33, v10, s36
	v_add_co_ci_u32_e64 v5, null, 0, s37, s33
	v_or_b32_e32 v2, s6, v8
	v_lshlrev_b32_e32 v13, 2, v8
	v_lshl_or_b32 v10, v10, 5, v12
	s_waitcnt lgkmcnt(0)
	s_add_u32 s26, s26, s38
	v_mul_lo_u32 v14, s1, v4
	v_add_co_u32 v15, s1, s6, v8
	v_add_co_ci_u32_e64 v16, null, s7, 0, s1
	v_mul_lo_u32 v18, s0, v5
	v_mad_u64_u32 v[8:9], null, s0, v4, 0
	v_mul_lo_u32 v19, s23, v15
	v_mul_lo_u32 v20, s22, v16
	v_mad_u64_u32 v[16:17], null, s22, v15, 0
	s_addc_u32 s27, s27, s39
	s_add_u32 s20, s20, s38
	v_add3_u32 v9, v9, v18, v14
	s_load_dwordx2 s[26:27], s[26:27], 0x0
	s_addc_u32 s21, s21, s39
	v_cmp_gt_i64_e64 s0, s[28:29], v[2:3]
	v_add3_u32 v17, v17, v20, v19
	s_load_dwordx2 s[20:21], s[20:21], 0x0
	v_lshlrev_b64 v[2:3], 1, v[8:9]
	v_cmp_gt_i64_e64 s1, s[30:31], v[4:5]
	s_lshl_b64 s[2:3], s[2:3], 1
	v_lshlrev_b64 v[4:5], 1, v[16:17]
	v_lshlrev_b32_e32 v8, 1, v6
	v_lshlrev_b32_e32 v9, 1, v11
	v_add_co_u32 v2, vcc_lo, v2, s2
	v_add_co_ci_u32_e64 v3, null, s3, v3, vcc_lo
	s_lshl_b64 s[2:3], s[24:25], 1
	v_lshl_or_b32 v12, v11, 7, v13
	v_add_co_u32 v4, vcc_lo, v4, s2
	v_add_co_ci_u32_e64 v5, null, s3, v5, vcc_lo
	v_add_co_u32 v2, vcc_lo, v2, v8
	v_add_co_ci_u32_e64 v3, null, 0, v3, vcc_lo
	;; [unrolled: 2-line block ×3, first 2 shown]
	s_waitcnt lgkmcnt(0)
	v_add_co_u32 v2, vcc_lo, s26, v2
	v_add_co_ci_u32_e64 v3, null, s27, v3, vcc_lo
	v_add_co_u32 v4, vcc_lo, s20, v4
	v_add_nc_u32_e32 v13, 0x400, v10
	v_lshlrev_b32_e32 v14, 2, v0
	v_lshl_add_u32 v15, v1, 5, 0x400
	v_add_co_ci_u32_e64 v5, null, s21, v5, vcc_lo
	v_mov_b32_e32 v8, 0
	v_mov_b32_e32 v9, 0
	;; [unrolled: 1-line block ×3, first 2 shown]
	s_mov_b64 s[2:3], 0
	s_branch .LBB186_3
.LBB186_2:                              ;   in Loop: Header=BB186_3 Depth=1
	s_or_b32 exec_lo, exec_lo, s20
	ds_write_b32 v13, v17
	s_waitcnt lgkmcnt(0)
	s_barrier
	buffer_gl0_inv
	ds_read_b128 v[16:19], v15
	ds_read2_b32 v[32:33], v14 offset1:16
	ds_read_b128 v[20:23], v15 offset:512
	ds_read2_b32 v[34:35], v14 offset0:32 offset1:48
	ds_read2_b32 v[36:37], v14 offset0:64 offset1:80
	;; [unrolled: 1-line block ×3, first 2 shown]
	ds_read_b128 v[24:27], v15 offset:16
	ds_read2_b32 v[40:41], v14 offset0:128 offset1:144
	ds_read_b128 v[28:31], v15 offset:528
	ds_read2_b32 v[42:43], v14 offset0:160 offset1:176
	s_add_u32 s2, s2, 8
	s_addc_u32 s3, s3, 0
	v_add_co_u32 v2, vcc_lo, v2, 16
	v_cmp_lt_i64_e64 s20, s[2:3], s[34:35]
	v_add_co_ci_u32_e64 v3, null, 0, v3, vcc_lo
	v_add_co_u32 v4, vcc_lo, v4, 16
	v_add_co_ci_u32_e64 v5, null, 0, v5, vcc_lo
	s_waitcnt lgkmcnt(8)
	v_fmac_f32_e32 v10, v32, v16
	v_fmac_f32_e32 v9, v33, v16
	s_waitcnt lgkmcnt(7)
	v_fmac_f32_e32 v8, v32, v20
	v_fmac_f32_e32 v7, v33, v20
	ds_read2_b32 v[32:33], v14 offset0:192 offset1:208
	s_waitcnt lgkmcnt(7)
	v_fmac_f32_e32 v10, v34, v17
	v_fmac_f32_e32 v9, v35, v17
	;; [unrolled: 1-line block ×4, first 2 shown]
	ds_read2_b32 v[16:17], v14 offset0:224 offset1:240
	s_waitcnt lgkmcnt(7)
	v_fmac_f32_e32 v10, v36, v18
	v_fmac_f32_e32 v9, v37, v18
	;; [unrolled: 1-line block ×4, first 2 shown]
	s_and_b32 vcc_lo, exec_lo, s20
	s_waitcnt lgkmcnt(6)
	v_fmac_f32_e32 v10, v38, v19
	v_fmac_f32_e32 v9, v39, v19
	;; [unrolled: 1-line block ×4, first 2 shown]
	s_waitcnt lgkmcnt(0)
	v_fmac_f32_e32 v10, v40, v24
	v_fmac_f32_e32 v9, v41, v24
	;; [unrolled: 1-line block ×4, first 2 shown]
	s_barrier
	v_fmac_f32_e32 v10, v42, v25
	v_fmac_f32_e32 v9, v43, v25
	;; [unrolled: 1-line block ×4, first 2 shown]
	buffer_gl0_inv
	v_fmac_f32_e32 v10, v32, v26
	v_fmac_f32_e32 v9, v33, v26
	;; [unrolled: 1-line block ×8, first 2 shown]
	s_cbranch_vccz .LBB186_7
.LBB186_3:                              ; =>This Inner Loop Header: Depth=1
	v_add_co_u32 v16, s20, v11, s2
	v_add_co_ci_u32_e64 v17, null, 0, s3, s20
	v_cmp_gt_i64_e32 vcc_lo, s[34:35], v[16:17]
	v_mov_b32_e32 v16, 0
	s_and_b32 s21, s0, vcc_lo
	s_and_saveexec_b32 s20, s21
	s_cbranch_execz .LBB186_5
; %bb.4:                                ;   in Loop: Header=BB186_3 Depth=1
	flat_load_ushort v16, v[4:5]
	s_waitcnt vmcnt(0) lgkmcnt(0)
	v_lshlrev_b32_e32 v16, 16, v16
.LBB186_5:                              ;   in Loop: Header=BB186_3 Depth=1
	s_or_b32 exec_lo, exec_lo, s20
	v_add_co_u32 v17, s20, v6, s2
	v_add_co_ci_u32_e64 v18, null, 0, s3, s20
	ds_write_b32 v12, v16
	v_cmp_gt_i64_e32 vcc_lo, s[34:35], v[17:18]
	v_mov_b32_e32 v17, 0
	s_and_b32 s21, vcc_lo, s1
	s_and_saveexec_b32 s20, s21
	s_cbranch_execz .LBB186_2
; %bb.6:                                ;   in Loop: Header=BB186_3 Depth=1
	flat_load_ushort v16, v[2:3]
	s_waitcnt vmcnt(0) lgkmcnt(0)
	v_lshlrev_b32_e32 v17, 16, v16
	s_branch .LBB186_2
.LBB186_7:
	s_clause 0x1
	s_load_dword s20, s[4:5], 0x50
	s_load_dword s3, s[4:5], 0x18
	v_add_co_u32 v1, s2, s36, v1
	v_add_co_ci_u32_e64 v2, null, s37, 0, s2
	s_lshl_b64 s[0:1], s[10:11], 2
	s_waitcnt lgkmcnt(0)
	s_add_u32 s4, s18, s0
	v_cmp_gt_i64_e64 s0, s[30:31], v[1:2]
	s_addc_u32 s5, s19, s1
	v_cmp_neq_f32_e64 s2, s20, 0
	s_and_b32 vcc_lo, exec_lo, s2
	s_cbranch_vccnz .LBB186_20
; %bb.8:
	s_and_saveexec_b32 s10, s0
	s_cbranch_execz .LBB186_18
; %bb.9:
	v_mul_lo_u32 v5, v2, s8
	v_mul_lo_u32 v6, v1, s9
	v_mad_u64_u32 v[3:4], null, v1, s8, 0
	v_add3_u32 v4, v4, v6, v5
	v_add_co_u32 v5, s1, s6, v0
	v_add_co_ci_u32_e64 v6, null, s7, 0, s1
	v_lshlrev_b64 v[11:12], 2, v[3:4]
	v_cmp_gt_i64_e32 vcc_lo, s[28:29], v[5:6]
	v_lshlrev_b64 v[3:4], 2, v[5:6]
	v_add_co_u32 v11, s1, s4, v11
	v_add_co_ci_u32_e64 v12, null, s5, v12, s1
	s_and_saveexec_b32 s2, vcc_lo
	s_cbranch_execz .LBB186_11
; %bb.10:
	v_add_co_u32 v13, s1, v11, v3
	v_add_co_ci_u32_e64 v14, null, v12, v4, s1
	v_mul_f32_e32 v15, s3, v10
	flat_store_dword v[13:14], v15
.LBB186_11:
	s_or_b32 exec_lo, exec_lo, s2
	v_add_co_u32 v5, s1, v5, 16
	v_add_co_ci_u32_e64 v6, null, 0, v6, s1
	v_cmp_gt_i64_e64 s1, s[28:29], v[5:6]
	s_and_saveexec_b32 s11, s1
	s_cbranch_execz .LBB186_13
; %bb.12:
	v_add_co_u32 v5, s2, v11, v3
	v_add_co_ci_u32_e64 v6, null, v12, v4, s2
	v_mul_f32_e32 v13, s3, v9
	flat_store_dword v[5:6], v13 offset:64
.LBB186_13:
	s_or_b32 exec_lo, exec_lo, s11
	v_add_co_u32 v5, s2, v1, 16
	v_add_co_ci_u32_e64 v6, null, 0, v2, s2
	v_cmp_gt_i64_e64 s2, s[30:31], v[5:6]
	s_and_b32 exec_lo, exec_lo, s2
	s_cbranch_execz .LBB186_18
; %bb.14:
	s_lshl_b64 s[18:19], s[8:9], 6
	v_add_co_u32 v5, s2, v11, s18
	v_add_co_ci_u32_e64 v6, null, s19, v12, s2
	v_add_co_u32 v3, s2, v5, v3
	v_add_co_ci_u32_e64 v4, null, v6, v4, s2
	s_and_saveexec_b32 s2, vcc_lo
	s_cbranch_execz .LBB186_16
; %bb.15:
	v_mul_f32_e32 v5, s3, v8
	flat_store_dword v[3:4], v5
.LBB186_16:
	s_or_b32 exec_lo, exec_lo, s2
	s_and_b32 exec_lo, exec_lo, s1
	s_cbranch_execz .LBB186_18
; %bb.17:
	v_mul_f32_e32 v5, s3, v7
	flat_store_dword v[3:4], v5 offset:64
.LBB186_18:
	s_or_b32 exec_lo, exec_lo, s10
	s_cbranch_execz .LBB186_21
.LBB186_19:
	s_endpgm
.LBB186_20:
.LBB186_21:
	s_and_saveexec_b32 s1, s0
	s_cbranch_execz .LBB186_19
; %bb.22:
	v_mul_lo_u32 v5, v2, s14
	v_mul_lo_u32 v6, v1, s15
	v_mad_u64_u32 v[3:4], null, v1, s14, 0
	v_mul_lo_u32 v13, v2, s8
	v_mul_lo_u32 v14, v1, s9
	v_mad_u64_u32 v[11:12], null, v1, s8, 0
	s_lshl_b64 s[0:1], s[16:17], 2
	v_add3_u32 v4, v4, v6, v5
	v_add_co_u32 v5, s2, s6, v0
	v_add_co_ci_u32_e64 v6, null, s7, 0, s2
	v_add3_u32 v12, v12, v14, v13
	v_lshlrev_b64 v[3:4], 2, v[3:4]
	s_add_u32 s0, s12, s0
	s_addc_u32 s1, s13, s1
	v_cmp_gt_i64_e32 vcc_lo, s[28:29], v[5:6]
	v_lshlrev_b64 v[12:13], 2, v[11:12]
	v_add_co_u32 v0, s0, s0, v3
	v_add_co_ci_u32_e64 v11, null, s1, v4, s0
	v_add_co_u32 v12, s0, s4, v12
	v_lshlrev_b64 v[3:4], 2, v[5:6]
	v_add_co_ci_u32_e64 v13, null, s5, v13, s0
	s_and_saveexec_b32 s1, vcc_lo
	s_cbranch_execz .LBB186_24
; %bb.23:
	v_add_co_u32 v14, s0, v0, v3
	v_add_co_ci_u32_e64 v15, null, v11, v4, s0
	flat_load_dword v14, v[14:15]
	s_waitcnt vmcnt(0) lgkmcnt(0)
	v_mul_f32_e32 v16, s20, v14
	v_add_co_u32 v14, s0, v12, v3
	v_add_co_ci_u32_e64 v15, null, v13, v4, s0
	v_fmac_f32_e32 v16, s3, v10
	flat_store_dword v[14:15], v16
.LBB186_24:
	s_or_b32 exec_lo, exec_lo, s1
	v_add_co_u32 v5, s0, v5, 16
	v_add_co_ci_u32_e64 v6, null, 0, v6, s0
	v_cmp_gt_i64_e64 s0, s[28:29], v[5:6]
	s_and_saveexec_b32 s2, s0
	s_cbranch_execz .LBB186_26
; %bb.25:
	v_add_co_u32 v5, s1, v0, v3
	v_add_co_ci_u32_e64 v6, null, v11, v4, s1
	flat_load_dword v5, v[5:6] offset:64
	s_waitcnt vmcnt(0) lgkmcnt(0)
	v_mul_f32_e32 v10, s20, v5
	v_add_co_u32 v5, s1, v12, v3
	v_add_co_ci_u32_e64 v6, null, v13, v4, s1
	v_fmac_f32_e32 v10, s3, v9
	flat_store_dword v[5:6], v10 offset:64
.LBB186_26:
	s_or_b32 exec_lo, exec_lo, s2
	v_add_co_u32 v1, s1, v1, 16
	v_add_co_ci_u32_e64 v2, null, 0, v2, s1
	v_cmp_gt_i64_e64 s1, s[30:31], v[1:2]
	s_and_b32 exec_lo, exec_lo, s1
	s_cbranch_execz .LBB186_19
; %bb.27:
	s_lshl_b64 s[4:5], s[14:15], 6
	v_add_co_u32 v0, s1, v0, s4
	v_add_co_ci_u32_e64 v1, null, s5, v11, s1
	s_lshl_b64 s[4:5], s[8:9], 6
	v_add_co_u32 v2, s1, v12, s4
	v_add_co_ci_u32_e64 v5, null, s5, v13, s1
	v_add_co_u32 v0, s1, v0, v3
	v_add_co_ci_u32_e64 v1, null, v1, v4, s1
	;; [unrolled: 2-line block ×3, first 2 shown]
	s_and_saveexec_b32 s1, vcc_lo
	s_cbranch_execz .LBB186_29
; %bb.28:
	flat_load_dword v4, v[0:1]
	s_waitcnt vmcnt(0) lgkmcnt(0)
	v_mul_f32_e32 v4, s20, v4
	v_fmac_f32_e32 v4, s3, v8
	flat_store_dword v[2:3], v4
.LBB186_29:
	s_or_b32 exec_lo, exec_lo, s1
	s_and_b32 exec_lo, exec_lo, s0
	s_cbranch_execz .LBB186_19
; %bb.30:
	flat_load_dword v0, v[0:1] offset:64
	s_waitcnt vmcnt(0) lgkmcnt(0)
	v_mul_f32_e32 v0, s20, v0
	v_fmac_f32_e32 v0, s3, v7
	flat_store_dword v[2:3], v0 offset:64
	s_endpgm
	.section	.rodata,"a",@progbits
	.p2align	6, 0x0
	.amdhsa_kernel _ZN12_GLOBAL__N_135rocblas_gemm_batched_general_kernelIfLi16ELi16ELi32ELi32ELi8ELi32ELi8ELi8ELi32ELc84ELc78EKPK16rocblas_bfloat16KPKfKPfEEvlllT_PT11_llSC_llSA_PT12_llPT13_lli
		.amdhsa_group_segment_fixed_size 2048
		.amdhsa_private_segment_fixed_size 0
		.amdhsa_kernarg_size 140
		.amdhsa_user_sgpr_count 6
		.amdhsa_user_sgpr_private_segment_buffer 1
		.amdhsa_user_sgpr_dispatch_ptr 0
		.amdhsa_user_sgpr_queue_ptr 0
		.amdhsa_user_sgpr_kernarg_segment_ptr 1
		.amdhsa_user_sgpr_dispatch_id 0
		.amdhsa_user_sgpr_flat_scratch_init 0
		.amdhsa_user_sgpr_private_segment_size 0
		.amdhsa_wavefront_size32 1
		.amdhsa_uses_dynamic_stack 0
		.amdhsa_system_sgpr_private_segment_wavefront_offset 0
		.amdhsa_system_sgpr_workgroup_id_x 1
		.amdhsa_system_sgpr_workgroup_id_y 1
		.amdhsa_system_sgpr_workgroup_id_z 1
		.amdhsa_system_sgpr_workgroup_info 0
		.amdhsa_system_vgpr_workitem_id 1
		.amdhsa_next_free_vgpr 44
		.amdhsa_next_free_sgpr 40
		.amdhsa_reserve_vcc 1
		.amdhsa_reserve_flat_scratch 0
		.amdhsa_float_round_mode_32 0
		.amdhsa_float_round_mode_16_64 0
		.amdhsa_float_denorm_mode_32 3
		.amdhsa_float_denorm_mode_16_64 3
		.amdhsa_dx10_clamp 1
		.amdhsa_ieee_mode 1
		.amdhsa_fp16_overflow 0
		.amdhsa_workgroup_processor_mode 1
		.amdhsa_memory_ordered 1
		.amdhsa_forward_progress 1
		.amdhsa_shared_vgpr_count 0
		.amdhsa_exception_fp_ieee_invalid_op 0
		.amdhsa_exception_fp_denorm_src 0
		.amdhsa_exception_fp_ieee_div_zero 0
		.amdhsa_exception_fp_ieee_overflow 0
		.amdhsa_exception_fp_ieee_underflow 0
		.amdhsa_exception_fp_ieee_inexact 0
		.amdhsa_exception_int_div_zero 0
	.end_amdhsa_kernel
	.section	.text._ZN12_GLOBAL__N_135rocblas_gemm_batched_general_kernelIfLi16ELi16ELi32ELi32ELi8ELi32ELi8ELi8ELi32ELc84ELc78EKPK16rocblas_bfloat16KPKfKPfEEvlllT_PT11_llSC_llSA_PT12_llPT13_lli,"axG",@progbits,_ZN12_GLOBAL__N_135rocblas_gemm_batched_general_kernelIfLi16ELi16ELi32ELi32ELi8ELi32ELi8ELi8ELi32ELc84ELc78EKPK16rocblas_bfloat16KPKfKPfEEvlllT_PT11_llSC_llSA_PT12_llPT13_lli,comdat
.Lfunc_end186:
	.size	_ZN12_GLOBAL__N_135rocblas_gemm_batched_general_kernelIfLi16ELi16ELi32ELi32ELi8ELi32ELi8ELi8ELi32ELc84ELc78EKPK16rocblas_bfloat16KPKfKPfEEvlllT_PT11_llSC_llSA_PT12_llPT13_lli, .Lfunc_end186-_ZN12_GLOBAL__N_135rocblas_gemm_batched_general_kernelIfLi16ELi16ELi32ELi32ELi8ELi32ELi8ELi8ELi32ELc84ELc78EKPK16rocblas_bfloat16KPKfKPfEEvlllT_PT11_llSC_llSA_PT12_llPT13_lli
                                        ; -- End function
	.set _ZN12_GLOBAL__N_135rocblas_gemm_batched_general_kernelIfLi16ELi16ELi32ELi32ELi8ELi32ELi8ELi8ELi32ELc84ELc78EKPK16rocblas_bfloat16KPKfKPfEEvlllT_PT11_llSC_llSA_PT12_llPT13_lli.num_vgpr, 44
	.set _ZN12_GLOBAL__N_135rocblas_gemm_batched_general_kernelIfLi16ELi16ELi32ELi32ELi8ELi32ELi8ELi8ELi32ELc84ELc78EKPK16rocblas_bfloat16KPKfKPfEEvlllT_PT11_llSC_llSA_PT12_llPT13_lli.num_agpr, 0
	.set _ZN12_GLOBAL__N_135rocblas_gemm_batched_general_kernelIfLi16ELi16ELi32ELi32ELi8ELi32ELi8ELi8ELi32ELc84ELc78EKPK16rocblas_bfloat16KPKfKPfEEvlllT_PT11_llSC_llSA_PT12_llPT13_lli.numbered_sgpr, 40
	.set _ZN12_GLOBAL__N_135rocblas_gemm_batched_general_kernelIfLi16ELi16ELi32ELi32ELi8ELi32ELi8ELi8ELi32ELc84ELc78EKPK16rocblas_bfloat16KPKfKPfEEvlllT_PT11_llSC_llSA_PT12_llPT13_lli.num_named_barrier, 0
	.set _ZN12_GLOBAL__N_135rocblas_gemm_batched_general_kernelIfLi16ELi16ELi32ELi32ELi8ELi32ELi8ELi8ELi32ELc84ELc78EKPK16rocblas_bfloat16KPKfKPfEEvlllT_PT11_llSC_llSA_PT12_llPT13_lli.private_seg_size, 0
	.set _ZN12_GLOBAL__N_135rocblas_gemm_batched_general_kernelIfLi16ELi16ELi32ELi32ELi8ELi32ELi8ELi8ELi32ELc84ELc78EKPK16rocblas_bfloat16KPKfKPfEEvlllT_PT11_llSC_llSA_PT12_llPT13_lli.uses_vcc, 1
	.set _ZN12_GLOBAL__N_135rocblas_gemm_batched_general_kernelIfLi16ELi16ELi32ELi32ELi8ELi32ELi8ELi8ELi32ELc84ELc78EKPK16rocblas_bfloat16KPKfKPfEEvlllT_PT11_llSC_llSA_PT12_llPT13_lli.uses_flat_scratch, 0
	.set _ZN12_GLOBAL__N_135rocblas_gemm_batched_general_kernelIfLi16ELi16ELi32ELi32ELi8ELi32ELi8ELi8ELi32ELc84ELc78EKPK16rocblas_bfloat16KPKfKPfEEvlllT_PT11_llSC_llSA_PT12_llPT13_lli.has_dyn_sized_stack, 0
	.set _ZN12_GLOBAL__N_135rocblas_gemm_batched_general_kernelIfLi16ELi16ELi32ELi32ELi8ELi32ELi8ELi8ELi32ELc84ELc78EKPK16rocblas_bfloat16KPKfKPfEEvlllT_PT11_llSC_llSA_PT12_llPT13_lli.has_recursion, 0
	.set _ZN12_GLOBAL__N_135rocblas_gemm_batched_general_kernelIfLi16ELi16ELi32ELi32ELi8ELi32ELi8ELi8ELi32ELc84ELc78EKPK16rocblas_bfloat16KPKfKPfEEvlllT_PT11_llSC_llSA_PT12_llPT13_lli.has_indirect_call, 0
	.section	.AMDGPU.csdata,"",@progbits
; Kernel info:
; codeLenInByte = 1908
; TotalNumSgprs: 42
; NumVgprs: 44
; ScratchSize: 0
; MemoryBound: 0
; FloatMode: 240
; IeeeMode: 1
; LDSByteSize: 2048 bytes/workgroup (compile time only)
; SGPRBlocks: 0
; VGPRBlocks: 5
; NumSGPRsForWavesPerEU: 42
; NumVGPRsForWavesPerEU: 44
; Occupancy: 16
; WaveLimiterHint : 1
; COMPUTE_PGM_RSRC2:SCRATCH_EN: 0
; COMPUTE_PGM_RSRC2:USER_SGPR: 6
; COMPUTE_PGM_RSRC2:TRAP_HANDLER: 0
; COMPUTE_PGM_RSRC2:TGID_X_EN: 1
; COMPUTE_PGM_RSRC2:TGID_Y_EN: 1
; COMPUTE_PGM_RSRC2:TGID_Z_EN: 1
; COMPUTE_PGM_RSRC2:TIDIG_COMP_CNT: 1
	.section	.text._ZN12_GLOBAL__N_135rocblas_gemm_batched_general_kernelIfLi16ELi16ELi32ELi32ELi8ELi32ELi8ELi8ELi32ELc78ELc84EKPK16rocblas_bfloat16KPKfKPfEEvlllT_PT11_llSC_llSA_PT12_llPT13_lli,"axG",@progbits,_ZN12_GLOBAL__N_135rocblas_gemm_batched_general_kernelIfLi16ELi16ELi32ELi32ELi8ELi32ELi8ELi8ELi32ELc78ELc84EKPK16rocblas_bfloat16KPKfKPfEEvlllT_PT11_llSC_llSA_PT12_llPT13_lli,comdat
	.globl	_ZN12_GLOBAL__N_135rocblas_gemm_batched_general_kernelIfLi16ELi16ELi32ELi32ELi8ELi32ELi8ELi8ELi32ELc78ELc84EKPK16rocblas_bfloat16KPKfKPfEEvlllT_PT11_llSC_llSA_PT12_llPT13_lli ; -- Begin function _ZN12_GLOBAL__N_135rocblas_gemm_batched_general_kernelIfLi16ELi16ELi32ELi32ELi8ELi32ELi8ELi8ELi32ELc78ELc84EKPK16rocblas_bfloat16KPKfKPfEEvlllT_PT11_llSC_llSA_PT12_llPT13_lli
	.p2align	8
	.type	_ZN12_GLOBAL__N_135rocblas_gemm_batched_general_kernelIfLi16ELi16ELi32ELi32ELi8ELi32ELi8ELi8ELi32ELc78ELc84EKPK16rocblas_bfloat16KPKfKPfEEvlllT_PT11_llSC_llSA_PT12_llPT13_lli,@function
_ZN12_GLOBAL__N_135rocblas_gemm_batched_general_kernelIfLi16ELi16ELi32ELi32ELi8ELi32ELi8ELi8ELi32ELc78ELc84EKPK16rocblas_bfloat16KPKfKPfEEvlllT_PT11_llSC_llSA_PT12_llPT13_lli: ; @_ZN12_GLOBAL__N_135rocblas_gemm_batched_general_kernelIfLi16ELi16ELi32ELi32ELi8ELi32ELi8ELi8ELi32ELc78ELc84EKPK16rocblas_bfloat16KPKfKPfEEvlllT_PT11_llSC_llSA_PT12_llPT13_lli
; %bb.0:
	s_clause 0x1
	s_load_dwordx8 s[12:19], s[4:5], 0x58
	s_load_dwordx2 s[34:35], s[4:5], 0x10
	s_mov_b32 s9, 0
	s_load_dwordx4 s[28:31], s[4:5], 0x0
	s_lshl_b64 s[44:45], s[8:9], 3
	s_load_dwordx4 s[8:11], s[4:5], 0x78
	s_mov_b32 s42, s7
	v_mov_b32_e32 v10, 0
	v_mov_b32_e32 v9, 0
	;; [unrolled: 1-line block ×4, first 2 shown]
	s_waitcnt lgkmcnt(0)
	s_add_u32 s0, s12, s44
	s_addc_u32 s1, s13, s45
	s_add_u32 s2, s18, s44
	s_addc_u32 s3, s19, s45
	s_load_dwordx2 s[12:13], s[0:1], 0x0
	s_load_dwordx2 s[2:3], s[2:3], 0x0
	v_cmp_lt_i64_e64 s0, s[34:35], 1
	s_ashr_i32 s7, s6, 31
	s_ashr_i32 s43, s42, 31
	s_lshl_b64 s[18:19], s[6:7], 5
	s_lshl_b64 s[40:41], s[42:43], 5
	s_and_b32 vcc_lo, exec_lo, s0
	s_cbranch_vccnz .LBB187_7
; %bb.1:
	s_clause 0x1
	s_load_dwordx4 s[36:39], s[4:5], 0x40
	s_load_dwordx8 s[20:27], s[4:5], 0x20
	v_lshl_add_u32 v2, v1, 4, v0
	v_and_b32_e32 v6, 7, v0
	v_mov_b32_e32 v3, s19
	v_mov_b32_e32 v7, 0
	v_lshlrev_b32_e32 v11, 2, v0
	v_lshrrev_b32_e32 v13, 5, v2
	v_and_b32_e32 v18, 31, v2
	v_lshrrev_b32_e32 v10, 3, v2
	v_lshlrev_b32_e32 v14, 2, v6
	v_lshl_add_u32 v12, v1, 5, 0x400
	v_or_b32_e32 v2, s18, v18
	v_add_co_u32 v4, s0, v10, s40
	v_add_co_ci_u32_e64 v5, null, 0, s41, s0
	v_cmp_gt_i64_e64 s0, s[28:29], v[2:3]
	v_lshl_or_b32 v19, v10, 5, v14
	s_waitcnt lgkmcnt(0)
	v_mad_u64_u32 v[8:9], null, s36, v6, 0
	v_mad_u64_u32 v[16:17], null, s22, v13, 0
	v_cmp_gt_i64_e64 s1, s[30:31], v[4:5]
	s_add_u32 s26, s26, s44
	s_addc_u32 s27, s27, s45
	s_add_u32 s20, s20, s44
	v_mov_b32_e32 v2, v9
	s_load_dwordx2 s[26:27], s[26:27], 0x0
	v_mov_b32_e32 v3, v17
	s_addc_u32 s21, s21, s45
	s_lshl_b64 s[42:43], s[42:43], 6
	s_load_dwordx2 s[20:21], s[20:21], 0x0
	s_lshl_b64 s[38:39], s[38:39], 1
	v_mad_u64_u32 v[4:5], null, s37, v6, v[2:3]
	s_add_u32 s33, s38, s42
	s_addc_u32 s42, s39, s43
	s_lshl_b64 s[38:39], s[6:7], 6
	s_lshl_b64 s[24:25], s[24:25], 1
	s_lshl_b64 s[6:7], s[36:37], 4
	v_lshlrev_b32_e32 v10, 1, v10
	v_mad_u64_u32 v[2:3], null, s23, v13, v[3:4]
	v_mov_b32_e32 v9, v4
	s_add_u32 s24, s24, s38
	s_addc_u32 s25, s25, s39
	v_lshlrev_b32_e32 v15, 2, v18
	v_mov_b32_e32 v17, v2
	v_lshlrev_b64 v[2:3], 1, v[8:9]
	v_lshlrev_b32_e32 v8, 1, v18
	v_lshl_or_b32 v14, v13, 7, v15
	v_add_nc_u32_e32 v15, 0x400, v19
	v_lshlrev_b64 v[4:5], 1, v[16:17]
	v_mov_b32_e32 v9, 0
	v_add_co_u32 v2, vcc_lo, s33, v2
	v_add_co_ci_u32_e64 v3, null, s42, v3, vcc_lo
	v_add_co_u32 v4, vcc_lo, s24, v4
	v_add_co_ci_u32_e64 v5, null, s25, v5, vcc_lo
	v_add_co_u32 v2, vcc_lo, v2, v10
	v_add_co_ci_u32_e64 v3, null, 0, v3, vcc_lo
	v_add_co_u32 v4, vcc_lo, v4, v8
	v_add_co_ci_u32_e64 v5, null, 0, v5, vcc_lo
	s_waitcnt lgkmcnt(0)
	v_add_co_u32 v2, vcc_lo, s26, v2
	v_add_co_ci_u32_e64 v3, null, s27, v3, vcc_lo
	v_add_co_u32 v4, vcc_lo, s20, v4
	v_add_co_ci_u32_e64 v5, null, s21, v5, vcc_lo
	v_mov_b32_e32 v8, 0
	v_mov_b32_e32 v10, 0
	s_lshl_b64 s[20:21], s[22:23], 4
	s_mov_b64 s[22:23], 0
	s_branch .LBB187_3
.LBB187_2:                              ;   in Loop: Header=BB187_3 Depth=1
	s_or_b32 exec_lo, exec_lo, s24
	ds_write_b32 v15, v17
	s_waitcnt lgkmcnt(0)
	s_barrier
	buffer_gl0_inv
	ds_read_b128 v[16:19], v12
	ds_read2_b32 v[32:33], v11 offset1:16
	ds_read_b128 v[20:23], v12 offset:512
	ds_read2_b32 v[34:35], v11 offset0:32 offset1:48
	ds_read2_b32 v[36:37], v11 offset0:64 offset1:80
	;; [unrolled: 1-line block ×3, first 2 shown]
	ds_read_b128 v[24:27], v12 offset:16
	ds_read2_b32 v[40:41], v11 offset0:128 offset1:144
	ds_read_b128 v[28:31], v12 offset:528
	ds_read2_b32 v[42:43], v11 offset0:160 offset1:176
	s_add_u32 s22, s22, 8
	s_addc_u32 s23, s23, 0
	v_add_co_u32 v2, vcc_lo, v2, s6
	v_cmp_lt_i64_e64 s24, s[22:23], s[34:35]
	v_add_co_ci_u32_e64 v3, null, s7, v3, vcc_lo
	v_add_co_u32 v4, vcc_lo, v4, s20
	v_add_co_ci_u32_e64 v5, null, s21, v5, vcc_lo
	s_waitcnt lgkmcnt(8)
	v_fmac_f32_e32 v10, v32, v16
	v_fmac_f32_e32 v9, v33, v16
	s_waitcnt lgkmcnt(7)
	v_fmac_f32_e32 v8, v32, v20
	v_fmac_f32_e32 v7, v33, v20
	ds_read2_b32 v[32:33], v11 offset0:192 offset1:208
	s_waitcnt lgkmcnt(7)
	v_fmac_f32_e32 v10, v34, v17
	v_fmac_f32_e32 v9, v35, v17
	;; [unrolled: 1-line block ×4, first 2 shown]
	ds_read2_b32 v[16:17], v11 offset0:224 offset1:240
	s_waitcnt lgkmcnt(7)
	v_fmac_f32_e32 v10, v36, v18
	v_fmac_f32_e32 v9, v37, v18
	;; [unrolled: 1-line block ×4, first 2 shown]
	s_and_b32 vcc_lo, exec_lo, s24
	s_waitcnt lgkmcnt(6)
	v_fmac_f32_e32 v10, v38, v19
	v_fmac_f32_e32 v9, v39, v19
	;; [unrolled: 1-line block ×4, first 2 shown]
	s_waitcnt lgkmcnt(0)
	v_fmac_f32_e32 v10, v40, v24
	v_fmac_f32_e32 v9, v41, v24
	;; [unrolled: 1-line block ×4, first 2 shown]
	s_barrier
	v_fmac_f32_e32 v10, v42, v25
	v_fmac_f32_e32 v9, v43, v25
	;; [unrolled: 1-line block ×4, first 2 shown]
	buffer_gl0_inv
	v_fmac_f32_e32 v10, v32, v26
	v_fmac_f32_e32 v9, v33, v26
	;; [unrolled: 1-line block ×8, first 2 shown]
	s_cbranch_vccz .LBB187_7
.LBB187_3:                              ; =>This Inner Loop Header: Depth=1
	v_add_co_u32 v16, s24, v13, s22
	v_add_co_ci_u32_e64 v17, null, 0, s23, s24
	v_cmp_gt_i64_e32 vcc_lo, s[34:35], v[16:17]
	v_mov_b32_e32 v16, 0
	s_and_b32 s25, s0, vcc_lo
	s_and_saveexec_b32 s24, s25
	s_cbranch_execz .LBB187_5
; %bb.4:                                ;   in Loop: Header=BB187_3 Depth=1
	flat_load_ushort v16, v[4:5]
	s_waitcnt vmcnt(0) lgkmcnt(0)
	v_lshlrev_b32_e32 v16, 16, v16
.LBB187_5:                              ;   in Loop: Header=BB187_3 Depth=1
	s_or_b32 exec_lo, exec_lo, s24
	v_add_co_u32 v17, s24, v6, s22
	v_add_co_ci_u32_e64 v18, null, 0, s23, s24
	ds_write_b32 v14, v16
	v_cmp_gt_i64_e32 vcc_lo, s[34:35], v[17:18]
	v_mov_b32_e32 v17, 0
	s_and_b32 s25, vcc_lo, s1
	s_and_saveexec_b32 s24, s25
	s_cbranch_execz .LBB187_2
; %bb.6:                                ;   in Loop: Header=BB187_3 Depth=1
	flat_load_ushort v16, v[2:3]
	s_waitcnt vmcnt(0) lgkmcnt(0)
	v_lshlrev_b32_e32 v17, 16, v16
	s_branch .LBB187_2
.LBB187_7:
	s_clause 0x1
	s_load_dword s6, s[4:5], 0x50
	s_load_dword s4, s[4:5], 0x18
	v_add_co_u32 v1, s5, s40, v1
	v_add_co_ci_u32_e64 v2, null, s41, 0, s5
	s_lshl_b64 s[0:1], s[10:11], 2
	s_waitcnt lgkmcnt(0)
	s_add_u32 s5, s2, s0
	v_cmp_gt_i64_e64 s0, s[30:31], v[1:2]
	s_addc_u32 s3, s3, s1
	v_cmp_neq_f32_e64 s7, s6, 0
	s_and_b32 vcc_lo, exec_lo, s7
	s_cbranch_vccnz .LBB187_20
; %bb.8:
	s_and_saveexec_b32 s7, s0
	s_cbranch_execz .LBB187_18
; %bb.9:
	v_mul_lo_u32 v5, v2, s8
	v_mul_lo_u32 v6, v1, s9
	v_mad_u64_u32 v[3:4], null, v1, s8, 0
	v_add3_u32 v4, v4, v6, v5
	v_add_co_u32 v5, s1, s18, v0
	v_add_co_ci_u32_e64 v6, null, s19, 0, s1
	v_lshlrev_b64 v[11:12], 2, v[3:4]
	v_cmp_gt_i64_e32 vcc_lo, s[28:29], v[5:6]
	v_lshlrev_b64 v[3:4], 2, v[5:6]
	v_add_co_u32 v11, s1, s5, v11
	v_add_co_ci_u32_e64 v12, null, s3, v12, s1
	s_and_saveexec_b32 s2, vcc_lo
	s_cbranch_execz .LBB187_11
; %bb.10:
	v_add_co_u32 v13, s1, v11, v3
	v_add_co_ci_u32_e64 v14, null, v12, v4, s1
	v_mul_f32_e32 v15, s4, v10
	flat_store_dword v[13:14], v15
.LBB187_11:
	s_or_b32 exec_lo, exec_lo, s2
	v_add_co_u32 v5, s1, v5, 16
	v_add_co_ci_u32_e64 v6, null, 0, v6, s1
	v_cmp_gt_i64_e64 s1, s[28:29], v[5:6]
	s_and_saveexec_b32 s10, s1
	s_cbranch_execz .LBB187_13
; %bb.12:
	v_add_co_u32 v5, s2, v11, v3
	v_add_co_ci_u32_e64 v6, null, v12, v4, s2
	v_mul_f32_e32 v13, s4, v9
	flat_store_dword v[5:6], v13 offset:64
.LBB187_13:
	s_or_b32 exec_lo, exec_lo, s10
	v_add_co_u32 v5, s2, v1, 16
	v_add_co_ci_u32_e64 v6, null, 0, v2, s2
	v_cmp_gt_i64_e64 s2, s[30:31], v[5:6]
	s_and_b32 exec_lo, exec_lo, s2
	s_cbranch_execz .LBB187_18
; %bb.14:
	s_lshl_b64 s[10:11], s[8:9], 6
	v_add_co_u32 v5, s2, v11, s10
	v_add_co_ci_u32_e64 v6, null, s11, v12, s2
	v_add_co_u32 v3, s2, v5, v3
	v_add_co_ci_u32_e64 v4, null, v6, v4, s2
	s_and_saveexec_b32 s2, vcc_lo
	s_cbranch_execz .LBB187_16
; %bb.15:
	v_mul_f32_e32 v5, s4, v8
	flat_store_dword v[3:4], v5
.LBB187_16:
	s_or_b32 exec_lo, exec_lo, s2
	s_and_b32 exec_lo, exec_lo, s1
	s_cbranch_execz .LBB187_18
; %bb.17:
	v_mul_f32_e32 v5, s4, v7
	flat_store_dword v[3:4], v5 offset:64
.LBB187_18:
	s_or_b32 exec_lo, exec_lo, s7
	s_cbranch_execz .LBB187_21
.LBB187_19:
	s_endpgm
.LBB187_20:
.LBB187_21:
	s_and_saveexec_b32 s1, s0
	s_cbranch_execz .LBB187_19
; %bb.22:
	v_mul_lo_u32 v5, v2, s14
	v_mul_lo_u32 v6, v1, s15
	v_mad_u64_u32 v[3:4], null, v1, s14, 0
	v_mul_lo_u32 v13, v2, s8
	v_mul_lo_u32 v14, v1, s9
	v_mad_u64_u32 v[11:12], null, v1, s8, 0
	s_lshl_b64 s[0:1], s[16:17], 2
	v_add3_u32 v4, v4, v6, v5
	v_add_co_u32 v5, s2, s18, v0
	v_add_co_ci_u32_e64 v6, null, s19, 0, s2
	v_add3_u32 v12, v12, v14, v13
	v_lshlrev_b64 v[3:4], 2, v[3:4]
	s_add_u32 s0, s12, s0
	s_addc_u32 s1, s13, s1
	v_cmp_gt_i64_e32 vcc_lo, s[28:29], v[5:6]
	v_lshlrev_b64 v[12:13], 2, v[11:12]
	v_add_co_u32 v0, s0, s0, v3
	v_add_co_ci_u32_e64 v11, null, s1, v4, s0
	v_add_co_u32 v12, s0, s5, v12
	v_lshlrev_b64 v[3:4], 2, v[5:6]
	v_add_co_ci_u32_e64 v13, null, s3, v13, s0
	s_and_saveexec_b32 s1, vcc_lo
	s_cbranch_execz .LBB187_24
; %bb.23:
	v_add_co_u32 v14, s0, v0, v3
	v_add_co_ci_u32_e64 v15, null, v11, v4, s0
	flat_load_dword v14, v[14:15]
	s_waitcnt vmcnt(0) lgkmcnt(0)
	v_mul_f32_e32 v16, s6, v14
	v_add_co_u32 v14, s0, v12, v3
	v_add_co_ci_u32_e64 v15, null, v13, v4, s0
	v_fmac_f32_e32 v16, s4, v10
	flat_store_dword v[14:15], v16
.LBB187_24:
	s_or_b32 exec_lo, exec_lo, s1
	v_add_co_u32 v5, s0, v5, 16
	v_add_co_ci_u32_e64 v6, null, 0, v6, s0
	v_cmp_gt_i64_e64 s0, s[28:29], v[5:6]
	s_and_saveexec_b32 s2, s0
	s_cbranch_execz .LBB187_26
; %bb.25:
	v_add_co_u32 v5, s1, v0, v3
	v_add_co_ci_u32_e64 v6, null, v11, v4, s1
	flat_load_dword v5, v[5:6] offset:64
	s_waitcnt vmcnt(0) lgkmcnt(0)
	v_mul_f32_e32 v10, s6, v5
	v_add_co_u32 v5, s1, v12, v3
	v_add_co_ci_u32_e64 v6, null, v13, v4, s1
	v_fmac_f32_e32 v10, s4, v9
	flat_store_dword v[5:6], v10 offset:64
.LBB187_26:
	s_or_b32 exec_lo, exec_lo, s2
	v_add_co_u32 v1, s1, v1, 16
	v_add_co_ci_u32_e64 v2, null, 0, v2, s1
	v_cmp_gt_i64_e64 s1, s[30:31], v[1:2]
	s_and_b32 exec_lo, exec_lo, s1
	s_cbranch_execz .LBB187_19
; %bb.27:
	s_lshl_b64 s[2:3], s[14:15], 6
	v_add_co_u32 v0, s1, v0, s2
	v_add_co_ci_u32_e64 v1, null, s3, v11, s1
	s_lshl_b64 s[2:3], s[8:9], 6
	v_add_co_u32 v2, s1, v12, s2
	v_add_co_ci_u32_e64 v5, null, s3, v13, s1
	v_add_co_u32 v0, s1, v0, v3
	v_add_co_ci_u32_e64 v1, null, v1, v4, s1
	;; [unrolled: 2-line block ×3, first 2 shown]
	s_and_saveexec_b32 s1, vcc_lo
	s_cbranch_execz .LBB187_29
; %bb.28:
	flat_load_dword v4, v[0:1]
	s_waitcnt vmcnt(0) lgkmcnt(0)
	v_mul_f32_e32 v4, s6, v4
	v_fmac_f32_e32 v4, s4, v8
	flat_store_dword v[2:3], v4
.LBB187_29:
	s_or_b32 exec_lo, exec_lo, s1
	s_and_b32 exec_lo, exec_lo, s0
	s_cbranch_execz .LBB187_19
; %bb.30:
	flat_load_dword v0, v[0:1] offset:64
	s_waitcnt vmcnt(0) lgkmcnt(0)
	v_mul_f32_e32 v0, s6, v0
	v_fmac_f32_e32 v0, s4, v7
	flat_store_dword v[2:3], v0 offset:64
	s_endpgm
	.section	.rodata,"a",@progbits
	.p2align	6, 0x0
	.amdhsa_kernel _ZN12_GLOBAL__N_135rocblas_gemm_batched_general_kernelIfLi16ELi16ELi32ELi32ELi8ELi32ELi8ELi8ELi32ELc78ELc84EKPK16rocblas_bfloat16KPKfKPfEEvlllT_PT11_llSC_llSA_PT12_llPT13_lli
		.amdhsa_group_segment_fixed_size 2048
		.amdhsa_private_segment_fixed_size 0
		.amdhsa_kernarg_size 140
		.amdhsa_user_sgpr_count 6
		.amdhsa_user_sgpr_private_segment_buffer 1
		.amdhsa_user_sgpr_dispatch_ptr 0
		.amdhsa_user_sgpr_queue_ptr 0
		.amdhsa_user_sgpr_kernarg_segment_ptr 1
		.amdhsa_user_sgpr_dispatch_id 0
		.amdhsa_user_sgpr_flat_scratch_init 0
		.amdhsa_user_sgpr_private_segment_size 0
		.amdhsa_wavefront_size32 1
		.amdhsa_uses_dynamic_stack 0
		.amdhsa_system_sgpr_private_segment_wavefront_offset 0
		.amdhsa_system_sgpr_workgroup_id_x 1
		.amdhsa_system_sgpr_workgroup_id_y 1
		.amdhsa_system_sgpr_workgroup_id_z 1
		.amdhsa_system_sgpr_workgroup_info 0
		.amdhsa_system_vgpr_workitem_id 1
		.amdhsa_next_free_vgpr 44
		.amdhsa_next_free_sgpr 46
		.amdhsa_reserve_vcc 1
		.amdhsa_reserve_flat_scratch 0
		.amdhsa_float_round_mode_32 0
		.amdhsa_float_round_mode_16_64 0
		.amdhsa_float_denorm_mode_32 3
		.amdhsa_float_denorm_mode_16_64 3
		.amdhsa_dx10_clamp 1
		.amdhsa_ieee_mode 1
		.amdhsa_fp16_overflow 0
		.amdhsa_workgroup_processor_mode 1
		.amdhsa_memory_ordered 1
		.amdhsa_forward_progress 1
		.amdhsa_shared_vgpr_count 0
		.amdhsa_exception_fp_ieee_invalid_op 0
		.amdhsa_exception_fp_denorm_src 0
		.amdhsa_exception_fp_ieee_div_zero 0
		.amdhsa_exception_fp_ieee_overflow 0
		.amdhsa_exception_fp_ieee_underflow 0
		.amdhsa_exception_fp_ieee_inexact 0
		.amdhsa_exception_int_div_zero 0
	.end_amdhsa_kernel
	.section	.text._ZN12_GLOBAL__N_135rocblas_gemm_batched_general_kernelIfLi16ELi16ELi32ELi32ELi8ELi32ELi8ELi8ELi32ELc78ELc84EKPK16rocblas_bfloat16KPKfKPfEEvlllT_PT11_llSC_llSA_PT12_llPT13_lli,"axG",@progbits,_ZN12_GLOBAL__N_135rocblas_gemm_batched_general_kernelIfLi16ELi16ELi32ELi32ELi8ELi32ELi8ELi8ELi32ELc78ELc84EKPK16rocblas_bfloat16KPKfKPfEEvlllT_PT11_llSC_llSA_PT12_llPT13_lli,comdat
.Lfunc_end187:
	.size	_ZN12_GLOBAL__N_135rocblas_gemm_batched_general_kernelIfLi16ELi16ELi32ELi32ELi8ELi32ELi8ELi8ELi32ELc78ELc84EKPK16rocblas_bfloat16KPKfKPfEEvlllT_PT11_llSC_llSA_PT12_llPT13_lli, .Lfunc_end187-_ZN12_GLOBAL__N_135rocblas_gemm_batched_general_kernelIfLi16ELi16ELi32ELi32ELi8ELi32ELi8ELi8ELi32ELc78ELc84EKPK16rocblas_bfloat16KPKfKPfEEvlllT_PT11_llSC_llSA_PT12_llPT13_lli
                                        ; -- End function
	.set _ZN12_GLOBAL__N_135rocblas_gemm_batched_general_kernelIfLi16ELi16ELi32ELi32ELi8ELi32ELi8ELi8ELi32ELc78ELc84EKPK16rocblas_bfloat16KPKfKPfEEvlllT_PT11_llSC_llSA_PT12_llPT13_lli.num_vgpr, 44
	.set _ZN12_GLOBAL__N_135rocblas_gemm_batched_general_kernelIfLi16ELi16ELi32ELi32ELi8ELi32ELi8ELi8ELi32ELc78ELc84EKPK16rocblas_bfloat16KPKfKPfEEvlllT_PT11_llSC_llSA_PT12_llPT13_lli.num_agpr, 0
	.set _ZN12_GLOBAL__N_135rocblas_gemm_batched_general_kernelIfLi16ELi16ELi32ELi32ELi8ELi32ELi8ELi8ELi32ELc78ELc84EKPK16rocblas_bfloat16KPKfKPfEEvlllT_PT11_llSC_llSA_PT12_llPT13_lli.numbered_sgpr, 46
	.set _ZN12_GLOBAL__N_135rocblas_gemm_batched_general_kernelIfLi16ELi16ELi32ELi32ELi8ELi32ELi8ELi8ELi32ELc78ELc84EKPK16rocblas_bfloat16KPKfKPfEEvlllT_PT11_llSC_llSA_PT12_llPT13_lli.num_named_barrier, 0
	.set _ZN12_GLOBAL__N_135rocblas_gemm_batched_general_kernelIfLi16ELi16ELi32ELi32ELi8ELi32ELi8ELi8ELi32ELc78ELc84EKPK16rocblas_bfloat16KPKfKPfEEvlllT_PT11_llSC_llSA_PT12_llPT13_lli.private_seg_size, 0
	.set _ZN12_GLOBAL__N_135rocblas_gemm_batched_general_kernelIfLi16ELi16ELi32ELi32ELi8ELi32ELi8ELi8ELi32ELc78ELc84EKPK16rocblas_bfloat16KPKfKPfEEvlllT_PT11_llSC_llSA_PT12_llPT13_lli.uses_vcc, 1
	.set _ZN12_GLOBAL__N_135rocblas_gemm_batched_general_kernelIfLi16ELi16ELi32ELi32ELi8ELi32ELi8ELi8ELi32ELc78ELc84EKPK16rocblas_bfloat16KPKfKPfEEvlllT_PT11_llSC_llSA_PT12_llPT13_lli.uses_flat_scratch, 0
	.set _ZN12_GLOBAL__N_135rocblas_gemm_batched_general_kernelIfLi16ELi16ELi32ELi32ELi8ELi32ELi8ELi8ELi32ELc78ELc84EKPK16rocblas_bfloat16KPKfKPfEEvlllT_PT11_llSC_llSA_PT12_llPT13_lli.has_dyn_sized_stack, 0
	.set _ZN12_GLOBAL__N_135rocblas_gemm_batched_general_kernelIfLi16ELi16ELi32ELi32ELi8ELi32ELi8ELi8ELi32ELc78ELc84EKPK16rocblas_bfloat16KPKfKPfEEvlllT_PT11_llSC_llSA_PT12_llPT13_lli.has_recursion, 0
	.set _ZN12_GLOBAL__N_135rocblas_gemm_batched_general_kernelIfLi16ELi16ELi32ELi32ELi8ELi32ELi8ELi8ELi32ELc78ELc84EKPK16rocblas_bfloat16KPKfKPfEEvlllT_PT11_llSC_llSA_PT12_llPT13_lli.has_indirect_call, 0
	.section	.AMDGPU.csdata,"",@progbits
; Kernel info:
; codeLenInByte = 1908
; TotalNumSgprs: 48
; NumVgprs: 44
; ScratchSize: 0
; MemoryBound: 0
; FloatMode: 240
; IeeeMode: 1
; LDSByteSize: 2048 bytes/workgroup (compile time only)
; SGPRBlocks: 0
; VGPRBlocks: 5
; NumSGPRsForWavesPerEU: 48
; NumVGPRsForWavesPerEU: 44
; Occupancy: 16
; WaveLimiterHint : 1
; COMPUTE_PGM_RSRC2:SCRATCH_EN: 0
; COMPUTE_PGM_RSRC2:USER_SGPR: 6
; COMPUTE_PGM_RSRC2:TRAP_HANDLER: 0
; COMPUTE_PGM_RSRC2:TGID_X_EN: 1
; COMPUTE_PGM_RSRC2:TGID_Y_EN: 1
; COMPUTE_PGM_RSRC2:TGID_Z_EN: 1
; COMPUTE_PGM_RSRC2:TIDIG_COMP_CNT: 1
	.section	.text._ZN12_GLOBAL__N_135rocblas_gemm_batched_general_kernelIfLi16ELi16ELi32ELi32ELi8ELi32ELi8ELi8ELi32ELc84ELc84EKPK16rocblas_bfloat16KPKfKPfEEvlllT_PT11_llSC_llSA_PT12_llPT13_lli,"axG",@progbits,_ZN12_GLOBAL__N_135rocblas_gemm_batched_general_kernelIfLi16ELi16ELi32ELi32ELi8ELi32ELi8ELi8ELi32ELc84ELc84EKPK16rocblas_bfloat16KPKfKPfEEvlllT_PT11_llSC_llSA_PT12_llPT13_lli,comdat
	.globl	_ZN12_GLOBAL__N_135rocblas_gemm_batched_general_kernelIfLi16ELi16ELi32ELi32ELi8ELi32ELi8ELi8ELi32ELc84ELc84EKPK16rocblas_bfloat16KPKfKPfEEvlllT_PT11_llSC_llSA_PT12_llPT13_lli ; -- Begin function _ZN12_GLOBAL__N_135rocblas_gemm_batched_general_kernelIfLi16ELi16ELi32ELi32ELi8ELi32ELi8ELi8ELi32ELc84ELc84EKPK16rocblas_bfloat16KPKfKPfEEvlllT_PT11_llSC_llSA_PT12_llPT13_lli
	.p2align	8
	.type	_ZN12_GLOBAL__N_135rocblas_gemm_batched_general_kernelIfLi16ELi16ELi32ELi32ELi8ELi32ELi8ELi8ELi32ELc84ELc84EKPK16rocblas_bfloat16KPKfKPfEEvlllT_PT11_llSC_llSA_PT12_llPT13_lli,@function
_ZN12_GLOBAL__N_135rocblas_gemm_batched_general_kernelIfLi16ELi16ELi32ELi32ELi8ELi32ELi8ELi8ELi32ELc84ELc84EKPK16rocblas_bfloat16KPKfKPfEEvlllT_PT11_llSC_llSA_PT12_llPT13_lli: ; @_ZN12_GLOBAL__N_135rocblas_gemm_batched_general_kernelIfLi16ELi16ELi32ELi32ELi8ELi32ELi8ELi8ELi32ELc84ELc84EKPK16rocblas_bfloat16KPKfKPfEEvlllT_PT11_llSC_llSA_PT12_llPT13_lli
; %bb.0:
	s_clause 0x1
	s_load_dwordx8 s[12:19], s[4:5], 0x58
	s_load_dwordx2 s[34:35], s[4:5], 0x10
	s_mov_b32 s9, 0
	s_load_dwordx4 s[28:31], s[4:5], 0x0
	s_lshl_b64 s[42:43], s[8:9], 3
	s_load_dwordx4 s[8:11], s[4:5], 0x78
	s_mov_b32 s40, s7
	v_mov_b32_e32 v10, 0
	v_mov_b32_e32 v9, 0
	;; [unrolled: 1-line block ×4, first 2 shown]
	s_waitcnt lgkmcnt(0)
	s_add_u32 s0, s12, s42
	s_addc_u32 s1, s13, s43
	s_add_u32 s2, s18, s42
	s_addc_u32 s3, s19, s43
	s_load_dwordx2 s[12:13], s[0:1], 0x0
	s_load_dwordx2 s[2:3], s[2:3], 0x0
	v_cmp_lt_i64_e64 s0, s[34:35], 1
	s_ashr_i32 s7, s6, 31
	s_ashr_i32 s41, s40, 31
	s_lshl_b64 s[6:7], s[6:7], 5
	s_lshl_b64 s[18:19], s[40:41], 5
	s_and_b32 vcc_lo, exec_lo, s0
	s_cbranch_vccnz .LBB188_7
; %bb.1:
	s_clause 0x1
	s_load_dwordx4 s[36:39], s[4:5], 0x40
	s_load_dwordx8 s[20:27], s[4:5], 0x20
	v_lshl_add_u32 v2, v1, 4, v0
	v_and_b32_e32 v6, 7, v0
	v_mov_b32_e32 v3, s7
	v_mov_b32_e32 v7, 0
	v_lshlrev_b32_e32 v11, 2, v0
	v_and_b32_e32 v14, 31, v2
	v_lshrrev_b32_e32 v10, 3, v2
	v_lshrrev_b32_e32 v13, 5, v2
	v_lshlrev_b32_e32 v15, 2, v6
	v_lshl_add_u32 v12, v1, 5, 0x400
	v_or_b32_e32 v2, s6, v14
	v_add_co_u32 v4, s0, v10, s18
	v_add_co_ci_u32_e64 v5, null, 0, s19, s0
	v_add_co_u32 v17, s0, s6, v14
	v_add_co_ci_u32_e64 v18, null, s7, 0, s0
	s_waitcnt lgkmcnt(0)
	v_mad_u64_u32 v[8:9], null, s36, v6, 0
	v_cmp_gt_i64_e64 s0, s[28:29], v[2:3]
	v_lshlrev_b32_e32 v16, 2, v14
	v_cmp_gt_i64_e64 s1, s[30:31], v[4:5]
	v_mul_lo_u32 v5, s23, v17
	s_add_u32 s26, s26, s42
	s_addc_u32 s27, s27, s43
	v_mov_b32_e32 v2, v9
	v_lshl_or_b32 v14, v13, 7, v16
	v_mul_lo_u32 v16, s22, v18
	s_add_u32 s20, s20, s42
	s_addc_u32 s21, s21, s43
	v_mad_u64_u32 v[2:3], null, s37, v6, v[2:3]
	v_mad_u64_u32 v[3:4], null, s22, v17, 0
	s_load_dwordx2 s[22:23], s[26:27], 0x0
	s_load_dwordx2 s[20:21], s[20:21], 0x0
	s_lshl_b64 s[26:27], s[40:41], 6
	s_lshl_b64 s[38:39], s[38:39], 1
	v_mov_b32_e32 v9, v2
	s_add_u32 s26, s38, s26
	v_add3_u32 v4, v4, v16, v5
	s_addc_u32 s27, s39, s27
	s_lshl_b64 s[24:25], s[24:25], 1
	v_lshlrev_b64 v[8:9], 1, v[8:9]
	v_lshl_or_b32 v15, v10, 5, v15
	v_lshlrev_b64 v[2:3], 1, v[3:4]
	v_add_nc_u32_e32 v15, 0x400, v15
	v_add_co_u32 v4, vcc_lo, s26, v8
	v_lshlrev_b32_e32 v8, 1, v10
	v_add_co_ci_u32_e64 v5, null, s27, v9, vcc_lo
	v_add_co_u32 v2, vcc_lo, v2, s24
	v_lshlrev_b32_e32 v9, 1, v13
	v_add_co_ci_u32_e64 v3, null, s25, v3, vcc_lo
	v_add_co_u32 v4, vcc_lo, v4, v8
	v_add_co_ci_u32_e64 v5, null, 0, v5, vcc_lo
	v_add_co_u32 v8, vcc_lo, v2, v9
	v_add_co_ci_u32_e64 v9, null, 0, v3, vcc_lo
	s_waitcnt lgkmcnt(0)
	v_add_co_u32 v2, vcc_lo, s22, v4
	v_add_co_ci_u32_e64 v3, null, s23, v5, vcc_lo
	v_add_co_u32 v4, vcc_lo, s20, v8
	v_add_co_ci_u32_e64 v5, null, s21, v9, vcc_lo
	v_mov_b32_e32 v8, 0
	v_mov_b32_e32 v9, 0
	;; [unrolled: 1-line block ×3, first 2 shown]
	s_lshl_b64 s[20:21], s[36:37], 4
	s_mov_b64 s[22:23], 0
	s_branch .LBB188_3
.LBB188_2:                              ;   in Loop: Header=BB188_3 Depth=1
	s_or_b32 exec_lo, exec_lo, s24
	ds_write_b32 v15, v17
	s_waitcnt lgkmcnt(0)
	s_barrier
	buffer_gl0_inv
	ds_read_b128 v[16:19], v12
	ds_read2_b32 v[32:33], v11 offset1:16
	ds_read_b128 v[20:23], v12 offset:512
	ds_read2_b32 v[34:35], v11 offset0:32 offset1:48
	ds_read2_b32 v[36:37], v11 offset0:64 offset1:80
	;; [unrolled: 1-line block ×3, first 2 shown]
	ds_read_b128 v[24:27], v12 offset:16
	ds_read2_b32 v[40:41], v11 offset0:128 offset1:144
	ds_read_b128 v[28:31], v12 offset:528
	ds_read2_b32 v[42:43], v11 offset0:160 offset1:176
	s_add_u32 s22, s22, 8
	s_addc_u32 s23, s23, 0
	v_add_co_u32 v2, vcc_lo, v2, s20
	v_cmp_lt_i64_e64 s24, s[22:23], s[34:35]
	v_add_co_ci_u32_e64 v3, null, s21, v3, vcc_lo
	v_add_co_u32 v4, vcc_lo, v4, 16
	v_add_co_ci_u32_e64 v5, null, 0, v5, vcc_lo
	s_waitcnt lgkmcnt(8)
	v_fmac_f32_e32 v10, v32, v16
	v_fmac_f32_e32 v9, v33, v16
	s_waitcnt lgkmcnt(7)
	v_fmac_f32_e32 v8, v32, v20
	v_fmac_f32_e32 v7, v33, v20
	ds_read2_b32 v[32:33], v11 offset0:192 offset1:208
	s_waitcnt lgkmcnt(7)
	v_fmac_f32_e32 v10, v34, v17
	v_fmac_f32_e32 v9, v35, v17
	;; [unrolled: 1-line block ×4, first 2 shown]
	ds_read2_b32 v[16:17], v11 offset0:224 offset1:240
	s_waitcnt lgkmcnt(7)
	v_fmac_f32_e32 v10, v36, v18
	v_fmac_f32_e32 v9, v37, v18
	;; [unrolled: 1-line block ×4, first 2 shown]
	s_and_b32 vcc_lo, exec_lo, s24
	s_waitcnt lgkmcnt(6)
	v_fmac_f32_e32 v10, v38, v19
	v_fmac_f32_e32 v9, v39, v19
	;; [unrolled: 1-line block ×4, first 2 shown]
	s_waitcnt lgkmcnt(0)
	v_fmac_f32_e32 v10, v40, v24
	v_fmac_f32_e32 v9, v41, v24
	;; [unrolled: 1-line block ×4, first 2 shown]
	s_barrier
	v_fmac_f32_e32 v10, v42, v25
	v_fmac_f32_e32 v9, v43, v25
	;; [unrolled: 1-line block ×4, first 2 shown]
	buffer_gl0_inv
	v_fmac_f32_e32 v10, v32, v26
	v_fmac_f32_e32 v9, v33, v26
	;; [unrolled: 1-line block ×8, first 2 shown]
	s_cbranch_vccz .LBB188_7
.LBB188_3:                              ; =>This Inner Loop Header: Depth=1
	v_add_co_u32 v16, s24, v13, s22
	v_add_co_ci_u32_e64 v17, null, 0, s23, s24
	v_cmp_gt_i64_e32 vcc_lo, s[34:35], v[16:17]
	v_mov_b32_e32 v16, 0
	s_and_b32 s25, s0, vcc_lo
	s_and_saveexec_b32 s24, s25
	s_cbranch_execz .LBB188_5
; %bb.4:                                ;   in Loop: Header=BB188_3 Depth=1
	flat_load_ushort v16, v[4:5]
	s_waitcnt vmcnt(0) lgkmcnt(0)
	v_lshlrev_b32_e32 v16, 16, v16
.LBB188_5:                              ;   in Loop: Header=BB188_3 Depth=1
	s_or_b32 exec_lo, exec_lo, s24
	v_add_co_u32 v17, s24, v6, s22
	v_add_co_ci_u32_e64 v18, null, 0, s23, s24
	ds_write_b32 v14, v16
	v_cmp_gt_i64_e32 vcc_lo, s[34:35], v[17:18]
	v_mov_b32_e32 v17, 0
	s_and_b32 s25, vcc_lo, s1
	s_and_saveexec_b32 s24, s25
	s_cbranch_execz .LBB188_2
; %bb.6:                                ;   in Loop: Header=BB188_3 Depth=1
	flat_load_ushort v16, v[2:3]
	s_waitcnt vmcnt(0) lgkmcnt(0)
	v_lshlrev_b32_e32 v17, 16, v16
	s_branch .LBB188_2
.LBB188_7:
	s_clause 0x1
	s_load_dword s20, s[4:5], 0x50
	s_load_dword s4, s[4:5], 0x18
	v_add_co_u32 v1, s5, s18, v1
	v_add_co_ci_u32_e64 v2, null, s19, 0, s5
	s_lshl_b64 s[0:1], s[10:11], 2
	s_waitcnt lgkmcnt(0)
	s_add_u32 s5, s2, s0
	v_cmp_gt_i64_e64 s0, s[30:31], v[1:2]
	s_addc_u32 s3, s3, s1
	v_cmp_neq_f32_e64 s10, s20, 0
	s_and_b32 vcc_lo, exec_lo, s10
	s_cbranch_vccnz .LBB188_20
; %bb.8:
	s_and_saveexec_b32 s10, s0
	s_cbranch_execz .LBB188_18
; %bb.9:
	v_mul_lo_u32 v5, v2, s8
	v_mul_lo_u32 v6, v1, s9
	v_mad_u64_u32 v[3:4], null, v1, s8, 0
	v_add3_u32 v4, v4, v6, v5
	v_add_co_u32 v5, s1, s6, v0
	v_add_co_ci_u32_e64 v6, null, s7, 0, s1
	v_lshlrev_b64 v[11:12], 2, v[3:4]
	v_cmp_gt_i64_e32 vcc_lo, s[28:29], v[5:6]
	v_lshlrev_b64 v[3:4], 2, v[5:6]
	v_add_co_u32 v11, s1, s5, v11
	v_add_co_ci_u32_e64 v12, null, s3, v12, s1
	s_and_saveexec_b32 s2, vcc_lo
	s_cbranch_execz .LBB188_11
; %bb.10:
	v_add_co_u32 v13, s1, v11, v3
	v_add_co_ci_u32_e64 v14, null, v12, v4, s1
	v_mul_f32_e32 v15, s4, v10
	flat_store_dword v[13:14], v15
.LBB188_11:
	s_or_b32 exec_lo, exec_lo, s2
	v_add_co_u32 v5, s1, v5, 16
	v_add_co_ci_u32_e64 v6, null, 0, v6, s1
	v_cmp_gt_i64_e64 s1, s[28:29], v[5:6]
	s_and_saveexec_b32 s11, s1
	s_cbranch_execz .LBB188_13
; %bb.12:
	v_add_co_u32 v5, s2, v11, v3
	v_add_co_ci_u32_e64 v6, null, v12, v4, s2
	v_mul_f32_e32 v13, s4, v9
	flat_store_dword v[5:6], v13 offset:64
.LBB188_13:
	s_or_b32 exec_lo, exec_lo, s11
	v_add_co_u32 v5, s2, v1, 16
	v_add_co_ci_u32_e64 v6, null, 0, v2, s2
	v_cmp_gt_i64_e64 s2, s[30:31], v[5:6]
	s_and_b32 exec_lo, exec_lo, s2
	s_cbranch_execz .LBB188_18
; %bb.14:
	s_lshl_b64 s[18:19], s[8:9], 6
	v_add_co_u32 v5, s2, v11, s18
	v_add_co_ci_u32_e64 v6, null, s19, v12, s2
	v_add_co_u32 v3, s2, v5, v3
	v_add_co_ci_u32_e64 v4, null, v6, v4, s2
	s_and_saveexec_b32 s2, vcc_lo
	s_cbranch_execz .LBB188_16
; %bb.15:
	v_mul_f32_e32 v5, s4, v8
	flat_store_dword v[3:4], v5
.LBB188_16:
	s_or_b32 exec_lo, exec_lo, s2
	s_and_b32 exec_lo, exec_lo, s1
	s_cbranch_execz .LBB188_18
; %bb.17:
	v_mul_f32_e32 v5, s4, v7
	flat_store_dword v[3:4], v5 offset:64
.LBB188_18:
	s_or_b32 exec_lo, exec_lo, s10
	s_cbranch_execz .LBB188_21
.LBB188_19:
	s_endpgm
.LBB188_20:
.LBB188_21:
	s_and_saveexec_b32 s1, s0
	s_cbranch_execz .LBB188_19
; %bb.22:
	v_mul_lo_u32 v5, v2, s14
	v_mul_lo_u32 v6, v1, s15
	v_mad_u64_u32 v[3:4], null, v1, s14, 0
	v_mul_lo_u32 v13, v2, s8
	v_mul_lo_u32 v14, v1, s9
	v_mad_u64_u32 v[11:12], null, v1, s8, 0
	s_lshl_b64 s[0:1], s[16:17], 2
	v_add3_u32 v4, v4, v6, v5
	v_add_co_u32 v5, s2, s6, v0
	v_add_co_ci_u32_e64 v6, null, s7, 0, s2
	v_add3_u32 v12, v12, v14, v13
	v_lshlrev_b64 v[3:4], 2, v[3:4]
	s_add_u32 s0, s12, s0
	s_addc_u32 s1, s13, s1
	v_cmp_gt_i64_e32 vcc_lo, s[28:29], v[5:6]
	v_lshlrev_b64 v[12:13], 2, v[11:12]
	v_add_co_u32 v0, s0, s0, v3
	v_add_co_ci_u32_e64 v11, null, s1, v4, s0
	v_add_co_u32 v12, s0, s5, v12
	v_lshlrev_b64 v[3:4], 2, v[5:6]
	v_add_co_ci_u32_e64 v13, null, s3, v13, s0
	s_and_saveexec_b32 s1, vcc_lo
	s_cbranch_execz .LBB188_24
; %bb.23:
	v_add_co_u32 v14, s0, v0, v3
	v_add_co_ci_u32_e64 v15, null, v11, v4, s0
	flat_load_dword v14, v[14:15]
	s_waitcnt vmcnt(0) lgkmcnt(0)
	v_mul_f32_e32 v16, s20, v14
	v_add_co_u32 v14, s0, v12, v3
	v_add_co_ci_u32_e64 v15, null, v13, v4, s0
	v_fmac_f32_e32 v16, s4, v10
	flat_store_dword v[14:15], v16
.LBB188_24:
	s_or_b32 exec_lo, exec_lo, s1
	v_add_co_u32 v5, s0, v5, 16
	v_add_co_ci_u32_e64 v6, null, 0, v6, s0
	v_cmp_gt_i64_e64 s0, s[28:29], v[5:6]
	s_and_saveexec_b32 s2, s0
	s_cbranch_execz .LBB188_26
; %bb.25:
	v_add_co_u32 v5, s1, v0, v3
	v_add_co_ci_u32_e64 v6, null, v11, v4, s1
	flat_load_dword v5, v[5:6] offset:64
	s_waitcnt vmcnt(0) lgkmcnt(0)
	v_mul_f32_e32 v10, s20, v5
	v_add_co_u32 v5, s1, v12, v3
	v_add_co_ci_u32_e64 v6, null, v13, v4, s1
	v_fmac_f32_e32 v10, s4, v9
	flat_store_dword v[5:6], v10 offset:64
.LBB188_26:
	s_or_b32 exec_lo, exec_lo, s2
	v_add_co_u32 v1, s1, v1, 16
	v_add_co_ci_u32_e64 v2, null, 0, v2, s1
	v_cmp_gt_i64_e64 s1, s[30:31], v[1:2]
	s_and_b32 exec_lo, exec_lo, s1
	s_cbranch_execz .LBB188_19
; %bb.27:
	s_lshl_b64 s[2:3], s[14:15], 6
	v_add_co_u32 v0, s1, v0, s2
	v_add_co_ci_u32_e64 v1, null, s3, v11, s1
	s_lshl_b64 s[2:3], s[8:9], 6
	v_add_co_u32 v2, s1, v12, s2
	v_add_co_ci_u32_e64 v5, null, s3, v13, s1
	v_add_co_u32 v0, s1, v0, v3
	v_add_co_ci_u32_e64 v1, null, v1, v4, s1
	;; [unrolled: 2-line block ×3, first 2 shown]
	s_and_saveexec_b32 s1, vcc_lo
	s_cbranch_execz .LBB188_29
; %bb.28:
	flat_load_dword v4, v[0:1]
	s_waitcnt vmcnt(0) lgkmcnt(0)
	v_mul_f32_e32 v4, s20, v4
	v_fmac_f32_e32 v4, s4, v8
	flat_store_dword v[2:3], v4
.LBB188_29:
	s_or_b32 exec_lo, exec_lo, s1
	s_and_b32 exec_lo, exec_lo, s0
	s_cbranch_execz .LBB188_19
; %bb.30:
	flat_load_dword v0, v[0:1] offset:64
	s_waitcnt vmcnt(0) lgkmcnt(0)
	v_mul_f32_e32 v0, s20, v0
	v_fmac_f32_e32 v0, s4, v7
	flat_store_dword v[2:3], v0 offset:64
	s_endpgm
	.section	.rodata,"a",@progbits
	.p2align	6, 0x0
	.amdhsa_kernel _ZN12_GLOBAL__N_135rocblas_gemm_batched_general_kernelIfLi16ELi16ELi32ELi32ELi8ELi32ELi8ELi8ELi32ELc84ELc84EKPK16rocblas_bfloat16KPKfKPfEEvlllT_PT11_llSC_llSA_PT12_llPT13_lli
		.amdhsa_group_segment_fixed_size 2048
		.amdhsa_private_segment_fixed_size 0
		.amdhsa_kernarg_size 140
		.amdhsa_user_sgpr_count 6
		.amdhsa_user_sgpr_private_segment_buffer 1
		.amdhsa_user_sgpr_dispatch_ptr 0
		.amdhsa_user_sgpr_queue_ptr 0
		.amdhsa_user_sgpr_kernarg_segment_ptr 1
		.amdhsa_user_sgpr_dispatch_id 0
		.amdhsa_user_sgpr_flat_scratch_init 0
		.amdhsa_user_sgpr_private_segment_size 0
		.amdhsa_wavefront_size32 1
		.amdhsa_uses_dynamic_stack 0
		.amdhsa_system_sgpr_private_segment_wavefront_offset 0
		.amdhsa_system_sgpr_workgroup_id_x 1
		.amdhsa_system_sgpr_workgroup_id_y 1
		.amdhsa_system_sgpr_workgroup_id_z 1
		.amdhsa_system_sgpr_workgroup_info 0
		.amdhsa_system_vgpr_workitem_id 1
		.amdhsa_next_free_vgpr 44
		.amdhsa_next_free_sgpr 44
		.amdhsa_reserve_vcc 1
		.amdhsa_reserve_flat_scratch 0
		.amdhsa_float_round_mode_32 0
		.amdhsa_float_round_mode_16_64 0
		.amdhsa_float_denorm_mode_32 3
		.amdhsa_float_denorm_mode_16_64 3
		.amdhsa_dx10_clamp 1
		.amdhsa_ieee_mode 1
		.amdhsa_fp16_overflow 0
		.amdhsa_workgroup_processor_mode 1
		.amdhsa_memory_ordered 1
		.amdhsa_forward_progress 1
		.amdhsa_shared_vgpr_count 0
		.amdhsa_exception_fp_ieee_invalid_op 0
		.amdhsa_exception_fp_denorm_src 0
		.amdhsa_exception_fp_ieee_div_zero 0
		.amdhsa_exception_fp_ieee_overflow 0
		.amdhsa_exception_fp_ieee_underflow 0
		.amdhsa_exception_fp_ieee_inexact 0
		.amdhsa_exception_int_div_zero 0
	.end_amdhsa_kernel
	.section	.text._ZN12_GLOBAL__N_135rocblas_gemm_batched_general_kernelIfLi16ELi16ELi32ELi32ELi8ELi32ELi8ELi8ELi32ELc84ELc84EKPK16rocblas_bfloat16KPKfKPfEEvlllT_PT11_llSC_llSA_PT12_llPT13_lli,"axG",@progbits,_ZN12_GLOBAL__N_135rocblas_gemm_batched_general_kernelIfLi16ELi16ELi32ELi32ELi8ELi32ELi8ELi8ELi32ELc84ELc84EKPK16rocblas_bfloat16KPKfKPfEEvlllT_PT11_llSC_llSA_PT12_llPT13_lli,comdat
.Lfunc_end188:
	.size	_ZN12_GLOBAL__N_135rocblas_gemm_batched_general_kernelIfLi16ELi16ELi32ELi32ELi8ELi32ELi8ELi8ELi32ELc84ELc84EKPK16rocblas_bfloat16KPKfKPfEEvlllT_PT11_llSC_llSA_PT12_llPT13_lli, .Lfunc_end188-_ZN12_GLOBAL__N_135rocblas_gemm_batched_general_kernelIfLi16ELi16ELi32ELi32ELi8ELi32ELi8ELi8ELi32ELc84ELc84EKPK16rocblas_bfloat16KPKfKPfEEvlllT_PT11_llSC_llSA_PT12_llPT13_lli
                                        ; -- End function
	.set _ZN12_GLOBAL__N_135rocblas_gemm_batched_general_kernelIfLi16ELi16ELi32ELi32ELi8ELi32ELi8ELi8ELi32ELc84ELc84EKPK16rocblas_bfloat16KPKfKPfEEvlllT_PT11_llSC_llSA_PT12_llPT13_lli.num_vgpr, 44
	.set _ZN12_GLOBAL__N_135rocblas_gemm_batched_general_kernelIfLi16ELi16ELi32ELi32ELi8ELi32ELi8ELi8ELi32ELc84ELc84EKPK16rocblas_bfloat16KPKfKPfEEvlllT_PT11_llSC_llSA_PT12_llPT13_lli.num_agpr, 0
	.set _ZN12_GLOBAL__N_135rocblas_gemm_batched_general_kernelIfLi16ELi16ELi32ELi32ELi8ELi32ELi8ELi8ELi32ELc84ELc84EKPK16rocblas_bfloat16KPKfKPfEEvlllT_PT11_llSC_llSA_PT12_llPT13_lli.numbered_sgpr, 44
	.set _ZN12_GLOBAL__N_135rocblas_gemm_batched_general_kernelIfLi16ELi16ELi32ELi32ELi8ELi32ELi8ELi8ELi32ELc84ELc84EKPK16rocblas_bfloat16KPKfKPfEEvlllT_PT11_llSC_llSA_PT12_llPT13_lli.num_named_barrier, 0
	.set _ZN12_GLOBAL__N_135rocblas_gemm_batched_general_kernelIfLi16ELi16ELi32ELi32ELi8ELi32ELi8ELi8ELi32ELc84ELc84EKPK16rocblas_bfloat16KPKfKPfEEvlllT_PT11_llSC_llSA_PT12_llPT13_lli.private_seg_size, 0
	.set _ZN12_GLOBAL__N_135rocblas_gemm_batched_general_kernelIfLi16ELi16ELi32ELi32ELi8ELi32ELi8ELi8ELi32ELc84ELc84EKPK16rocblas_bfloat16KPKfKPfEEvlllT_PT11_llSC_llSA_PT12_llPT13_lli.uses_vcc, 1
	.set _ZN12_GLOBAL__N_135rocblas_gemm_batched_general_kernelIfLi16ELi16ELi32ELi32ELi8ELi32ELi8ELi8ELi32ELc84ELc84EKPK16rocblas_bfloat16KPKfKPfEEvlllT_PT11_llSC_llSA_PT12_llPT13_lli.uses_flat_scratch, 0
	.set _ZN12_GLOBAL__N_135rocblas_gemm_batched_general_kernelIfLi16ELi16ELi32ELi32ELi8ELi32ELi8ELi8ELi32ELc84ELc84EKPK16rocblas_bfloat16KPKfKPfEEvlllT_PT11_llSC_llSA_PT12_llPT13_lli.has_dyn_sized_stack, 0
	.set _ZN12_GLOBAL__N_135rocblas_gemm_batched_general_kernelIfLi16ELi16ELi32ELi32ELi8ELi32ELi8ELi8ELi32ELc84ELc84EKPK16rocblas_bfloat16KPKfKPfEEvlllT_PT11_llSC_llSA_PT12_llPT13_lli.has_recursion, 0
	.set _ZN12_GLOBAL__N_135rocblas_gemm_batched_general_kernelIfLi16ELi16ELi32ELi32ELi8ELi32ELi8ELi8ELi32ELc84ELc84EKPK16rocblas_bfloat16KPKfKPfEEvlllT_PT11_llSC_llSA_PT12_llPT13_lli.has_indirect_call, 0
	.section	.AMDGPU.csdata,"",@progbits
; Kernel info:
; codeLenInByte = 1916
; TotalNumSgprs: 46
; NumVgprs: 44
; ScratchSize: 0
; MemoryBound: 0
; FloatMode: 240
; IeeeMode: 1
; LDSByteSize: 2048 bytes/workgroup (compile time only)
; SGPRBlocks: 0
; VGPRBlocks: 5
; NumSGPRsForWavesPerEU: 46
; NumVGPRsForWavesPerEU: 44
; Occupancy: 16
; WaveLimiterHint : 1
; COMPUTE_PGM_RSRC2:SCRATCH_EN: 0
; COMPUTE_PGM_RSRC2:USER_SGPR: 6
; COMPUTE_PGM_RSRC2:TRAP_HANDLER: 0
; COMPUTE_PGM_RSRC2:TGID_X_EN: 1
; COMPUTE_PGM_RSRC2:TGID_Y_EN: 1
; COMPUTE_PGM_RSRC2:TGID_Z_EN: 1
; COMPUTE_PGM_RSRC2:TIDIG_COMP_CNT: 1
	.section	.text._ZN12_GLOBAL__N_135rocblas_gemm_batched_general_kernelIfLi16ELi16ELi32ELi32ELi8ELi32ELi8ELi8ELi32ELc67ELc67EKPK16rocblas_bfloat16KPKfKPfEEvlllT_PT11_llSC_llSA_PT12_llPT13_lli,"axG",@progbits,_ZN12_GLOBAL__N_135rocblas_gemm_batched_general_kernelIfLi16ELi16ELi32ELi32ELi8ELi32ELi8ELi8ELi32ELc67ELc67EKPK16rocblas_bfloat16KPKfKPfEEvlllT_PT11_llSC_llSA_PT12_llPT13_lli,comdat
	.globl	_ZN12_GLOBAL__N_135rocblas_gemm_batched_general_kernelIfLi16ELi16ELi32ELi32ELi8ELi32ELi8ELi8ELi32ELc67ELc67EKPK16rocblas_bfloat16KPKfKPfEEvlllT_PT11_llSC_llSA_PT12_llPT13_lli ; -- Begin function _ZN12_GLOBAL__N_135rocblas_gemm_batched_general_kernelIfLi16ELi16ELi32ELi32ELi8ELi32ELi8ELi8ELi32ELc67ELc67EKPK16rocblas_bfloat16KPKfKPfEEvlllT_PT11_llSC_llSA_PT12_llPT13_lli
	.p2align	8
	.type	_ZN12_GLOBAL__N_135rocblas_gemm_batched_general_kernelIfLi16ELi16ELi32ELi32ELi8ELi32ELi8ELi8ELi32ELc67ELc67EKPK16rocblas_bfloat16KPKfKPfEEvlllT_PT11_llSC_llSA_PT12_llPT13_lli,@function
_ZN12_GLOBAL__N_135rocblas_gemm_batched_general_kernelIfLi16ELi16ELi32ELi32ELi8ELi32ELi8ELi8ELi32ELc67ELc67EKPK16rocblas_bfloat16KPKfKPfEEvlllT_PT11_llSC_llSA_PT12_llPT13_lli: ; @_ZN12_GLOBAL__N_135rocblas_gemm_batched_general_kernelIfLi16ELi16ELi32ELi32ELi8ELi32ELi8ELi8ELi32ELc67ELc67EKPK16rocblas_bfloat16KPKfKPfEEvlllT_PT11_llSC_llSA_PT12_llPT13_lli
; %bb.0:
	s_clause 0x1
	s_load_dwordx8 s[12:19], s[4:5], 0x58
	s_load_dwordx2 s[34:35], s[4:5], 0x10
	s_mov_b32 s9, 0
	s_load_dwordx4 s[28:31], s[4:5], 0x0
	s_lshl_b64 s[42:43], s[8:9], 3
	s_load_dwordx4 s[8:11], s[4:5], 0x78
	s_mov_b32 s40, s7
	v_mov_b32_e32 v10, 0
	v_mov_b32_e32 v9, 0
	;; [unrolled: 1-line block ×4, first 2 shown]
	s_waitcnt lgkmcnt(0)
	s_add_u32 s0, s12, s42
	s_addc_u32 s1, s13, s43
	s_add_u32 s2, s18, s42
	s_addc_u32 s3, s19, s43
	s_load_dwordx2 s[12:13], s[0:1], 0x0
	s_load_dwordx2 s[2:3], s[2:3], 0x0
	v_cmp_lt_i64_e64 s0, s[34:35], 1
	s_ashr_i32 s7, s6, 31
	s_ashr_i32 s41, s40, 31
	s_lshl_b64 s[6:7], s[6:7], 5
	s_lshl_b64 s[18:19], s[40:41], 5
	s_and_b32 vcc_lo, exec_lo, s0
	s_cbranch_vccnz .LBB189_7
; %bb.1:
	s_clause 0x1
	s_load_dwordx4 s[36:39], s[4:5], 0x40
	s_load_dwordx8 s[20:27], s[4:5], 0x20
	v_lshl_add_u32 v2, v1, 4, v0
	v_and_b32_e32 v6, 7, v0
	v_mov_b32_e32 v3, s7
	v_mov_b32_e32 v7, 0
	v_lshlrev_b32_e32 v11, 2, v0
	v_and_b32_e32 v14, 31, v2
	v_lshrrev_b32_e32 v10, 3, v2
	v_lshrrev_b32_e32 v13, 5, v2
	v_lshlrev_b32_e32 v15, 2, v6
	v_lshl_add_u32 v12, v1, 5, 0x400
	v_or_b32_e32 v2, s6, v14
	v_add_co_u32 v4, s0, v10, s18
	v_add_co_ci_u32_e64 v5, null, 0, s19, s0
	v_add_co_u32 v17, s0, s6, v14
	v_add_co_ci_u32_e64 v18, null, s7, 0, s0
	s_waitcnt lgkmcnt(0)
	v_mad_u64_u32 v[8:9], null, s36, v6, 0
	v_cmp_gt_i64_e64 s0, s[28:29], v[2:3]
	v_lshlrev_b32_e32 v16, 2, v14
	v_cmp_gt_i64_e64 s1, s[30:31], v[4:5]
	v_mul_lo_u32 v5, s23, v17
	s_add_u32 s26, s26, s42
	s_addc_u32 s27, s27, s43
	v_mov_b32_e32 v2, v9
	v_lshl_or_b32 v14, v13, 7, v16
	v_mul_lo_u32 v16, s22, v18
	s_add_u32 s20, s20, s42
	s_addc_u32 s21, s21, s43
	v_mad_u64_u32 v[2:3], null, s37, v6, v[2:3]
	v_mad_u64_u32 v[3:4], null, s22, v17, 0
	s_load_dwordx2 s[22:23], s[26:27], 0x0
	s_load_dwordx2 s[20:21], s[20:21], 0x0
	s_lshl_b64 s[26:27], s[40:41], 6
	s_lshl_b64 s[38:39], s[38:39], 1
	v_mov_b32_e32 v9, v2
	s_add_u32 s26, s38, s26
	v_add3_u32 v4, v4, v16, v5
	s_addc_u32 s27, s39, s27
	s_lshl_b64 s[24:25], s[24:25], 1
	v_lshlrev_b64 v[8:9], 1, v[8:9]
	v_lshl_or_b32 v15, v10, 5, v15
	v_lshlrev_b64 v[2:3], 1, v[3:4]
	v_add_nc_u32_e32 v15, 0x400, v15
	v_add_co_u32 v4, vcc_lo, s26, v8
	v_lshlrev_b32_e32 v8, 1, v10
	v_add_co_ci_u32_e64 v5, null, s27, v9, vcc_lo
	v_add_co_u32 v2, vcc_lo, v2, s24
	v_lshlrev_b32_e32 v9, 1, v13
	v_add_co_ci_u32_e64 v3, null, s25, v3, vcc_lo
	v_add_co_u32 v4, vcc_lo, v4, v8
	v_add_co_ci_u32_e64 v5, null, 0, v5, vcc_lo
	v_add_co_u32 v8, vcc_lo, v2, v9
	v_add_co_ci_u32_e64 v9, null, 0, v3, vcc_lo
	s_waitcnt lgkmcnt(0)
	v_add_co_u32 v2, vcc_lo, s22, v4
	v_add_co_ci_u32_e64 v3, null, s23, v5, vcc_lo
	v_add_co_u32 v4, vcc_lo, s20, v8
	v_add_co_ci_u32_e64 v5, null, s21, v9, vcc_lo
	v_mov_b32_e32 v8, 0
	v_mov_b32_e32 v9, 0
	;; [unrolled: 1-line block ×3, first 2 shown]
	s_lshl_b64 s[20:21], s[36:37], 4
	s_mov_b64 s[22:23], 0
	s_branch .LBB189_3
.LBB189_2:                              ;   in Loop: Header=BB189_3 Depth=1
	s_or_b32 exec_lo, exec_lo, s24
	ds_write_b32 v15, v17
	s_waitcnt lgkmcnt(0)
	s_barrier
	buffer_gl0_inv
	ds_read_b128 v[16:19], v12
	ds_read2_b32 v[32:33], v11 offset1:16
	ds_read_b128 v[20:23], v12 offset:512
	ds_read2_b32 v[34:35], v11 offset0:32 offset1:48
	ds_read2_b32 v[36:37], v11 offset0:64 offset1:80
	;; [unrolled: 1-line block ×3, first 2 shown]
	ds_read_b128 v[24:27], v12 offset:16
	ds_read2_b32 v[40:41], v11 offset0:128 offset1:144
	ds_read_b128 v[28:31], v12 offset:528
	ds_read2_b32 v[42:43], v11 offset0:160 offset1:176
	s_add_u32 s22, s22, 8
	s_addc_u32 s23, s23, 0
	v_add_co_u32 v2, vcc_lo, v2, s20
	v_cmp_lt_i64_e64 s24, s[22:23], s[34:35]
	v_add_co_ci_u32_e64 v3, null, s21, v3, vcc_lo
	v_add_co_u32 v4, vcc_lo, v4, 16
	v_add_co_ci_u32_e64 v5, null, 0, v5, vcc_lo
	s_waitcnt lgkmcnt(8)
	v_fmac_f32_e32 v10, v32, v16
	v_fmac_f32_e32 v9, v33, v16
	s_waitcnt lgkmcnt(7)
	v_fmac_f32_e32 v8, v32, v20
	v_fmac_f32_e32 v7, v33, v20
	ds_read2_b32 v[32:33], v11 offset0:192 offset1:208
	s_waitcnt lgkmcnt(7)
	v_fmac_f32_e32 v10, v34, v17
	v_fmac_f32_e32 v9, v35, v17
	v_fmac_f32_e32 v8, v34, v21
	v_fmac_f32_e32 v7, v35, v21
	ds_read2_b32 v[16:17], v11 offset0:224 offset1:240
	s_waitcnt lgkmcnt(7)
	v_fmac_f32_e32 v10, v36, v18
	v_fmac_f32_e32 v9, v37, v18
	;; [unrolled: 1-line block ×4, first 2 shown]
	s_and_b32 vcc_lo, exec_lo, s24
	s_waitcnt lgkmcnt(6)
	v_fmac_f32_e32 v10, v38, v19
	v_fmac_f32_e32 v9, v39, v19
	;; [unrolled: 1-line block ×4, first 2 shown]
	s_waitcnt lgkmcnt(0)
	v_fmac_f32_e32 v10, v40, v24
	v_fmac_f32_e32 v9, v41, v24
	;; [unrolled: 1-line block ×4, first 2 shown]
	s_barrier
	v_fmac_f32_e32 v10, v42, v25
	v_fmac_f32_e32 v9, v43, v25
	;; [unrolled: 1-line block ×4, first 2 shown]
	buffer_gl0_inv
	v_fmac_f32_e32 v10, v32, v26
	v_fmac_f32_e32 v9, v33, v26
	;; [unrolled: 1-line block ×8, first 2 shown]
	s_cbranch_vccz .LBB189_7
.LBB189_3:                              ; =>This Inner Loop Header: Depth=1
	v_add_co_u32 v16, s24, v13, s22
	v_add_co_ci_u32_e64 v17, null, 0, s23, s24
	v_cmp_gt_i64_e32 vcc_lo, s[34:35], v[16:17]
	v_mov_b32_e32 v16, 0
	s_and_b32 s25, s0, vcc_lo
	s_and_saveexec_b32 s24, s25
	s_cbranch_execz .LBB189_5
; %bb.4:                                ;   in Loop: Header=BB189_3 Depth=1
	flat_load_ushort v16, v[4:5]
	s_waitcnt vmcnt(0) lgkmcnt(0)
	v_lshlrev_b32_e32 v16, 16, v16
.LBB189_5:                              ;   in Loop: Header=BB189_3 Depth=1
	s_or_b32 exec_lo, exec_lo, s24
	v_add_co_u32 v17, s24, v6, s22
	v_add_co_ci_u32_e64 v18, null, 0, s23, s24
	ds_write_b32 v14, v16
	v_cmp_gt_i64_e32 vcc_lo, s[34:35], v[17:18]
	v_mov_b32_e32 v17, 0
	s_and_b32 s25, vcc_lo, s1
	s_and_saveexec_b32 s24, s25
	s_cbranch_execz .LBB189_2
; %bb.6:                                ;   in Loop: Header=BB189_3 Depth=1
	flat_load_ushort v16, v[2:3]
	s_waitcnt vmcnt(0) lgkmcnt(0)
	v_lshlrev_b32_e32 v17, 16, v16
	s_branch .LBB189_2
.LBB189_7:
	s_clause 0x1
	s_load_dword s20, s[4:5], 0x50
	s_load_dword s4, s[4:5], 0x18
	v_add_co_u32 v1, s5, s18, v1
	v_add_co_ci_u32_e64 v2, null, s19, 0, s5
	s_lshl_b64 s[0:1], s[10:11], 2
	s_waitcnt lgkmcnt(0)
	s_add_u32 s5, s2, s0
	v_cmp_gt_i64_e64 s0, s[30:31], v[1:2]
	s_addc_u32 s3, s3, s1
	v_cmp_neq_f32_e64 s10, s20, 0
	s_and_b32 vcc_lo, exec_lo, s10
	s_cbranch_vccnz .LBB189_20
; %bb.8:
	s_and_saveexec_b32 s10, s0
	s_cbranch_execz .LBB189_18
; %bb.9:
	v_mul_lo_u32 v5, v2, s8
	v_mul_lo_u32 v6, v1, s9
	v_mad_u64_u32 v[3:4], null, v1, s8, 0
	v_add3_u32 v4, v4, v6, v5
	v_add_co_u32 v5, s1, s6, v0
	v_add_co_ci_u32_e64 v6, null, s7, 0, s1
	v_lshlrev_b64 v[11:12], 2, v[3:4]
	v_cmp_gt_i64_e32 vcc_lo, s[28:29], v[5:6]
	v_lshlrev_b64 v[3:4], 2, v[5:6]
	v_add_co_u32 v11, s1, s5, v11
	v_add_co_ci_u32_e64 v12, null, s3, v12, s1
	s_and_saveexec_b32 s2, vcc_lo
	s_cbranch_execz .LBB189_11
; %bb.10:
	v_add_co_u32 v13, s1, v11, v3
	v_add_co_ci_u32_e64 v14, null, v12, v4, s1
	v_mul_f32_e32 v15, s4, v10
	flat_store_dword v[13:14], v15
.LBB189_11:
	s_or_b32 exec_lo, exec_lo, s2
	v_add_co_u32 v5, s1, v5, 16
	v_add_co_ci_u32_e64 v6, null, 0, v6, s1
	v_cmp_gt_i64_e64 s1, s[28:29], v[5:6]
	s_and_saveexec_b32 s11, s1
	s_cbranch_execz .LBB189_13
; %bb.12:
	v_add_co_u32 v5, s2, v11, v3
	v_add_co_ci_u32_e64 v6, null, v12, v4, s2
	v_mul_f32_e32 v13, s4, v9
	flat_store_dword v[5:6], v13 offset:64
.LBB189_13:
	s_or_b32 exec_lo, exec_lo, s11
	v_add_co_u32 v5, s2, v1, 16
	v_add_co_ci_u32_e64 v6, null, 0, v2, s2
	v_cmp_gt_i64_e64 s2, s[30:31], v[5:6]
	s_and_b32 exec_lo, exec_lo, s2
	s_cbranch_execz .LBB189_18
; %bb.14:
	s_lshl_b64 s[18:19], s[8:9], 6
	v_add_co_u32 v5, s2, v11, s18
	v_add_co_ci_u32_e64 v6, null, s19, v12, s2
	v_add_co_u32 v3, s2, v5, v3
	v_add_co_ci_u32_e64 v4, null, v6, v4, s2
	s_and_saveexec_b32 s2, vcc_lo
	s_cbranch_execz .LBB189_16
; %bb.15:
	v_mul_f32_e32 v5, s4, v8
	flat_store_dword v[3:4], v5
.LBB189_16:
	s_or_b32 exec_lo, exec_lo, s2
	s_and_b32 exec_lo, exec_lo, s1
	s_cbranch_execz .LBB189_18
; %bb.17:
	v_mul_f32_e32 v5, s4, v7
	flat_store_dword v[3:4], v5 offset:64
.LBB189_18:
	s_or_b32 exec_lo, exec_lo, s10
	s_cbranch_execz .LBB189_21
.LBB189_19:
	s_endpgm
.LBB189_20:
.LBB189_21:
	s_and_saveexec_b32 s1, s0
	s_cbranch_execz .LBB189_19
; %bb.22:
	v_mul_lo_u32 v5, v2, s14
	v_mul_lo_u32 v6, v1, s15
	v_mad_u64_u32 v[3:4], null, v1, s14, 0
	v_mul_lo_u32 v13, v2, s8
	v_mul_lo_u32 v14, v1, s9
	v_mad_u64_u32 v[11:12], null, v1, s8, 0
	s_lshl_b64 s[0:1], s[16:17], 2
	v_add3_u32 v4, v4, v6, v5
	v_add_co_u32 v5, s2, s6, v0
	v_add_co_ci_u32_e64 v6, null, s7, 0, s2
	v_add3_u32 v12, v12, v14, v13
	v_lshlrev_b64 v[3:4], 2, v[3:4]
	s_add_u32 s0, s12, s0
	s_addc_u32 s1, s13, s1
	v_cmp_gt_i64_e32 vcc_lo, s[28:29], v[5:6]
	v_lshlrev_b64 v[12:13], 2, v[11:12]
	v_add_co_u32 v0, s0, s0, v3
	v_add_co_ci_u32_e64 v11, null, s1, v4, s0
	v_add_co_u32 v12, s0, s5, v12
	v_lshlrev_b64 v[3:4], 2, v[5:6]
	v_add_co_ci_u32_e64 v13, null, s3, v13, s0
	s_and_saveexec_b32 s1, vcc_lo
	s_cbranch_execz .LBB189_24
; %bb.23:
	v_add_co_u32 v14, s0, v0, v3
	v_add_co_ci_u32_e64 v15, null, v11, v4, s0
	flat_load_dword v14, v[14:15]
	s_waitcnt vmcnt(0) lgkmcnt(0)
	v_mul_f32_e32 v16, s20, v14
	v_add_co_u32 v14, s0, v12, v3
	v_add_co_ci_u32_e64 v15, null, v13, v4, s0
	v_fmac_f32_e32 v16, s4, v10
	flat_store_dword v[14:15], v16
.LBB189_24:
	s_or_b32 exec_lo, exec_lo, s1
	v_add_co_u32 v5, s0, v5, 16
	v_add_co_ci_u32_e64 v6, null, 0, v6, s0
	v_cmp_gt_i64_e64 s0, s[28:29], v[5:6]
	s_and_saveexec_b32 s2, s0
	s_cbranch_execz .LBB189_26
; %bb.25:
	v_add_co_u32 v5, s1, v0, v3
	v_add_co_ci_u32_e64 v6, null, v11, v4, s1
	flat_load_dword v5, v[5:6] offset:64
	s_waitcnt vmcnt(0) lgkmcnt(0)
	v_mul_f32_e32 v10, s20, v5
	v_add_co_u32 v5, s1, v12, v3
	v_add_co_ci_u32_e64 v6, null, v13, v4, s1
	v_fmac_f32_e32 v10, s4, v9
	flat_store_dword v[5:6], v10 offset:64
.LBB189_26:
	s_or_b32 exec_lo, exec_lo, s2
	v_add_co_u32 v1, s1, v1, 16
	v_add_co_ci_u32_e64 v2, null, 0, v2, s1
	v_cmp_gt_i64_e64 s1, s[30:31], v[1:2]
	s_and_b32 exec_lo, exec_lo, s1
	s_cbranch_execz .LBB189_19
; %bb.27:
	s_lshl_b64 s[2:3], s[14:15], 6
	v_add_co_u32 v0, s1, v0, s2
	v_add_co_ci_u32_e64 v1, null, s3, v11, s1
	s_lshl_b64 s[2:3], s[8:9], 6
	v_add_co_u32 v2, s1, v12, s2
	v_add_co_ci_u32_e64 v5, null, s3, v13, s1
	v_add_co_u32 v0, s1, v0, v3
	v_add_co_ci_u32_e64 v1, null, v1, v4, s1
	;; [unrolled: 2-line block ×3, first 2 shown]
	s_and_saveexec_b32 s1, vcc_lo
	s_cbranch_execz .LBB189_29
; %bb.28:
	flat_load_dword v4, v[0:1]
	s_waitcnt vmcnt(0) lgkmcnt(0)
	v_mul_f32_e32 v4, s20, v4
	v_fmac_f32_e32 v4, s4, v8
	flat_store_dword v[2:3], v4
.LBB189_29:
	s_or_b32 exec_lo, exec_lo, s1
	s_and_b32 exec_lo, exec_lo, s0
	s_cbranch_execz .LBB189_19
; %bb.30:
	flat_load_dword v0, v[0:1] offset:64
	s_waitcnt vmcnt(0) lgkmcnt(0)
	v_mul_f32_e32 v0, s20, v0
	v_fmac_f32_e32 v0, s4, v7
	flat_store_dword v[2:3], v0 offset:64
	s_endpgm
	.section	.rodata,"a",@progbits
	.p2align	6, 0x0
	.amdhsa_kernel _ZN12_GLOBAL__N_135rocblas_gemm_batched_general_kernelIfLi16ELi16ELi32ELi32ELi8ELi32ELi8ELi8ELi32ELc67ELc67EKPK16rocblas_bfloat16KPKfKPfEEvlllT_PT11_llSC_llSA_PT12_llPT13_lli
		.amdhsa_group_segment_fixed_size 2048
		.amdhsa_private_segment_fixed_size 0
		.amdhsa_kernarg_size 140
		.amdhsa_user_sgpr_count 6
		.amdhsa_user_sgpr_private_segment_buffer 1
		.amdhsa_user_sgpr_dispatch_ptr 0
		.amdhsa_user_sgpr_queue_ptr 0
		.amdhsa_user_sgpr_kernarg_segment_ptr 1
		.amdhsa_user_sgpr_dispatch_id 0
		.amdhsa_user_sgpr_flat_scratch_init 0
		.amdhsa_user_sgpr_private_segment_size 0
		.amdhsa_wavefront_size32 1
		.amdhsa_uses_dynamic_stack 0
		.amdhsa_system_sgpr_private_segment_wavefront_offset 0
		.amdhsa_system_sgpr_workgroup_id_x 1
		.amdhsa_system_sgpr_workgroup_id_y 1
		.amdhsa_system_sgpr_workgroup_id_z 1
		.amdhsa_system_sgpr_workgroup_info 0
		.amdhsa_system_vgpr_workitem_id 1
		.amdhsa_next_free_vgpr 44
		.amdhsa_next_free_sgpr 44
		.amdhsa_reserve_vcc 1
		.amdhsa_reserve_flat_scratch 0
		.amdhsa_float_round_mode_32 0
		.amdhsa_float_round_mode_16_64 0
		.amdhsa_float_denorm_mode_32 3
		.amdhsa_float_denorm_mode_16_64 3
		.amdhsa_dx10_clamp 1
		.amdhsa_ieee_mode 1
		.amdhsa_fp16_overflow 0
		.amdhsa_workgroup_processor_mode 1
		.amdhsa_memory_ordered 1
		.amdhsa_forward_progress 1
		.amdhsa_shared_vgpr_count 0
		.amdhsa_exception_fp_ieee_invalid_op 0
		.amdhsa_exception_fp_denorm_src 0
		.amdhsa_exception_fp_ieee_div_zero 0
		.amdhsa_exception_fp_ieee_overflow 0
		.amdhsa_exception_fp_ieee_underflow 0
		.amdhsa_exception_fp_ieee_inexact 0
		.amdhsa_exception_int_div_zero 0
	.end_amdhsa_kernel
	.section	.text._ZN12_GLOBAL__N_135rocblas_gemm_batched_general_kernelIfLi16ELi16ELi32ELi32ELi8ELi32ELi8ELi8ELi32ELc67ELc67EKPK16rocblas_bfloat16KPKfKPfEEvlllT_PT11_llSC_llSA_PT12_llPT13_lli,"axG",@progbits,_ZN12_GLOBAL__N_135rocblas_gemm_batched_general_kernelIfLi16ELi16ELi32ELi32ELi8ELi32ELi8ELi8ELi32ELc67ELc67EKPK16rocblas_bfloat16KPKfKPfEEvlllT_PT11_llSC_llSA_PT12_llPT13_lli,comdat
.Lfunc_end189:
	.size	_ZN12_GLOBAL__N_135rocblas_gemm_batched_general_kernelIfLi16ELi16ELi32ELi32ELi8ELi32ELi8ELi8ELi32ELc67ELc67EKPK16rocblas_bfloat16KPKfKPfEEvlllT_PT11_llSC_llSA_PT12_llPT13_lli, .Lfunc_end189-_ZN12_GLOBAL__N_135rocblas_gemm_batched_general_kernelIfLi16ELi16ELi32ELi32ELi8ELi32ELi8ELi8ELi32ELc67ELc67EKPK16rocblas_bfloat16KPKfKPfEEvlllT_PT11_llSC_llSA_PT12_llPT13_lli
                                        ; -- End function
	.set _ZN12_GLOBAL__N_135rocblas_gemm_batched_general_kernelIfLi16ELi16ELi32ELi32ELi8ELi32ELi8ELi8ELi32ELc67ELc67EKPK16rocblas_bfloat16KPKfKPfEEvlllT_PT11_llSC_llSA_PT12_llPT13_lli.num_vgpr, 44
	.set _ZN12_GLOBAL__N_135rocblas_gemm_batched_general_kernelIfLi16ELi16ELi32ELi32ELi8ELi32ELi8ELi8ELi32ELc67ELc67EKPK16rocblas_bfloat16KPKfKPfEEvlllT_PT11_llSC_llSA_PT12_llPT13_lli.num_agpr, 0
	.set _ZN12_GLOBAL__N_135rocblas_gemm_batched_general_kernelIfLi16ELi16ELi32ELi32ELi8ELi32ELi8ELi8ELi32ELc67ELc67EKPK16rocblas_bfloat16KPKfKPfEEvlllT_PT11_llSC_llSA_PT12_llPT13_lli.numbered_sgpr, 44
	.set _ZN12_GLOBAL__N_135rocblas_gemm_batched_general_kernelIfLi16ELi16ELi32ELi32ELi8ELi32ELi8ELi8ELi32ELc67ELc67EKPK16rocblas_bfloat16KPKfKPfEEvlllT_PT11_llSC_llSA_PT12_llPT13_lli.num_named_barrier, 0
	.set _ZN12_GLOBAL__N_135rocblas_gemm_batched_general_kernelIfLi16ELi16ELi32ELi32ELi8ELi32ELi8ELi8ELi32ELc67ELc67EKPK16rocblas_bfloat16KPKfKPfEEvlllT_PT11_llSC_llSA_PT12_llPT13_lli.private_seg_size, 0
	.set _ZN12_GLOBAL__N_135rocblas_gemm_batched_general_kernelIfLi16ELi16ELi32ELi32ELi8ELi32ELi8ELi8ELi32ELc67ELc67EKPK16rocblas_bfloat16KPKfKPfEEvlllT_PT11_llSC_llSA_PT12_llPT13_lli.uses_vcc, 1
	.set _ZN12_GLOBAL__N_135rocblas_gemm_batched_general_kernelIfLi16ELi16ELi32ELi32ELi8ELi32ELi8ELi8ELi32ELc67ELc67EKPK16rocblas_bfloat16KPKfKPfEEvlllT_PT11_llSC_llSA_PT12_llPT13_lli.uses_flat_scratch, 0
	.set _ZN12_GLOBAL__N_135rocblas_gemm_batched_general_kernelIfLi16ELi16ELi32ELi32ELi8ELi32ELi8ELi8ELi32ELc67ELc67EKPK16rocblas_bfloat16KPKfKPfEEvlllT_PT11_llSC_llSA_PT12_llPT13_lli.has_dyn_sized_stack, 0
	.set _ZN12_GLOBAL__N_135rocblas_gemm_batched_general_kernelIfLi16ELi16ELi32ELi32ELi8ELi32ELi8ELi8ELi32ELc67ELc67EKPK16rocblas_bfloat16KPKfKPfEEvlllT_PT11_llSC_llSA_PT12_llPT13_lli.has_recursion, 0
	.set _ZN12_GLOBAL__N_135rocblas_gemm_batched_general_kernelIfLi16ELi16ELi32ELi32ELi8ELi32ELi8ELi8ELi32ELc67ELc67EKPK16rocblas_bfloat16KPKfKPfEEvlllT_PT11_llSC_llSA_PT12_llPT13_lli.has_indirect_call, 0
	.section	.AMDGPU.csdata,"",@progbits
; Kernel info:
; codeLenInByte = 1916
; TotalNumSgprs: 46
; NumVgprs: 44
; ScratchSize: 0
; MemoryBound: 0
; FloatMode: 240
; IeeeMode: 1
; LDSByteSize: 2048 bytes/workgroup (compile time only)
; SGPRBlocks: 0
; VGPRBlocks: 5
; NumSGPRsForWavesPerEU: 46
; NumVGPRsForWavesPerEU: 44
; Occupancy: 16
; WaveLimiterHint : 1
; COMPUTE_PGM_RSRC2:SCRATCH_EN: 0
; COMPUTE_PGM_RSRC2:USER_SGPR: 6
; COMPUTE_PGM_RSRC2:TRAP_HANDLER: 0
; COMPUTE_PGM_RSRC2:TGID_X_EN: 1
; COMPUTE_PGM_RSRC2:TGID_Y_EN: 1
; COMPUTE_PGM_RSRC2:TGID_Z_EN: 1
; COMPUTE_PGM_RSRC2:TIDIG_COMP_CNT: 1
	.section	.text._ZN12_GLOBAL__N_135rocblas_gemm_batched_general_kernelIfLi16ELi16ELi32ELi32ELi8ELi32ELi8ELi8ELi32ELc67ELc78EKPK16rocblas_bfloat16KPKfKPfEEvlllT_PT11_llSC_llSA_PT12_llPT13_lli,"axG",@progbits,_ZN12_GLOBAL__N_135rocblas_gemm_batched_general_kernelIfLi16ELi16ELi32ELi32ELi8ELi32ELi8ELi8ELi32ELc67ELc78EKPK16rocblas_bfloat16KPKfKPfEEvlllT_PT11_llSC_llSA_PT12_llPT13_lli,comdat
	.globl	_ZN12_GLOBAL__N_135rocblas_gemm_batched_general_kernelIfLi16ELi16ELi32ELi32ELi8ELi32ELi8ELi8ELi32ELc67ELc78EKPK16rocblas_bfloat16KPKfKPfEEvlllT_PT11_llSC_llSA_PT12_llPT13_lli ; -- Begin function _ZN12_GLOBAL__N_135rocblas_gemm_batched_general_kernelIfLi16ELi16ELi32ELi32ELi8ELi32ELi8ELi8ELi32ELc67ELc78EKPK16rocblas_bfloat16KPKfKPfEEvlllT_PT11_llSC_llSA_PT12_llPT13_lli
	.p2align	8
	.type	_ZN12_GLOBAL__N_135rocblas_gemm_batched_general_kernelIfLi16ELi16ELi32ELi32ELi8ELi32ELi8ELi8ELi32ELc67ELc78EKPK16rocblas_bfloat16KPKfKPfEEvlllT_PT11_llSC_llSA_PT12_llPT13_lli,@function
_ZN12_GLOBAL__N_135rocblas_gemm_batched_general_kernelIfLi16ELi16ELi32ELi32ELi8ELi32ELi8ELi8ELi32ELc67ELc78EKPK16rocblas_bfloat16KPKfKPfEEvlllT_PT11_llSC_llSA_PT12_llPT13_lli: ; @_ZN12_GLOBAL__N_135rocblas_gemm_batched_general_kernelIfLi16ELi16ELi32ELi32ELi8ELi32ELi8ELi8ELi32ELc67ELc78EKPK16rocblas_bfloat16KPKfKPfEEvlllT_PT11_llSC_llSA_PT12_llPT13_lli
; %bb.0:
	s_clause 0x1
	s_load_dwordx8 s[12:19], s[4:5], 0x58
	s_load_dwordx2 s[34:35], s[4:5], 0x10
	s_mov_b32 s9, 0
	s_load_dwordx4 s[28:31], s[4:5], 0x0
	s_lshl_b64 s[38:39], s[8:9], 3
	s_load_dwordx4 s[8:11], s[4:5], 0x78
	s_mov_b32 s0, s7
	v_mov_b32_e32 v10, 0
	v_mov_b32_e32 v9, 0
	;; [unrolled: 1-line block ×4, first 2 shown]
	s_waitcnt lgkmcnt(0)
	s_add_u32 s2, s12, s38
	s_addc_u32 s3, s13, s39
	s_add_u32 s18, s18, s38
	s_addc_u32 s19, s19, s39
	s_load_dwordx2 s[12:13], s[2:3], 0x0
	s_load_dwordx2 s[18:19], s[18:19], 0x0
	v_cmp_lt_i64_e64 s2, s[34:35], 1
	s_ashr_i32 s7, s6, 31
	s_ashr_i32 s1, s0, 31
	s_lshl_b64 s[6:7], s[6:7], 5
	s_lshl_b64 s[36:37], s[0:1], 5
	s_and_b32 vcc_lo, exec_lo, s2
	s_cbranch_vccnz .LBB190_7
; %bb.1:
	s_clause 0x1
	s_load_dwordx8 s[20:27], s[4:5], 0x20
	s_load_dwordx4 s[0:3], s[4:5], 0x40
	v_lshl_add_u32 v2, v1, 4, v0
	v_mov_b32_e32 v3, s7
	v_and_b32_e32 v6, 7, v0
	v_mov_b32_e32 v7, 0
	v_lshrrev_b32_e32 v10, 3, v2
	v_and_b32_e32 v8, 31, v2
	v_lshrrev_b32_e32 v11, 5, v2
	v_lshlrev_b32_e32 v12, 2, v6
	v_add_co_u32 v4, s33, v10, s36
	v_add_co_ci_u32_e64 v5, null, 0, s37, s33
	v_or_b32_e32 v2, s6, v8
	v_lshlrev_b32_e32 v13, 2, v8
	v_lshl_or_b32 v10, v10, 5, v12
	s_waitcnt lgkmcnt(0)
	s_add_u32 s26, s26, s38
	v_mul_lo_u32 v14, s1, v4
	v_add_co_u32 v15, s1, s6, v8
	v_add_co_ci_u32_e64 v16, null, s7, 0, s1
	v_mul_lo_u32 v18, s0, v5
	v_mad_u64_u32 v[8:9], null, s0, v4, 0
	v_mul_lo_u32 v19, s23, v15
	v_mul_lo_u32 v20, s22, v16
	v_mad_u64_u32 v[16:17], null, s22, v15, 0
	s_addc_u32 s27, s27, s39
	s_add_u32 s20, s20, s38
	v_add3_u32 v9, v9, v18, v14
	s_load_dwordx2 s[26:27], s[26:27], 0x0
	s_addc_u32 s21, s21, s39
	v_cmp_gt_i64_e64 s0, s[28:29], v[2:3]
	v_add3_u32 v17, v17, v20, v19
	s_load_dwordx2 s[20:21], s[20:21], 0x0
	v_lshlrev_b64 v[2:3], 1, v[8:9]
	v_cmp_gt_i64_e64 s1, s[30:31], v[4:5]
	s_lshl_b64 s[2:3], s[2:3], 1
	v_lshlrev_b64 v[4:5], 1, v[16:17]
	v_lshlrev_b32_e32 v8, 1, v6
	v_lshlrev_b32_e32 v9, 1, v11
	v_add_co_u32 v2, vcc_lo, v2, s2
	v_add_co_ci_u32_e64 v3, null, s3, v3, vcc_lo
	s_lshl_b64 s[2:3], s[24:25], 1
	v_lshl_or_b32 v12, v11, 7, v13
	v_add_co_u32 v4, vcc_lo, v4, s2
	v_add_co_ci_u32_e64 v5, null, s3, v5, vcc_lo
	v_add_co_u32 v2, vcc_lo, v2, v8
	v_add_co_ci_u32_e64 v3, null, 0, v3, vcc_lo
	;; [unrolled: 2-line block ×3, first 2 shown]
	s_waitcnt lgkmcnt(0)
	v_add_co_u32 v2, vcc_lo, s26, v2
	v_add_co_ci_u32_e64 v3, null, s27, v3, vcc_lo
	v_add_co_u32 v4, vcc_lo, s20, v4
	v_add_nc_u32_e32 v13, 0x400, v10
	v_lshlrev_b32_e32 v14, 2, v0
	v_lshl_add_u32 v15, v1, 5, 0x400
	v_add_co_ci_u32_e64 v5, null, s21, v5, vcc_lo
	v_mov_b32_e32 v8, 0
	v_mov_b32_e32 v9, 0
	;; [unrolled: 1-line block ×3, first 2 shown]
	s_mov_b64 s[2:3], 0
	s_branch .LBB190_3
.LBB190_2:                              ;   in Loop: Header=BB190_3 Depth=1
	s_or_b32 exec_lo, exec_lo, s20
	ds_write_b32 v13, v17
	s_waitcnt lgkmcnt(0)
	s_barrier
	buffer_gl0_inv
	ds_read_b128 v[16:19], v15
	ds_read2_b32 v[32:33], v14 offset1:16
	ds_read_b128 v[20:23], v15 offset:512
	ds_read2_b32 v[34:35], v14 offset0:32 offset1:48
	ds_read2_b32 v[36:37], v14 offset0:64 offset1:80
	ds_read2_b32 v[38:39], v14 offset0:96 offset1:112
	ds_read_b128 v[24:27], v15 offset:16
	ds_read2_b32 v[40:41], v14 offset0:128 offset1:144
	ds_read_b128 v[28:31], v15 offset:528
	ds_read2_b32 v[42:43], v14 offset0:160 offset1:176
	s_add_u32 s2, s2, 8
	s_addc_u32 s3, s3, 0
	v_add_co_u32 v2, vcc_lo, v2, 16
	v_cmp_lt_i64_e64 s20, s[2:3], s[34:35]
	v_add_co_ci_u32_e64 v3, null, 0, v3, vcc_lo
	v_add_co_u32 v4, vcc_lo, v4, 16
	v_add_co_ci_u32_e64 v5, null, 0, v5, vcc_lo
	s_waitcnt lgkmcnt(8)
	v_fmac_f32_e32 v10, v32, v16
	v_fmac_f32_e32 v9, v33, v16
	s_waitcnt lgkmcnt(7)
	v_fmac_f32_e32 v8, v32, v20
	v_fmac_f32_e32 v7, v33, v20
	ds_read2_b32 v[32:33], v14 offset0:192 offset1:208
	s_waitcnt lgkmcnt(7)
	v_fmac_f32_e32 v10, v34, v17
	v_fmac_f32_e32 v9, v35, v17
	;; [unrolled: 1-line block ×4, first 2 shown]
	ds_read2_b32 v[16:17], v14 offset0:224 offset1:240
	s_waitcnt lgkmcnt(7)
	v_fmac_f32_e32 v10, v36, v18
	v_fmac_f32_e32 v9, v37, v18
	;; [unrolled: 1-line block ×4, first 2 shown]
	s_and_b32 vcc_lo, exec_lo, s20
	s_waitcnt lgkmcnt(6)
	v_fmac_f32_e32 v10, v38, v19
	v_fmac_f32_e32 v9, v39, v19
	v_fmac_f32_e32 v8, v38, v23
	v_fmac_f32_e32 v7, v39, v23
	s_waitcnt lgkmcnt(0)
	v_fmac_f32_e32 v10, v40, v24
	v_fmac_f32_e32 v9, v41, v24
	;; [unrolled: 1-line block ×4, first 2 shown]
	s_barrier
	v_fmac_f32_e32 v10, v42, v25
	v_fmac_f32_e32 v9, v43, v25
	;; [unrolled: 1-line block ×4, first 2 shown]
	buffer_gl0_inv
	v_fmac_f32_e32 v10, v32, v26
	v_fmac_f32_e32 v9, v33, v26
	;; [unrolled: 1-line block ×8, first 2 shown]
	s_cbranch_vccz .LBB190_7
.LBB190_3:                              ; =>This Inner Loop Header: Depth=1
	v_add_co_u32 v16, s20, v11, s2
	v_add_co_ci_u32_e64 v17, null, 0, s3, s20
	v_cmp_gt_i64_e32 vcc_lo, s[34:35], v[16:17]
	v_mov_b32_e32 v16, 0
	s_and_b32 s21, s0, vcc_lo
	s_and_saveexec_b32 s20, s21
	s_cbranch_execz .LBB190_5
; %bb.4:                                ;   in Loop: Header=BB190_3 Depth=1
	flat_load_ushort v16, v[4:5]
	s_waitcnt vmcnt(0) lgkmcnt(0)
	v_lshlrev_b32_e32 v16, 16, v16
.LBB190_5:                              ;   in Loop: Header=BB190_3 Depth=1
	s_or_b32 exec_lo, exec_lo, s20
	v_add_co_u32 v17, s20, v6, s2
	v_add_co_ci_u32_e64 v18, null, 0, s3, s20
	ds_write_b32 v12, v16
	v_cmp_gt_i64_e32 vcc_lo, s[34:35], v[17:18]
	v_mov_b32_e32 v17, 0
	s_and_b32 s21, vcc_lo, s1
	s_and_saveexec_b32 s20, s21
	s_cbranch_execz .LBB190_2
; %bb.6:                                ;   in Loop: Header=BB190_3 Depth=1
	flat_load_ushort v16, v[2:3]
	s_waitcnt vmcnt(0) lgkmcnt(0)
	v_lshlrev_b32_e32 v17, 16, v16
	s_branch .LBB190_2
.LBB190_7:
	s_clause 0x1
	s_load_dword s20, s[4:5], 0x50
	s_load_dword s3, s[4:5], 0x18
	v_add_co_u32 v1, s2, s36, v1
	v_add_co_ci_u32_e64 v2, null, s37, 0, s2
	s_lshl_b64 s[0:1], s[10:11], 2
	s_waitcnt lgkmcnt(0)
	s_add_u32 s4, s18, s0
	v_cmp_gt_i64_e64 s0, s[30:31], v[1:2]
	s_addc_u32 s5, s19, s1
	v_cmp_neq_f32_e64 s2, s20, 0
	s_and_b32 vcc_lo, exec_lo, s2
	s_cbranch_vccnz .LBB190_20
; %bb.8:
	s_and_saveexec_b32 s10, s0
	s_cbranch_execz .LBB190_18
; %bb.9:
	v_mul_lo_u32 v5, v2, s8
	v_mul_lo_u32 v6, v1, s9
	v_mad_u64_u32 v[3:4], null, v1, s8, 0
	v_add3_u32 v4, v4, v6, v5
	v_add_co_u32 v5, s1, s6, v0
	v_add_co_ci_u32_e64 v6, null, s7, 0, s1
	v_lshlrev_b64 v[11:12], 2, v[3:4]
	v_cmp_gt_i64_e32 vcc_lo, s[28:29], v[5:6]
	v_lshlrev_b64 v[3:4], 2, v[5:6]
	v_add_co_u32 v11, s1, s4, v11
	v_add_co_ci_u32_e64 v12, null, s5, v12, s1
	s_and_saveexec_b32 s2, vcc_lo
	s_cbranch_execz .LBB190_11
; %bb.10:
	v_add_co_u32 v13, s1, v11, v3
	v_add_co_ci_u32_e64 v14, null, v12, v4, s1
	v_mul_f32_e32 v15, s3, v10
	flat_store_dword v[13:14], v15
.LBB190_11:
	s_or_b32 exec_lo, exec_lo, s2
	v_add_co_u32 v5, s1, v5, 16
	v_add_co_ci_u32_e64 v6, null, 0, v6, s1
	v_cmp_gt_i64_e64 s1, s[28:29], v[5:6]
	s_and_saveexec_b32 s11, s1
	s_cbranch_execz .LBB190_13
; %bb.12:
	v_add_co_u32 v5, s2, v11, v3
	v_add_co_ci_u32_e64 v6, null, v12, v4, s2
	v_mul_f32_e32 v13, s3, v9
	flat_store_dword v[5:6], v13 offset:64
.LBB190_13:
	s_or_b32 exec_lo, exec_lo, s11
	v_add_co_u32 v5, s2, v1, 16
	v_add_co_ci_u32_e64 v6, null, 0, v2, s2
	v_cmp_gt_i64_e64 s2, s[30:31], v[5:6]
	s_and_b32 exec_lo, exec_lo, s2
	s_cbranch_execz .LBB190_18
; %bb.14:
	s_lshl_b64 s[18:19], s[8:9], 6
	v_add_co_u32 v5, s2, v11, s18
	v_add_co_ci_u32_e64 v6, null, s19, v12, s2
	v_add_co_u32 v3, s2, v5, v3
	v_add_co_ci_u32_e64 v4, null, v6, v4, s2
	s_and_saveexec_b32 s2, vcc_lo
	s_cbranch_execz .LBB190_16
; %bb.15:
	v_mul_f32_e32 v5, s3, v8
	flat_store_dword v[3:4], v5
.LBB190_16:
	s_or_b32 exec_lo, exec_lo, s2
	s_and_b32 exec_lo, exec_lo, s1
	s_cbranch_execz .LBB190_18
; %bb.17:
	v_mul_f32_e32 v5, s3, v7
	flat_store_dword v[3:4], v5 offset:64
.LBB190_18:
	s_or_b32 exec_lo, exec_lo, s10
	s_cbranch_execz .LBB190_21
.LBB190_19:
	s_endpgm
.LBB190_20:
.LBB190_21:
	s_and_saveexec_b32 s1, s0
	s_cbranch_execz .LBB190_19
; %bb.22:
	v_mul_lo_u32 v5, v2, s14
	v_mul_lo_u32 v6, v1, s15
	v_mad_u64_u32 v[3:4], null, v1, s14, 0
	v_mul_lo_u32 v13, v2, s8
	v_mul_lo_u32 v14, v1, s9
	v_mad_u64_u32 v[11:12], null, v1, s8, 0
	s_lshl_b64 s[0:1], s[16:17], 2
	v_add3_u32 v4, v4, v6, v5
	v_add_co_u32 v5, s2, s6, v0
	v_add_co_ci_u32_e64 v6, null, s7, 0, s2
	v_add3_u32 v12, v12, v14, v13
	v_lshlrev_b64 v[3:4], 2, v[3:4]
	s_add_u32 s0, s12, s0
	s_addc_u32 s1, s13, s1
	v_cmp_gt_i64_e32 vcc_lo, s[28:29], v[5:6]
	v_lshlrev_b64 v[12:13], 2, v[11:12]
	v_add_co_u32 v0, s0, s0, v3
	v_add_co_ci_u32_e64 v11, null, s1, v4, s0
	v_add_co_u32 v12, s0, s4, v12
	v_lshlrev_b64 v[3:4], 2, v[5:6]
	v_add_co_ci_u32_e64 v13, null, s5, v13, s0
	s_and_saveexec_b32 s1, vcc_lo
	s_cbranch_execz .LBB190_24
; %bb.23:
	v_add_co_u32 v14, s0, v0, v3
	v_add_co_ci_u32_e64 v15, null, v11, v4, s0
	flat_load_dword v14, v[14:15]
	s_waitcnt vmcnt(0) lgkmcnt(0)
	v_mul_f32_e32 v16, s20, v14
	v_add_co_u32 v14, s0, v12, v3
	v_add_co_ci_u32_e64 v15, null, v13, v4, s0
	v_fmac_f32_e32 v16, s3, v10
	flat_store_dword v[14:15], v16
.LBB190_24:
	s_or_b32 exec_lo, exec_lo, s1
	v_add_co_u32 v5, s0, v5, 16
	v_add_co_ci_u32_e64 v6, null, 0, v6, s0
	v_cmp_gt_i64_e64 s0, s[28:29], v[5:6]
	s_and_saveexec_b32 s2, s0
	s_cbranch_execz .LBB190_26
; %bb.25:
	v_add_co_u32 v5, s1, v0, v3
	v_add_co_ci_u32_e64 v6, null, v11, v4, s1
	flat_load_dword v5, v[5:6] offset:64
	s_waitcnt vmcnt(0) lgkmcnt(0)
	v_mul_f32_e32 v10, s20, v5
	v_add_co_u32 v5, s1, v12, v3
	v_add_co_ci_u32_e64 v6, null, v13, v4, s1
	v_fmac_f32_e32 v10, s3, v9
	flat_store_dword v[5:6], v10 offset:64
.LBB190_26:
	s_or_b32 exec_lo, exec_lo, s2
	v_add_co_u32 v1, s1, v1, 16
	v_add_co_ci_u32_e64 v2, null, 0, v2, s1
	v_cmp_gt_i64_e64 s1, s[30:31], v[1:2]
	s_and_b32 exec_lo, exec_lo, s1
	s_cbranch_execz .LBB190_19
; %bb.27:
	s_lshl_b64 s[4:5], s[14:15], 6
	v_add_co_u32 v0, s1, v0, s4
	v_add_co_ci_u32_e64 v1, null, s5, v11, s1
	s_lshl_b64 s[4:5], s[8:9], 6
	v_add_co_u32 v2, s1, v12, s4
	v_add_co_ci_u32_e64 v5, null, s5, v13, s1
	v_add_co_u32 v0, s1, v0, v3
	v_add_co_ci_u32_e64 v1, null, v1, v4, s1
	;; [unrolled: 2-line block ×3, first 2 shown]
	s_and_saveexec_b32 s1, vcc_lo
	s_cbranch_execz .LBB190_29
; %bb.28:
	flat_load_dword v4, v[0:1]
	s_waitcnt vmcnt(0) lgkmcnt(0)
	v_mul_f32_e32 v4, s20, v4
	v_fmac_f32_e32 v4, s3, v8
	flat_store_dword v[2:3], v4
.LBB190_29:
	s_or_b32 exec_lo, exec_lo, s1
	s_and_b32 exec_lo, exec_lo, s0
	s_cbranch_execz .LBB190_19
; %bb.30:
	flat_load_dword v0, v[0:1] offset:64
	s_waitcnt vmcnt(0) lgkmcnt(0)
	v_mul_f32_e32 v0, s20, v0
	v_fmac_f32_e32 v0, s3, v7
	flat_store_dword v[2:3], v0 offset:64
	s_endpgm
	.section	.rodata,"a",@progbits
	.p2align	6, 0x0
	.amdhsa_kernel _ZN12_GLOBAL__N_135rocblas_gemm_batched_general_kernelIfLi16ELi16ELi32ELi32ELi8ELi32ELi8ELi8ELi32ELc67ELc78EKPK16rocblas_bfloat16KPKfKPfEEvlllT_PT11_llSC_llSA_PT12_llPT13_lli
		.amdhsa_group_segment_fixed_size 2048
		.amdhsa_private_segment_fixed_size 0
		.amdhsa_kernarg_size 140
		.amdhsa_user_sgpr_count 6
		.amdhsa_user_sgpr_private_segment_buffer 1
		.amdhsa_user_sgpr_dispatch_ptr 0
		.amdhsa_user_sgpr_queue_ptr 0
		.amdhsa_user_sgpr_kernarg_segment_ptr 1
		.amdhsa_user_sgpr_dispatch_id 0
		.amdhsa_user_sgpr_flat_scratch_init 0
		.amdhsa_user_sgpr_private_segment_size 0
		.amdhsa_wavefront_size32 1
		.amdhsa_uses_dynamic_stack 0
		.amdhsa_system_sgpr_private_segment_wavefront_offset 0
		.amdhsa_system_sgpr_workgroup_id_x 1
		.amdhsa_system_sgpr_workgroup_id_y 1
		.amdhsa_system_sgpr_workgroup_id_z 1
		.amdhsa_system_sgpr_workgroup_info 0
		.amdhsa_system_vgpr_workitem_id 1
		.amdhsa_next_free_vgpr 44
		.amdhsa_next_free_sgpr 40
		.amdhsa_reserve_vcc 1
		.amdhsa_reserve_flat_scratch 0
		.amdhsa_float_round_mode_32 0
		.amdhsa_float_round_mode_16_64 0
		.amdhsa_float_denorm_mode_32 3
		.amdhsa_float_denorm_mode_16_64 3
		.amdhsa_dx10_clamp 1
		.amdhsa_ieee_mode 1
		.amdhsa_fp16_overflow 0
		.amdhsa_workgroup_processor_mode 1
		.amdhsa_memory_ordered 1
		.amdhsa_forward_progress 1
		.amdhsa_shared_vgpr_count 0
		.amdhsa_exception_fp_ieee_invalid_op 0
		.amdhsa_exception_fp_denorm_src 0
		.amdhsa_exception_fp_ieee_div_zero 0
		.amdhsa_exception_fp_ieee_overflow 0
		.amdhsa_exception_fp_ieee_underflow 0
		.amdhsa_exception_fp_ieee_inexact 0
		.amdhsa_exception_int_div_zero 0
	.end_amdhsa_kernel
	.section	.text._ZN12_GLOBAL__N_135rocblas_gemm_batched_general_kernelIfLi16ELi16ELi32ELi32ELi8ELi32ELi8ELi8ELi32ELc67ELc78EKPK16rocblas_bfloat16KPKfKPfEEvlllT_PT11_llSC_llSA_PT12_llPT13_lli,"axG",@progbits,_ZN12_GLOBAL__N_135rocblas_gemm_batched_general_kernelIfLi16ELi16ELi32ELi32ELi8ELi32ELi8ELi8ELi32ELc67ELc78EKPK16rocblas_bfloat16KPKfKPfEEvlllT_PT11_llSC_llSA_PT12_llPT13_lli,comdat
.Lfunc_end190:
	.size	_ZN12_GLOBAL__N_135rocblas_gemm_batched_general_kernelIfLi16ELi16ELi32ELi32ELi8ELi32ELi8ELi8ELi32ELc67ELc78EKPK16rocblas_bfloat16KPKfKPfEEvlllT_PT11_llSC_llSA_PT12_llPT13_lli, .Lfunc_end190-_ZN12_GLOBAL__N_135rocblas_gemm_batched_general_kernelIfLi16ELi16ELi32ELi32ELi8ELi32ELi8ELi8ELi32ELc67ELc78EKPK16rocblas_bfloat16KPKfKPfEEvlllT_PT11_llSC_llSA_PT12_llPT13_lli
                                        ; -- End function
	.set _ZN12_GLOBAL__N_135rocblas_gemm_batched_general_kernelIfLi16ELi16ELi32ELi32ELi8ELi32ELi8ELi8ELi32ELc67ELc78EKPK16rocblas_bfloat16KPKfKPfEEvlllT_PT11_llSC_llSA_PT12_llPT13_lli.num_vgpr, 44
	.set _ZN12_GLOBAL__N_135rocblas_gemm_batched_general_kernelIfLi16ELi16ELi32ELi32ELi8ELi32ELi8ELi8ELi32ELc67ELc78EKPK16rocblas_bfloat16KPKfKPfEEvlllT_PT11_llSC_llSA_PT12_llPT13_lli.num_agpr, 0
	.set _ZN12_GLOBAL__N_135rocblas_gemm_batched_general_kernelIfLi16ELi16ELi32ELi32ELi8ELi32ELi8ELi8ELi32ELc67ELc78EKPK16rocblas_bfloat16KPKfKPfEEvlllT_PT11_llSC_llSA_PT12_llPT13_lli.numbered_sgpr, 40
	.set _ZN12_GLOBAL__N_135rocblas_gemm_batched_general_kernelIfLi16ELi16ELi32ELi32ELi8ELi32ELi8ELi8ELi32ELc67ELc78EKPK16rocblas_bfloat16KPKfKPfEEvlllT_PT11_llSC_llSA_PT12_llPT13_lli.num_named_barrier, 0
	.set _ZN12_GLOBAL__N_135rocblas_gemm_batched_general_kernelIfLi16ELi16ELi32ELi32ELi8ELi32ELi8ELi8ELi32ELc67ELc78EKPK16rocblas_bfloat16KPKfKPfEEvlllT_PT11_llSC_llSA_PT12_llPT13_lli.private_seg_size, 0
	.set _ZN12_GLOBAL__N_135rocblas_gemm_batched_general_kernelIfLi16ELi16ELi32ELi32ELi8ELi32ELi8ELi8ELi32ELc67ELc78EKPK16rocblas_bfloat16KPKfKPfEEvlllT_PT11_llSC_llSA_PT12_llPT13_lli.uses_vcc, 1
	.set _ZN12_GLOBAL__N_135rocblas_gemm_batched_general_kernelIfLi16ELi16ELi32ELi32ELi8ELi32ELi8ELi8ELi32ELc67ELc78EKPK16rocblas_bfloat16KPKfKPfEEvlllT_PT11_llSC_llSA_PT12_llPT13_lli.uses_flat_scratch, 0
	.set _ZN12_GLOBAL__N_135rocblas_gemm_batched_general_kernelIfLi16ELi16ELi32ELi32ELi8ELi32ELi8ELi8ELi32ELc67ELc78EKPK16rocblas_bfloat16KPKfKPfEEvlllT_PT11_llSC_llSA_PT12_llPT13_lli.has_dyn_sized_stack, 0
	.set _ZN12_GLOBAL__N_135rocblas_gemm_batched_general_kernelIfLi16ELi16ELi32ELi32ELi8ELi32ELi8ELi8ELi32ELc67ELc78EKPK16rocblas_bfloat16KPKfKPfEEvlllT_PT11_llSC_llSA_PT12_llPT13_lli.has_recursion, 0
	.set _ZN12_GLOBAL__N_135rocblas_gemm_batched_general_kernelIfLi16ELi16ELi32ELi32ELi8ELi32ELi8ELi8ELi32ELc67ELc78EKPK16rocblas_bfloat16KPKfKPfEEvlllT_PT11_llSC_llSA_PT12_llPT13_lli.has_indirect_call, 0
	.section	.AMDGPU.csdata,"",@progbits
; Kernel info:
; codeLenInByte = 1908
; TotalNumSgprs: 42
; NumVgprs: 44
; ScratchSize: 0
; MemoryBound: 0
; FloatMode: 240
; IeeeMode: 1
; LDSByteSize: 2048 bytes/workgroup (compile time only)
; SGPRBlocks: 0
; VGPRBlocks: 5
; NumSGPRsForWavesPerEU: 42
; NumVGPRsForWavesPerEU: 44
; Occupancy: 16
; WaveLimiterHint : 1
; COMPUTE_PGM_RSRC2:SCRATCH_EN: 0
; COMPUTE_PGM_RSRC2:USER_SGPR: 6
; COMPUTE_PGM_RSRC2:TRAP_HANDLER: 0
; COMPUTE_PGM_RSRC2:TGID_X_EN: 1
; COMPUTE_PGM_RSRC2:TGID_Y_EN: 1
; COMPUTE_PGM_RSRC2:TGID_Z_EN: 1
; COMPUTE_PGM_RSRC2:TIDIG_COMP_CNT: 1
	.section	.text._ZN12_GLOBAL__N_135rocblas_gemm_batched_general_kernelIfLi16ELi16ELi32ELi32ELi8ELi32ELi8ELi8ELi32ELc67ELc84EKPK16rocblas_bfloat16KPKfKPfEEvlllT_PT11_llSC_llSA_PT12_llPT13_lli,"axG",@progbits,_ZN12_GLOBAL__N_135rocblas_gemm_batched_general_kernelIfLi16ELi16ELi32ELi32ELi8ELi32ELi8ELi8ELi32ELc67ELc84EKPK16rocblas_bfloat16KPKfKPfEEvlllT_PT11_llSC_llSA_PT12_llPT13_lli,comdat
	.globl	_ZN12_GLOBAL__N_135rocblas_gemm_batched_general_kernelIfLi16ELi16ELi32ELi32ELi8ELi32ELi8ELi8ELi32ELc67ELc84EKPK16rocblas_bfloat16KPKfKPfEEvlllT_PT11_llSC_llSA_PT12_llPT13_lli ; -- Begin function _ZN12_GLOBAL__N_135rocblas_gemm_batched_general_kernelIfLi16ELi16ELi32ELi32ELi8ELi32ELi8ELi8ELi32ELc67ELc84EKPK16rocblas_bfloat16KPKfKPfEEvlllT_PT11_llSC_llSA_PT12_llPT13_lli
	.p2align	8
	.type	_ZN12_GLOBAL__N_135rocblas_gemm_batched_general_kernelIfLi16ELi16ELi32ELi32ELi8ELi32ELi8ELi8ELi32ELc67ELc84EKPK16rocblas_bfloat16KPKfKPfEEvlllT_PT11_llSC_llSA_PT12_llPT13_lli,@function
_ZN12_GLOBAL__N_135rocblas_gemm_batched_general_kernelIfLi16ELi16ELi32ELi32ELi8ELi32ELi8ELi8ELi32ELc67ELc84EKPK16rocblas_bfloat16KPKfKPfEEvlllT_PT11_llSC_llSA_PT12_llPT13_lli: ; @_ZN12_GLOBAL__N_135rocblas_gemm_batched_general_kernelIfLi16ELi16ELi32ELi32ELi8ELi32ELi8ELi8ELi32ELc67ELc84EKPK16rocblas_bfloat16KPKfKPfEEvlllT_PT11_llSC_llSA_PT12_llPT13_lli
; %bb.0:
	s_clause 0x1
	s_load_dwordx8 s[12:19], s[4:5], 0x58
	s_load_dwordx2 s[34:35], s[4:5], 0x10
	s_mov_b32 s9, 0
	s_load_dwordx4 s[28:31], s[4:5], 0x0
	s_lshl_b64 s[42:43], s[8:9], 3
	s_load_dwordx4 s[8:11], s[4:5], 0x78
	s_mov_b32 s40, s7
	v_mov_b32_e32 v10, 0
	v_mov_b32_e32 v9, 0
	;; [unrolled: 1-line block ×4, first 2 shown]
	s_waitcnt lgkmcnt(0)
	s_add_u32 s0, s12, s42
	s_addc_u32 s1, s13, s43
	s_add_u32 s2, s18, s42
	s_addc_u32 s3, s19, s43
	s_load_dwordx2 s[12:13], s[0:1], 0x0
	s_load_dwordx2 s[2:3], s[2:3], 0x0
	v_cmp_lt_i64_e64 s0, s[34:35], 1
	s_ashr_i32 s7, s6, 31
	s_ashr_i32 s41, s40, 31
	s_lshl_b64 s[6:7], s[6:7], 5
	s_lshl_b64 s[18:19], s[40:41], 5
	s_and_b32 vcc_lo, exec_lo, s0
	s_cbranch_vccnz .LBB191_7
; %bb.1:
	s_clause 0x1
	s_load_dwordx4 s[36:39], s[4:5], 0x40
	s_load_dwordx8 s[20:27], s[4:5], 0x20
	v_lshl_add_u32 v2, v1, 4, v0
	v_and_b32_e32 v6, 7, v0
	v_mov_b32_e32 v3, s7
	v_mov_b32_e32 v7, 0
	v_lshlrev_b32_e32 v11, 2, v0
	v_and_b32_e32 v14, 31, v2
	v_lshrrev_b32_e32 v10, 3, v2
	v_lshrrev_b32_e32 v13, 5, v2
	v_lshlrev_b32_e32 v15, 2, v6
	v_lshl_add_u32 v12, v1, 5, 0x400
	v_or_b32_e32 v2, s6, v14
	v_add_co_u32 v4, s0, v10, s18
	v_add_co_ci_u32_e64 v5, null, 0, s19, s0
	v_add_co_u32 v17, s0, s6, v14
	v_add_co_ci_u32_e64 v18, null, s7, 0, s0
	s_waitcnt lgkmcnt(0)
	v_mad_u64_u32 v[8:9], null, s36, v6, 0
	v_cmp_gt_i64_e64 s0, s[28:29], v[2:3]
	v_lshlrev_b32_e32 v16, 2, v14
	v_cmp_gt_i64_e64 s1, s[30:31], v[4:5]
	v_mul_lo_u32 v5, s23, v17
	s_add_u32 s26, s26, s42
	s_addc_u32 s27, s27, s43
	v_mov_b32_e32 v2, v9
	v_lshl_or_b32 v14, v13, 7, v16
	v_mul_lo_u32 v16, s22, v18
	s_add_u32 s20, s20, s42
	s_addc_u32 s21, s21, s43
	v_mad_u64_u32 v[2:3], null, s37, v6, v[2:3]
	v_mad_u64_u32 v[3:4], null, s22, v17, 0
	s_load_dwordx2 s[22:23], s[26:27], 0x0
	s_load_dwordx2 s[20:21], s[20:21], 0x0
	s_lshl_b64 s[26:27], s[40:41], 6
	s_lshl_b64 s[38:39], s[38:39], 1
	v_mov_b32_e32 v9, v2
	s_add_u32 s26, s38, s26
	v_add3_u32 v4, v4, v16, v5
	s_addc_u32 s27, s39, s27
	s_lshl_b64 s[24:25], s[24:25], 1
	v_lshlrev_b64 v[8:9], 1, v[8:9]
	v_lshl_or_b32 v15, v10, 5, v15
	v_lshlrev_b64 v[2:3], 1, v[3:4]
	v_add_nc_u32_e32 v15, 0x400, v15
	v_add_co_u32 v4, vcc_lo, s26, v8
	v_lshlrev_b32_e32 v8, 1, v10
	v_add_co_ci_u32_e64 v5, null, s27, v9, vcc_lo
	v_add_co_u32 v2, vcc_lo, v2, s24
	v_lshlrev_b32_e32 v9, 1, v13
	v_add_co_ci_u32_e64 v3, null, s25, v3, vcc_lo
	v_add_co_u32 v4, vcc_lo, v4, v8
	v_add_co_ci_u32_e64 v5, null, 0, v5, vcc_lo
	v_add_co_u32 v8, vcc_lo, v2, v9
	v_add_co_ci_u32_e64 v9, null, 0, v3, vcc_lo
	s_waitcnt lgkmcnt(0)
	v_add_co_u32 v2, vcc_lo, s22, v4
	v_add_co_ci_u32_e64 v3, null, s23, v5, vcc_lo
	v_add_co_u32 v4, vcc_lo, s20, v8
	v_add_co_ci_u32_e64 v5, null, s21, v9, vcc_lo
	v_mov_b32_e32 v8, 0
	v_mov_b32_e32 v9, 0
	;; [unrolled: 1-line block ×3, first 2 shown]
	s_lshl_b64 s[20:21], s[36:37], 4
	s_mov_b64 s[22:23], 0
	s_branch .LBB191_3
.LBB191_2:                              ;   in Loop: Header=BB191_3 Depth=1
	s_or_b32 exec_lo, exec_lo, s24
	ds_write_b32 v15, v17
	s_waitcnt lgkmcnt(0)
	s_barrier
	buffer_gl0_inv
	ds_read_b128 v[16:19], v12
	ds_read2_b32 v[32:33], v11 offset1:16
	ds_read_b128 v[20:23], v12 offset:512
	ds_read2_b32 v[34:35], v11 offset0:32 offset1:48
	ds_read2_b32 v[36:37], v11 offset0:64 offset1:80
	;; [unrolled: 1-line block ×3, first 2 shown]
	ds_read_b128 v[24:27], v12 offset:16
	ds_read2_b32 v[40:41], v11 offset0:128 offset1:144
	ds_read_b128 v[28:31], v12 offset:528
	ds_read2_b32 v[42:43], v11 offset0:160 offset1:176
	s_add_u32 s22, s22, 8
	s_addc_u32 s23, s23, 0
	v_add_co_u32 v2, vcc_lo, v2, s20
	v_cmp_lt_i64_e64 s24, s[22:23], s[34:35]
	v_add_co_ci_u32_e64 v3, null, s21, v3, vcc_lo
	v_add_co_u32 v4, vcc_lo, v4, 16
	v_add_co_ci_u32_e64 v5, null, 0, v5, vcc_lo
	s_waitcnt lgkmcnt(8)
	v_fmac_f32_e32 v10, v32, v16
	v_fmac_f32_e32 v9, v33, v16
	s_waitcnt lgkmcnt(7)
	v_fmac_f32_e32 v8, v32, v20
	v_fmac_f32_e32 v7, v33, v20
	ds_read2_b32 v[32:33], v11 offset0:192 offset1:208
	s_waitcnt lgkmcnt(7)
	v_fmac_f32_e32 v10, v34, v17
	v_fmac_f32_e32 v9, v35, v17
	;; [unrolled: 1-line block ×4, first 2 shown]
	ds_read2_b32 v[16:17], v11 offset0:224 offset1:240
	s_waitcnt lgkmcnt(7)
	v_fmac_f32_e32 v10, v36, v18
	v_fmac_f32_e32 v9, v37, v18
	;; [unrolled: 1-line block ×4, first 2 shown]
	s_and_b32 vcc_lo, exec_lo, s24
	s_waitcnt lgkmcnt(6)
	v_fmac_f32_e32 v10, v38, v19
	v_fmac_f32_e32 v9, v39, v19
	;; [unrolled: 1-line block ×4, first 2 shown]
	s_waitcnt lgkmcnt(0)
	v_fmac_f32_e32 v10, v40, v24
	v_fmac_f32_e32 v9, v41, v24
	;; [unrolled: 1-line block ×4, first 2 shown]
	s_barrier
	v_fmac_f32_e32 v10, v42, v25
	v_fmac_f32_e32 v9, v43, v25
	;; [unrolled: 1-line block ×4, first 2 shown]
	buffer_gl0_inv
	v_fmac_f32_e32 v10, v32, v26
	v_fmac_f32_e32 v9, v33, v26
	v_fmac_f32_e32 v8, v32, v30
	v_fmac_f32_e32 v7, v33, v30
	v_fmac_f32_e32 v10, v16, v27
	v_fmac_f32_e32 v9, v17, v27
	v_fmac_f32_e32 v8, v16, v31
	v_fmac_f32_e32 v7, v17, v31
	s_cbranch_vccz .LBB191_7
.LBB191_3:                              ; =>This Inner Loop Header: Depth=1
	v_add_co_u32 v16, s24, v13, s22
	v_add_co_ci_u32_e64 v17, null, 0, s23, s24
	v_cmp_gt_i64_e32 vcc_lo, s[34:35], v[16:17]
	v_mov_b32_e32 v16, 0
	s_and_b32 s25, s0, vcc_lo
	s_and_saveexec_b32 s24, s25
	s_cbranch_execz .LBB191_5
; %bb.4:                                ;   in Loop: Header=BB191_3 Depth=1
	flat_load_ushort v16, v[4:5]
	s_waitcnt vmcnt(0) lgkmcnt(0)
	v_lshlrev_b32_e32 v16, 16, v16
.LBB191_5:                              ;   in Loop: Header=BB191_3 Depth=1
	s_or_b32 exec_lo, exec_lo, s24
	v_add_co_u32 v17, s24, v6, s22
	v_add_co_ci_u32_e64 v18, null, 0, s23, s24
	ds_write_b32 v14, v16
	v_cmp_gt_i64_e32 vcc_lo, s[34:35], v[17:18]
	v_mov_b32_e32 v17, 0
	s_and_b32 s25, vcc_lo, s1
	s_and_saveexec_b32 s24, s25
	s_cbranch_execz .LBB191_2
; %bb.6:                                ;   in Loop: Header=BB191_3 Depth=1
	flat_load_ushort v16, v[2:3]
	s_waitcnt vmcnt(0) lgkmcnt(0)
	v_lshlrev_b32_e32 v17, 16, v16
	s_branch .LBB191_2
.LBB191_7:
	s_clause 0x1
	s_load_dword s20, s[4:5], 0x50
	s_load_dword s4, s[4:5], 0x18
	v_add_co_u32 v1, s5, s18, v1
	v_add_co_ci_u32_e64 v2, null, s19, 0, s5
	s_lshl_b64 s[0:1], s[10:11], 2
	s_waitcnt lgkmcnt(0)
	s_add_u32 s5, s2, s0
	v_cmp_gt_i64_e64 s0, s[30:31], v[1:2]
	s_addc_u32 s3, s3, s1
	v_cmp_neq_f32_e64 s10, s20, 0
	s_and_b32 vcc_lo, exec_lo, s10
	s_cbranch_vccnz .LBB191_20
; %bb.8:
	s_and_saveexec_b32 s10, s0
	s_cbranch_execz .LBB191_18
; %bb.9:
	v_mul_lo_u32 v5, v2, s8
	v_mul_lo_u32 v6, v1, s9
	v_mad_u64_u32 v[3:4], null, v1, s8, 0
	v_add3_u32 v4, v4, v6, v5
	v_add_co_u32 v5, s1, s6, v0
	v_add_co_ci_u32_e64 v6, null, s7, 0, s1
	v_lshlrev_b64 v[11:12], 2, v[3:4]
	v_cmp_gt_i64_e32 vcc_lo, s[28:29], v[5:6]
	v_lshlrev_b64 v[3:4], 2, v[5:6]
	v_add_co_u32 v11, s1, s5, v11
	v_add_co_ci_u32_e64 v12, null, s3, v12, s1
	s_and_saveexec_b32 s2, vcc_lo
	s_cbranch_execz .LBB191_11
; %bb.10:
	v_add_co_u32 v13, s1, v11, v3
	v_add_co_ci_u32_e64 v14, null, v12, v4, s1
	v_mul_f32_e32 v15, s4, v10
	flat_store_dword v[13:14], v15
.LBB191_11:
	s_or_b32 exec_lo, exec_lo, s2
	v_add_co_u32 v5, s1, v5, 16
	v_add_co_ci_u32_e64 v6, null, 0, v6, s1
	v_cmp_gt_i64_e64 s1, s[28:29], v[5:6]
	s_and_saveexec_b32 s11, s1
	s_cbranch_execz .LBB191_13
; %bb.12:
	v_add_co_u32 v5, s2, v11, v3
	v_add_co_ci_u32_e64 v6, null, v12, v4, s2
	v_mul_f32_e32 v13, s4, v9
	flat_store_dword v[5:6], v13 offset:64
.LBB191_13:
	s_or_b32 exec_lo, exec_lo, s11
	v_add_co_u32 v5, s2, v1, 16
	v_add_co_ci_u32_e64 v6, null, 0, v2, s2
	v_cmp_gt_i64_e64 s2, s[30:31], v[5:6]
	s_and_b32 exec_lo, exec_lo, s2
	s_cbranch_execz .LBB191_18
; %bb.14:
	s_lshl_b64 s[18:19], s[8:9], 6
	v_add_co_u32 v5, s2, v11, s18
	v_add_co_ci_u32_e64 v6, null, s19, v12, s2
	v_add_co_u32 v3, s2, v5, v3
	v_add_co_ci_u32_e64 v4, null, v6, v4, s2
	s_and_saveexec_b32 s2, vcc_lo
	s_cbranch_execz .LBB191_16
; %bb.15:
	v_mul_f32_e32 v5, s4, v8
	flat_store_dword v[3:4], v5
.LBB191_16:
	s_or_b32 exec_lo, exec_lo, s2
	s_and_b32 exec_lo, exec_lo, s1
	s_cbranch_execz .LBB191_18
; %bb.17:
	v_mul_f32_e32 v5, s4, v7
	flat_store_dword v[3:4], v5 offset:64
.LBB191_18:
	s_or_b32 exec_lo, exec_lo, s10
	s_cbranch_execz .LBB191_21
.LBB191_19:
	s_endpgm
.LBB191_20:
.LBB191_21:
	s_and_saveexec_b32 s1, s0
	s_cbranch_execz .LBB191_19
; %bb.22:
	v_mul_lo_u32 v5, v2, s14
	v_mul_lo_u32 v6, v1, s15
	v_mad_u64_u32 v[3:4], null, v1, s14, 0
	v_mul_lo_u32 v13, v2, s8
	v_mul_lo_u32 v14, v1, s9
	v_mad_u64_u32 v[11:12], null, v1, s8, 0
	s_lshl_b64 s[0:1], s[16:17], 2
	v_add3_u32 v4, v4, v6, v5
	v_add_co_u32 v5, s2, s6, v0
	v_add_co_ci_u32_e64 v6, null, s7, 0, s2
	v_add3_u32 v12, v12, v14, v13
	v_lshlrev_b64 v[3:4], 2, v[3:4]
	s_add_u32 s0, s12, s0
	s_addc_u32 s1, s13, s1
	v_cmp_gt_i64_e32 vcc_lo, s[28:29], v[5:6]
	v_lshlrev_b64 v[12:13], 2, v[11:12]
	v_add_co_u32 v0, s0, s0, v3
	v_add_co_ci_u32_e64 v11, null, s1, v4, s0
	v_add_co_u32 v12, s0, s5, v12
	v_lshlrev_b64 v[3:4], 2, v[5:6]
	v_add_co_ci_u32_e64 v13, null, s3, v13, s0
	s_and_saveexec_b32 s1, vcc_lo
	s_cbranch_execz .LBB191_24
; %bb.23:
	v_add_co_u32 v14, s0, v0, v3
	v_add_co_ci_u32_e64 v15, null, v11, v4, s0
	flat_load_dword v14, v[14:15]
	s_waitcnt vmcnt(0) lgkmcnt(0)
	v_mul_f32_e32 v16, s20, v14
	v_add_co_u32 v14, s0, v12, v3
	v_add_co_ci_u32_e64 v15, null, v13, v4, s0
	v_fmac_f32_e32 v16, s4, v10
	flat_store_dword v[14:15], v16
.LBB191_24:
	s_or_b32 exec_lo, exec_lo, s1
	v_add_co_u32 v5, s0, v5, 16
	v_add_co_ci_u32_e64 v6, null, 0, v6, s0
	v_cmp_gt_i64_e64 s0, s[28:29], v[5:6]
	s_and_saveexec_b32 s2, s0
	s_cbranch_execz .LBB191_26
; %bb.25:
	v_add_co_u32 v5, s1, v0, v3
	v_add_co_ci_u32_e64 v6, null, v11, v4, s1
	flat_load_dword v5, v[5:6] offset:64
	s_waitcnt vmcnt(0) lgkmcnt(0)
	v_mul_f32_e32 v10, s20, v5
	v_add_co_u32 v5, s1, v12, v3
	v_add_co_ci_u32_e64 v6, null, v13, v4, s1
	v_fmac_f32_e32 v10, s4, v9
	flat_store_dword v[5:6], v10 offset:64
.LBB191_26:
	s_or_b32 exec_lo, exec_lo, s2
	v_add_co_u32 v1, s1, v1, 16
	v_add_co_ci_u32_e64 v2, null, 0, v2, s1
	v_cmp_gt_i64_e64 s1, s[30:31], v[1:2]
	s_and_b32 exec_lo, exec_lo, s1
	s_cbranch_execz .LBB191_19
; %bb.27:
	s_lshl_b64 s[2:3], s[14:15], 6
	v_add_co_u32 v0, s1, v0, s2
	v_add_co_ci_u32_e64 v1, null, s3, v11, s1
	s_lshl_b64 s[2:3], s[8:9], 6
	v_add_co_u32 v2, s1, v12, s2
	v_add_co_ci_u32_e64 v5, null, s3, v13, s1
	v_add_co_u32 v0, s1, v0, v3
	v_add_co_ci_u32_e64 v1, null, v1, v4, s1
	;; [unrolled: 2-line block ×3, first 2 shown]
	s_and_saveexec_b32 s1, vcc_lo
	s_cbranch_execz .LBB191_29
; %bb.28:
	flat_load_dword v4, v[0:1]
	s_waitcnt vmcnt(0) lgkmcnt(0)
	v_mul_f32_e32 v4, s20, v4
	v_fmac_f32_e32 v4, s4, v8
	flat_store_dword v[2:3], v4
.LBB191_29:
	s_or_b32 exec_lo, exec_lo, s1
	s_and_b32 exec_lo, exec_lo, s0
	s_cbranch_execz .LBB191_19
; %bb.30:
	flat_load_dword v0, v[0:1] offset:64
	s_waitcnt vmcnt(0) lgkmcnt(0)
	v_mul_f32_e32 v0, s20, v0
	v_fmac_f32_e32 v0, s4, v7
	flat_store_dword v[2:3], v0 offset:64
	s_endpgm
	.section	.rodata,"a",@progbits
	.p2align	6, 0x0
	.amdhsa_kernel _ZN12_GLOBAL__N_135rocblas_gemm_batched_general_kernelIfLi16ELi16ELi32ELi32ELi8ELi32ELi8ELi8ELi32ELc67ELc84EKPK16rocblas_bfloat16KPKfKPfEEvlllT_PT11_llSC_llSA_PT12_llPT13_lli
		.amdhsa_group_segment_fixed_size 2048
		.amdhsa_private_segment_fixed_size 0
		.amdhsa_kernarg_size 140
		.amdhsa_user_sgpr_count 6
		.amdhsa_user_sgpr_private_segment_buffer 1
		.amdhsa_user_sgpr_dispatch_ptr 0
		.amdhsa_user_sgpr_queue_ptr 0
		.amdhsa_user_sgpr_kernarg_segment_ptr 1
		.amdhsa_user_sgpr_dispatch_id 0
		.amdhsa_user_sgpr_flat_scratch_init 0
		.amdhsa_user_sgpr_private_segment_size 0
		.amdhsa_wavefront_size32 1
		.amdhsa_uses_dynamic_stack 0
		.amdhsa_system_sgpr_private_segment_wavefront_offset 0
		.amdhsa_system_sgpr_workgroup_id_x 1
		.amdhsa_system_sgpr_workgroup_id_y 1
		.amdhsa_system_sgpr_workgroup_id_z 1
		.amdhsa_system_sgpr_workgroup_info 0
		.amdhsa_system_vgpr_workitem_id 1
		.amdhsa_next_free_vgpr 44
		.amdhsa_next_free_sgpr 44
		.amdhsa_reserve_vcc 1
		.amdhsa_reserve_flat_scratch 0
		.amdhsa_float_round_mode_32 0
		.amdhsa_float_round_mode_16_64 0
		.amdhsa_float_denorm_mode_32 3
		.amdhsa_float_denorm_mode_16_64 3
		.amdhsa_dx10_clamp 1
		.amdhsa_ieee_mode 1
		.amdhsa_fp16_overflow 0
		.amdhsa_workgroup_processor_mode 1
		.amdhsa_memory_ordered 1
		.amdhsa_forward_progress 1
		.amdhsa_shared_vgpr_count 0
		.amdhsa_exception_fp_ieee_invalid_op 0
		.amdhsa_exception_fp_denorm_src 0
		.amdhsa_exception_fp_ieee_div_zero 0
		.amdhsa_exception_fp_ieee_overflow 0
		.amdhsa_exception_fp_ieee_underflow 0
		.amdhsa_exception_fp_ieee_inexact 0
		.amdhsa_exception_int_div_zero 0
	.end_amdhsa_kernel
	.section	.text._ZN12_GLOBAL__N_135rocblas_gemm_batched_general_kernelIfLi16ELi16ELi32ELi32ELi8ELi32ELi8ELi8ELi32ELc67ELc84EKPK16rocblas_bfloat16KPKfKPfEEvlllT_PT11_llSC_llSA_PT12_llPT13_lli,"axG",@progbits,_ZN12_GLOBAL__N_135rocblas_gemm_batched_general_kernelIfLi16ELi16ELi32ELi32ELi8ELi32ELi8ELi8ELi32ELc67ELc84EKPK16rocblas_bfloat16KPKfKPfEEvlllT_PT11_llSC_llSA_PT12_llPT13_lli,comdat
.Lfunc_end191:
	.size	_ZN12_GLOBAL__N_135rocblas_gemm_batched_general_kernelIfLi16ELi16ELi32ELi32ELi8ELi32ELi8ELi8ELi32ELc67ELc84EKPK16rocblas_bfloat16KPKfKPfEEvlllT_PT11_llSC_llSA_PT12_llPT13_lli, .Lfunc_end191-_ZN12_GLOBAL__N_135rocblas_gemm_batched_general_kernelIfLi16ELi16ELi32ELi32ELi8ELi32ELi8ELi8ELi32ELc67ELc84EKPK16rocblas_bfloat16KPKfKPfEEvlllT_PT11_llSC_llSA_PT12_llPT13_lli
                                        ; -- End function
	.set _ZN12_GLOBAL__N_135rocblas_gemm_batched_general_kernelIfLi16ELi16ELi32ELi32ELi8ELi32ELi8ELi8ELi32ELc67ELc84EKPK16rocblas_bfloat16KPKfKPfEEvlllT_PT11_llSC_llSA_PT12_llPT13_lli.num_vgpr, 44
	.set _ZN12_GLOBAL__N_135rocblas_gemm_batched_general_kernelIfLi16ELi16ELi32ELi32ELi8ELi32ELi8ELi8ELi32ELc67ELc84EKPK16rocblas_bfloat16KPKfKPfEEvlllT_PT11_llSC_llSA_PT12_llPT13_lli.num_agpr, 0
	.set _ZN12_GLOBAL__N_135rocblas_gemm_batched_general_kernelIfLi16ELi16ELi32ELi32ELi8ELi32ELi8ELi8ELi32ELc67ELc84EKPK16rocblas_bfloat16KPKfKPfEEvlllT_PT11_llSC_llSA_PT12_llPT13_lli.numbered_sgpr, 44
	.set _ZN12_GLOBAL__N_135rocblas_gemm_batched_general_kernelIfLi16ELi16ELi32ELi32ELi8ELi32ELi8ELi8ELi32ELc67ELc84EKPK16rocblas_bfloat16KPKfKPfEEvlllT_PT11_llSC_llSA_PT12_llPT13_lli.num_named_barrier, 0
	.set _ZN12_GLOBAL__N_135rocblas_gemm_batched_general_kernelIfLi16ELi16ELi32ELi32ELi8ELi32ELi8ELi8ELi32ELc67ELc84EKPK16rocblas_bfloat16KPKfKPfEEvlllT_PT11_llSC_llSA_PT12_llPT13_lli.private_seg_size, 0
	.set _ZN12_GLOBAL__N_135rocblas_gemm_batched_general_kernelIfLi16ELi16ELi32ELi32ELi8ELi32ELi8ELi8ELi32ELc67ELc84EKPK16rocblas_bfloat16KPKfKPfEEvlllT_PT11_llSC_llSA_PT12_llPT13_lli.uses_vcc, 1
	.set _ZN12_GLOBAL__N_135rocblas_gemm_batched_general_kernelIfLi16ELi16ELi32ELi32ELi8ELi32ELi8ELi8ELi32ELc67ELc84EKPK16rocblas_bfloat16KPKfKPfEEvlllT_PT11_llSC_llSA_PT12_llPT13_lli.uses_flat_scratch, 0
	.set _ZN12_GLOBAL__N_135rocblas_gemm_batched_general_kernelIfLi16ELi16ELi32ELi32ELi8ELi32ELi8ELi8ELi32ELc67ELc84EKPK16rocblas_bfloat16KPKfKPfEEvlllT_PT11_llSC_llSA_PT12_llPT13_lli.has_dyn_sized_stack, 0
	.set _ZN12_GLOBAL__N_135rocblas_gemm_batched_general_kernelIfLi16ELi16ELi32ELi32ELi8ELi32ELi8ELi8ELi32ELc67ELc84EKPK16rocblas_bfloat16KPKfKPfEEvlllT_PT11_llSC_llSA_PT12_llPT13_lli.has_recursion, 0
	.set _ZN12_GLOBAL__N_135rocblas_gemm_batched_general_kernelIfLi16ELi16ELi32ELi32ELi8ELi32ELi8ELi8ELi32ELc67ELc84EKPK16rocblas_bfloat16KPKfKPfEEvlllT_PT11_llSC_llSA_PT12_llPT13_lli.has_indirect_call, 0
	.section	.AMDGPU.csdata,"",@progbits
; Kernel info:
; codeLenInByte = 1916
; TotalNumSgprs: 46
; NumVgprs: 44
; ScratchSize: 0
; MemoryBound: 0
; FloatMode: 240
; IeeeMode: 1
; LDSByteSize: 2048 bytes/workgroup (compile time only)
; SGPRBlocks: 0
; VGPRBlocks: 5
; NumSGPRsForWavesPerEU: 46
; NumVGPRsForWavesPerEU: 44
; Occupancy: 16
; WaveLimiterHint : 1
; COMPUTE_PGM_RSRC2:SCRATCH_EN: 0
; COMPUTE_PGM_RSRC2:USER_SGPR: 6
; COMPUTE_PGM_RSRC2:TRAP_HANDLER: 0
; COMPUTE_PGM_RSRC2:TGID_X_EN: 1
; COMPUTE_PGM_RSRC2:TGID_Y_EN: 1
; COMPUTE_PGM_RSRC2:TGID_Z_EN: 1
; COMPUTE_PGM_RSRC2:TIDIG_COMP_CNT: 1
	.section	.text._ZN12_GLOBAL__N_135rocblas_gemm_batched_general_kernelIfLi16ELi16ELi32ELi32ELi8ELi32ELi8ELi8ELi32ELc78ELc67EKPK16rocblas_bfloat16KPKfKPfEEvlllT_PT11_llSC_llSA_PT12_llPT13_lli,"axG",@progbits,_ZN12_GLOBAL__N_135rocblas_gemm_batched_general_kernelIfLi16ELi16ELi32ELi32ELi8ELi32ELi8ELi8ELi32ELc78ELc67EKPK16rocblas_bfloat16KPKfKPfEEvlllT_PT11_llSC_llSA_PT12_llPT13_lli,comdat
	.globl	_ZN12_GLOBAL__N_135rocblas_gemm_batched_general_kernelIfLi16ELi16ELi32ELi32ELi8ELi32ELi8ELi8ELi32ELc78ELc67EKPK16rocblas_bfloat16KPKfKPfEEvlllT_PT11_llSC_llSA_PT12_llPT13_lli ; -- Begin function _ZN12_GLOBAL__N_135rocblas_gemm_batched_general_kernelIfLi16ELi16ELi32ELi32ELi8ELi32ELi8ELi8ELi32ELc78ELc67EKPK16rocblas_bfloat16KPKfKPfEEvlllT_PT11_llSC_llSA_PT12_llPT13_lli
	.p2align	8
	.type	_ZN12_GLOBAL__N_135rocblas_gemm_batched_general_kernelIfLi16ELi16ELi32ELi32ELi8ELi32ELi8ELi8ELi32ELc78ELc67EKPK16rocblas_bfloat16KPKfKPfEEvlllT_PT11_llSC_llSA_PT12_llPT13_lli,@function
_ZN12_GLOBAL__N_135rocblas_gemm_batched_general_kernelIfLi16ELi16ELi32ELi32ELi8ELi32ELi8ELi8ELi32ELc78ELc67EKPK16rocblas_bfloat16KPKfKPfEEvlllT_PT11_llSC_llSA_PT12_llPT13_lli: ; @_ZN12_GLOBAL__N_135rocblas_gemm_batched_general_kernelIfLi16ELi16ELi32ELi32ELi8ELi32ELi8ELi8ELi32ELc78ELc67EKPK16rocblas_bfloat16KPKfKPfEEvlllT_PT11_llSC_llSA_PT12_llPT13_lli
; %bb.0:
	s_clause 0x1
	s_load_dwordx8 s[12:19], s[4:5], 0x58
	s_load_dwordx2 s[34:35], s[4:5], 0x10
	s_mov_b32 s9, 0
	s_load_dwordx4 s[28:31], s[4:5], 0x0
	s_lshl_b64 s[44:45], s[8:9], 3
	s_load_dwordx4 s[8:11], s[4:5], 0x78
	s_mov_b32 s42, s7
	v_mov_b32_e32 v10, 0
	v_mov_b32_e32 v9, 0
	;; [unrolled: 1-line block ×4, first 2 shown]
	s_waitcnt lgkmcnt(0)
	s_add_u32 s0, s12, s44
	s_addc_u32 s1, s13, s45
	s_add_u32 s2, s18, s44
	s_addc_u32 s3, s19, s45
	s_load_dwordx2 s[12:13], s[0:1], 0x0
	s_load_dwordx2 s[2:3], s[2:3], 0x0
	v_cmp_lt_i64_e64 s0, s[34:35], 1
	s_ashr_i32 s7, s6, 31
	s_ashr_i32 s43, s42, 31
	s_lshl_b64 s[18:19], s[6:7], 5
	s_lshl_b64 s[40:41], s[42:43], 5
	s_and_b32 vcc_lo, exec_lo, s0
	s_cbranch_vccnz .LBB192_7
; %bb.1:
	s_clause 0x1
	s_load_dwordx4 s[36:39], s[4:5], 0x40
	s_load_dwordx8 s[20:27], s[4:5], 0x20
	v_lshl_add_u32 v2, v1, 4, v0
	v_and_b32_e32 v6, 7, v0
	v_mov_b32_e32 v3, s19
	v_mov_b32_e32 v7, 0
	v_lshlrev_b32_e32 v11, 2, v0
	v_lshrrev_b32_e32 v13, 5, v2
	v_and_b32_e32 v18, 31, v2
	v_lshrrev_b32_e32 v10, 3, v2
	v_lshlrev_b32_e32 v14, 2, v6
	v_lshl_add_u32 v12, v1, 5, 0x400
	v_or_b32_e32 v2, s18, v18
	v_add_co_u32 v4, s0, v10, s40
	v_add_co_ci_u32_e64 v5, null, 0, s41, s0
	v_cmp_gt_i64_e64 s0, s[28:29], v[2:3]
	v_lshl_or_b32 v19, v10, 5, v14
	s_waitcnt lgkmcnt(0)
	v_mad_u64_u32 v[8:9], null, s36, v6, 0
	v_mad_u64_u32 v[16:17], null, s22, v13, 0
	v_cmp_gt_i64_e64 s1, s[30:31], v[4:5]
	s_add_u32 s26, s26, s44
	s_addc_u32 s27, s27, s45
	s_add_u32 s20, s20, s44
	v_mov_b32_e32 v2, v9
	s_load_dwordx2 s[26:27], s[26:27], 0x0
	v_mov_b32_e32 v3, v17
	s_addc_u32 s21, s21, s45
	s_lshl_b64 s[42:43], s[42:43], 6
	s_load_dwordx2 s[20:21], s[20:21], 0x0
	s_lshl_b64 s[38:39], s[38:39], 1
	v_mad_u64_u32 v[4:5], null, s37, v6, v[2:3]
	s_add_u32 s33, s38, s42
	s_addc_u32 s42, s39, s43
	s_lshl_b64 s[38:39], s[6:7], 6
	s_lshl_b64 s[24:25], s[24:25], 1
	;; [unrolled: 1-line block ×3, first 2 shown]
	v_lshlrev_b32_e32 v10, 1, v10
	v_mad_u64_u32 v[2:3], null, s23, v13, v[3:4]
	v_mov_b32_e32 v9, v4
	s_add_u32 s24, s24, s38
	s_addc_u32 s25, s25, s39
	v_lshlrev_b32_e32 v15, 2, v18
	v_mov_b32_e32 v17, v2
	v_lshlrev_b64 v[2:3], 1, v[8:9]
	v_lshlrev_b32_e32 v8, 1, v18
	v_lshl_or_b32 v14, v13, 7, v15
	v_add_nc_u32_e32 v15, 0x400, v19
	v_lshlrev_b64 v[4:5], 1, v[16:17]
	v_mov_b32_e32 v9, 0
	v_add_co_u32 v2, vcc_lo, s33, v2
	v_add_co_ci_u32_e64 v3, null, s42, v3, vcc_lo
	v_add_co_u32 v4, vcc_lo, s24, v4
	v_add_co_ci_u32_e64 v5, null, s25, v5, vcc_lo
	;; [unrolled: 2-line block ×4, first 2 shown]
	s_waitcnt lgkmcnt(0)
	v_add_co_u32 v2, vcc_lo, s26, v2
	v_add_co_ci_u32_e64 v3, null, s27, v3, vcc_lo
	v_add_co_u32 v4, vcc_lo, s20, v4
	v_add_co_ci_u32_e64 v5, null, s21, v5, vcc_lo
	v_mov_b32_e32 v8, 0
	v_mov_b32_e32 v10, 0
	s_lshl_b64 s[20:21], s[22:23], 4
	s_mov_b64 s[22:23], 0
	s_branch .LBB192_3
.LBB192_2:                              ;   in Loop: Header=BB192_3 Depth=1
	s_or_b32 exec_lo, exec_lo, s24
	ds_write_b32 v15, v17
	s_waitcnt lgkmcnt(0)
	s_barrier
	buffer_gl0_inv
	ds_read_b128 v[16:19], v12
	ds_read2_b32 v[32:33], v11 offset1:16
	ds_read_b128 v[20:23], v12 offset:512
	ds_read2_b32 v[34:35], v11 offset0:32 offset1:48
	ds_read2_b32 v[36:37], v11 offset0:64 offset1:80
	;; [unrolled: 1-line block ×3, first 2 shown]
	ds_read_b128 v[24:27], v12 offset:16
	ds_read2_b32 v[40:41], v11 offset0:128 offset1:144
	ds_read_b128 v[28:31], v12 offset:528
	ds_read2_b32 v[42:43], v11 offset0:160 offset1:176
	s_add_u32 s22, s22, 8
	s_addc_u32 s23, s23, 0
	v_add_co_u32 v2, vcc_lo, v2, s6
	v_cmp_lt_i64_e64 s24, s[22:23], s[34:35]
	v_add_co_ci_u32_e64 v3, null, s7, v3, vcc_lo
	v_add_co_u32 v4, vcc_lo, v4, s20
	v_add_co_ci_u32_e64 v5, null, s21, v5, vcc_lo
	s_waitcnt lgkmcnt(8)
	v_fmac_f32_e32 v10, v32, v16
	v_fmac_f32_e32 v9, v33, v16
	s_waitcnt lgkmcnt(7)
	v_fmac_f32_e32 v8, v32, v20
	v_fmac_f32_e32 v7, v33, v20
	ds_read2_b32 v[32:33], v11 offset0:192 offset1:208
	s_waitcnt lgkmcnt(7)
	v_fmac_f32_e32 v10, v34, v17
	v_fmac_f32_e32 v9, v35, v17
	;; [unrolled: 1-line block ×4, first 2 shown]
	ds_read2_b32 v[16:17], v11 offset0:224 offset1:240
	s_waitcnt lgkmcnt(7)
	v_fmac_f32_e32 v10, v36, v18
	v_fmac_f32_e32 v9, v37, v18
	;; [unrolled: 1-line block ×4, first 2 shown]
	s_and_b32 vcc_lo, exec_lo, s24
	s_waitcnt lgkmcnt(6)
	v_fmac_f32_e32 v10, v38, v19
	v_fmac_f32_e32 v9, v39, v19
	;; [unrolled: 1-line block ×4, first 2 shown]
	s_waitcnt lgkmcnt(0)
	v_fmac_f32_e32 v10, v40, v24
	v_fmac_f32_e32 v9, v41, v24
	;; [unrolled: 1-line block ×4, first 2 shown]
	s_barrier
	v_fmac_f32_e32 v10, v42, v25
	v_fmac_f32_e32 v9, v43, v25
	v_fmac_f32_e32 v8, v42, v29
	v_fmac_f32_e32 v7, v43, v29
	buffer_gl0_inv
	v_fmac_f32_e32 v10, v32, v26
	v_fmac_f32_e32 v9, v33, v26
	;; [unrolled: 1-line block ×8, first 2 shown]
	s_cbranch_vccz .LBB192_7
.LBB192_3:                              ; =>This Inner Loop Header: Depth=1
	v_add_co_u32 v16, s24, v13, s22
	v_add_co_ci_u32_e64 v17, null, 0, s23, s24
	v_cmp_gt_i64_e32 vcc_lo, s[34:35], v[16:17]
	v_mov_b32_e32 v16, 0
	s_and_b32 s25, s0, vcc_lo
	s_and_saveexec_b32 s24, s25
	s_cbranch_execz .LBB192_5
; %bb.4:                                ;   in Loop: Header=BB192_3 Depth=1
	flat_load_ushort v16, v[4:5]
	s_waitcnt vmcnt(0) lgkmcnt(0)
	v_lshlrev_b32_e32 v16, 16, v16
.LBB192_5:                              ;   in Loop: Header=BB192_3 Depth=1
	s_or_b32 exec_lo, exec_lo, s24
	v_add_co_u32 v17, s24, v6, s22
	v_add_co_ci_u32_e64 v18, null, 0, s23, s24
	ds_write_b32 v14, v16
	v_cmp_gt_i64_e32 vcc_lo, s[34:35], v[17:18]
	v_mov_b32_e32 v17, 0
	s_and_b32 s25, vcc_lo, s1
	s_and_saveexec_b32 s24, s25
	s_cbranch_execz .LBB192_2
; %bb.6:                                ;   in Loop: Header=BB192_3 Depth=1
	flat_load_ushort v16, v[2:3]
	s_waitcnt vmcnt(0) lgkmcnt(0)
	v_lshlrev_b32_e32 v17, 16, v16
	s_branch .LBB192_2
.LBB192_7:
	s_clause 0x1
	s_load_dword s6, s[4:5], 0x50
	s_load_dword s4, s[4:5], 0x18
	v_add_co_u32 v1, s5, s40, v1
	v_add_co_ci_u32_e64 v2, null, s41, 0, s5
	s_lshl_b64 s[0:1], s[10:11], 2
	s_waitcnt lgkmcnt(0)
	s_add_u32 s5, s2, s0
	v_cmp_gt_i64_e64 s0, s[30:31], v[1:2]
	s_addc_u32 s3, s3, s1
	v_cmp_neq_f32_e64 s7, s6, 0
	s_and_b32 vcc_lo, exec_lo, s7
	s_cbranch_vccnz .LBB192_20
; %bb.8:
	s_and_saveexec_b32 s7, s0
	s_cbranch_execz .LBB192_18
; %bb.9:
	v_mul_lo_u32 v5, v2, s8
	v_mul_lo_u32 v6, v1, s9
	v_mad_u64_u32 v[3:4], null, v1, s8, 0
	v_add3_u32 v4, v4, v6, v5
	v_add_co_u32 v5, s1, s18, v0
	v_add_co_ci_u32_e64 v6, null, s19, 0, s1
	v_lshlrev_b64 v[11:12], 2, v[3:4]
	v_cmp_gt_i64_e32 vcc_lo, s[28:29], v[5:6]
	v_lshlrev_b64 v[3:4], 2, v[5:6]
	v_add_co_u32 v11, s1, s5, v11
	v_add_co_ci_u32_e64 v12, null, s3, v12, s1
	s_and_saveexec_b32 s2, vcc_lo
	s_cbranch_execz .LBB192_11
; %bb.10:
	v_add_co_u32 v13, s1, v11, v3
	v_add_co_ci_u32_e64 v14, null, v12, v4, s1
	v_mul_f32_e32 v15, s4, v10
	flat_store_dword v[13:14], v15
.LBB192_11:
	s_or_b32 exec_lo, exec_lo, s2
	v_add_co_u32 v5, s1, v5, 16
	v_add_co_ci_u32_e64 v6, null, 0, v6, s1
	v_cmp_gt_i64_e64 s1, s[28:29], v[5:6]
	s_and_saveexec_b32 s10, s1
	s_cbranch_execz .LBB192_13
; %bb.12:
	v_add_co_u32 v5, s2, v11, v3
	v_add_co_ci_u32_e64 v6, null, v12, v4, s2
	v_mul_f32_e32 v13, s4, v9
	flat_store_dword v[5:6], v13 offset:64
.LBB192_13:
	s_or_b32 exec_lo, exec_lo, s10
	v_add_co_u32 v5, s2, v1, 16
	v_add_co_ci_u32_e64 v6, null, 0, v2, s2
	v_cmp_gt_i64_e64 s2, s[30:31], v[5:6]
	s_and_b32 exec_lo, exec_lo, s2
	s_cbranch_execz .LBB192_18
; %bb.14:
	s_lshl_b64 s[10:11], s[8:9], 6
	v_add_co_u32 v5, s2, v11, s10
	v_add_co_ci_u32_e64 v6, null, s11, v12, s2
	v_add_co_u32 v3, s2, v5, v3
	v_add_co_ci_u32_e64 v4, null, v6, v4, s2
	s_and_saveexec_b32 s2, vcc_lo
	s_cbranch_execz .LBB192_16
; %bb.15:
	v_mul_f32_e32 v5, s4, v8
	flat_store_dword v[3:4], v5
.LBB192_16:
	s_or_b32 exec_lo, exec_lo, s2
	s_and_b32 exec_lo, exec_lo, s1
	s_cbranch_execz .LBB192_18
; %bb.17:
	v_mul_f32_e32 v5, s4, v7
	flat_store_dword v[3:4], v5 offset:64
.LBB192_18:
	s_or_b32 exec_lo, exec_lo, s7
	s_cbranch_execz .LBB192_21
.LBB192_19:
	s_endpgm
.LBB192_20:
.LBB192_21:
	s_and_saveexec_b32 s1, s0
	s_cbranch_execz .LBB192_19
; %bb.22:
	v_mul_lo_u32 v5, v2, s14
	v_mul_lo_u32 v6, v1, s15
	v_mad_u64_u32 v[3:4], null, v1, s14, 0
	v_mul_lo_u32 v13, v2, s8
	v_mul_lo_u32 v14, v1, s9
	v_mad_u64_u32 v[11:12], null, v1, s8, 0
	s_lshl_b64 s[0:1], s[16:17], 2
	v_add3_u32 v4, v4, v6, v5
	v_add_co_u32 v5, s2, s18, v0
	v_add_co_ci_u32_e64 v6, null, s19, 0, s2
	v_add3_u32 v12, v12, v14, v13
	v_lshlrev_b64 v[3:4], 2, v[3:4]
	s_add_u32 s0, s12, s0
	s_addc_u32 s1, s13, s1
	v_cmp_gt_i64_e32 vcc_lo, s[28:29], v[5:6]
	v_lshlrev_b64 v[12:13], 2, v[11:12]
	v_add_co_u32 v0, s0, s0, v3
	v_add_co_ci_u32_e64 v11, null, s1, v4, s0
	v_add_co_u32 v12, s0, s5, v12
	v_lshlrev_b64 v[3:4], 2, v[5:6]
	v_add_co_ci_u32_e64 v13, null, s3, v13, s0
	s_and_saveexec_b32 s1, vcc_lo
	s_cbranch_execz .LBB192_24
; %bb.23:
	v_add_co_u32 v14, s0, v0, v3
	v_add_co_ci_u32_e64 v15, null, v11, v4, s0
	flat_load_dword v14, v[14:15]
	s_waitcnt vmcnt(0) lgkmcnt(0)
	v_mul_f32_e32 v16, s6, v14
	v_add_co_u32 v14, s0, v12, v3
	v_add_co_ci_u32_e64 v15, null, v13, v4, s0
	v_fmac_f32_e32 v16, s4, v10
	flat_store_dword v[14:15], v16
.LBB192_24:
	s_or_b32 exec_lo, exec_lo, s1
	v_add_co_u32 v5, s0, v5, 16
	v_add_co_ci_u32_e64 v6, null, 0, v6, s0
	v_cmp_gt_i64_e64 s0, s[28:29], v[5:6]
	s_and_saveexec_b32 s2, s0
	s_cbranch_execz .LBB192_26
; %bb.25:
	v_add_co_u32 v5, s1, v0, v3
	v_add_co_ci_u32_e64 v6, null, v11, v4, s1
	flat_load_dword v5, v[5:6] offset:64
	s_waitcnt vmcnt(0) lgkmcnt(0)
	v_mul_f32_e32 v10, s6, v5
	v_add_co_u32 v5, s1, v12, v3
	v_add_co_ci_u32_e64 v6, null, v13, v4, s1
	v_fmac_f32_e32 v10, s4, v9
	flat_store_dword v[5:6], v10 offset:64
.LBB192_26:
	s_or_b32 exec_lo, exec_lo, s2
	v_add_co_u32 v1, s1, v1, 16
	v_add_co_ci_u32_e64 v2, null, 0, v2, s1
	v_cmp_gt_i64_e64 s1, s[30:31], v[1:2]
	s_and_b32 exec_lo, exec_lo, s1
	s_cbranch_execz .LBB192_19
; %bb.27:
	s_lshl_b64 s[2:3], s[14:15], 6
	v_add_co_u32 v0, s1, v0, s2
	v_add_co_ci_u32_e64 v1, null, s3, v11, s1
	s_lshl_b64 s[2:3], s[8:9], 6
	v_add_co_u32 v2, s1, v12, s2
	v_add_co_ci_u32_e64 v5, null, s3, v13, s1
	v_add_co_u32 v0, s1, v0, v3
	v_add_co_ci_u32_e64 v1, null, v1, v4, s1
	v_add_co_u32 v2, s1, v2, v3
	v_add_co_ci_u32_e64 v3, null, v5, v4, s1
	s_and_saveexec_b32 s1, vcc_lo
	s_cbranch_execz .LBB192_29
; %bb.28:
	flat_load_dword v4, v[0:1]
	s_waitcnt vmcnt(0) lgkmcnt(0)
	v_mul_f32_e32 v4, s6, v4
	v_fmac_f32_e32 v4, s4, v8
	flat_store_dword v[2:3], v4
.LBB192_29:
	s_or_b32 exec_lo, exec_lo, s1
	s_and_b32 exec_lo, exec_lo, s0
	s_cbranch_execz .LBB192_19
; %bb.30:
	flat_load_dword v0, v[0:1] offset:64
	s_waitcnt vmcnt(0) lgkmcnt(0)
	v_mul_f32_e32 v0, s6, v0
	v_fmac_f32_e32 v0, s4, v7
	flat_store_dword v[2:3], v0 offset:64
	s_endpgm
	.section	.rodata,"a",@progbits
	.p2align	6, 0x0
	.amdhsa_kernel _ZN12_GLOBAL__N_135rocblas_gemm_batched_general_kernelIfLi16ELi16ELi32ELi32ELi8ELi32ELi8ELi8ELi32ELc78ELc67EKPK16rocblas_bfloat16KPKfKPfEEvlllT_PT11_llSC_llSA_PT12_llPT13_lli
		.amdhsa_group_segment_fixed_size 2048
		.amdhsa_private_segment_fixed_size 0
		.amdhsa_kernarg_size 140
		.amdhsa_user_sgpr_count 6
		.amdhsa_user_sgpr_private_segment_buffer 1
		.amdhsa_user_sgpr_dispatch_ptr 0
		.amdhsa_user_sgpr_queue_ptr 0
		.amdhsa_user_sgpr_kernarg_segment_ptr 1
		.amdhsa_user_sgpr_dispatch_id 0
		.amdhsa_user_sgpr_flat_scratch_init 0
		.amdhsa_user_sgpr_private_segment_size 0
		.amdhsa_wavefront_size32 1
		.amdhsa_uses_dynamic_stack 0
		.amdhsa_system_sgpr_private_segment_wavefront_offset 0
		.amdhsa_system_sgpr_workgroup_id_x 1
		.amdhsa_system_sgpr_workgroup_id_y 1
		.amdhsa_system_sgpr_workgroup_id_z 1
		.amdhsa_system_sgpr_workgroup_info 0
		.amdhsa_system_vgpr_workitem_id 1
		.amdhsa_next_free_vgpr 44
		.amdhsa_next_free_sgpr 46
		.amdhsa_reserve_vcc 1
		.amdhsa_reserve_flat_scratch 0
		.amdhsa_float_round_mode_32 0
		.amdhsa_float_round_mode_16_64 0
		.amdhsa_float_denorm_mode_32 3
		.amdhsa_float_denorm_mode_16_64 3
		.amdhsa_dx10_clamp 1
		.amdhsa_ieee_mode 1
		.amdhsa_fp16_overflow 0
		.amdhsa_workgroup_processor_mode 1
		.amdhsa_memory_ordered 1
		.amdhsa_forward_progress 1
		.amdhsa_shared_vgpr_count 0
		.amdhsa_exception_fp_ieee_invalid_op 0
		.amdhsa_exception_fp_denorm_src 0
		.amdhsa_exception_fp_ieee_div_zero 0
		.amdhsa_exception_fp_ieee_overflow 0
		.amdhsa_exception_fp_ieee_underflow 0
		.amdhsa_exception_fp_ieee_inexact 0
		.amdhsa_exception_int_div_zero 0
	.end_amdhsa_kernel
	.section	.text._ZN12_GLOBAL__N_135rocblas_gemm_batched_general_kernelIfLi16ELi16ELi32ELi32ELi8ELi32ELi8ELi8ELi32ELc78ELc67EKPK16rocblas_bfloat16KPKfKPfEEvlllT_PT11_llSC_llSA_PT12_llPT13_lli,"axG",@progbits,_ZN12_GLOBAL__N_135rocblas_gemm_batched_general_kernelIfLi16ELi16ELi32ELi32ELi8ELi32ELi8ELi8ELi32ELc78ELc67EKPK16rocblas_bfloat16KPKfKPfEEvlllT_PT11_llSC_llSA_PT12_llPT13_lli,comdat
.Lfunc_end192:
	.size	_ZN12_GLOBAL__N_135rocblas_gemm_batched_general_kernelIfLi16ELi16ELi32ELi32ELi8ELi32ELi8ELi8ELi32ELc78ELc67EKPK16rocblas_bfloat16KPKfKPfEEvlllT_PT11_llSC_llSA_PT12_llPT13_lli, .Lfunc_end192-_ZN12_GLOBAL__N_135rocblas_gemm_batched_general_kernelIfLi16ELi16ELi32ELi32ELi8ELi32ELi8ELi8ELi32ELc78ELc67EKPK16rocblas_bfloat16KPKfKPfEEvlllT_PT11_llSC_llSA_PT12_llPT13_lli
                                        ; -- End function
	.set _ZN12_GLOBAL__N_135rocblas_gemm_batched_general_kernelIfLi16ELi16ELi32ELi32ELi8ELi32ELi8ELi8ELi32ELc78ELc67EKPK16rocblas_bfloat16KPKfKPfEEvlllT_PT11_llSC_llSA_PT12_llPT13_lli.num_vgpr, 44
	.set _ZN12_GLOBAL__N_135rocblas_gemm_batched_general_kernelIfLi16ELi16ELi32ELi32ELi8ELi32ELi8ELi8ELi32ELc78ELc67EKPK16rocblas_bfloat16KPKfKPfEEvlllT_PT11_llSC_llSA_PT12_llPT13_lli.num_agpr, 0
	.set _ZN12_GLOBAL__N_135rocblas_gemm_batched_general_kernelIfLi16ELi16ELi32ELi32ELi8ELi32ELi8ELi8ELi32ELc78ELc67EKPK16rocblas_bfloat16KPKfKPfEEvlllT_PT11_llSC_llSA_PT12_llPT13_lli.numbered_sgpr, 46
	.set _ZN12_GLOBAL__N_135rocblas_gemm_batched_general_kernelIfLi16ELi16ELi32ELi32ELi8ELi32ELi8ELi8ELi32ELc78ELc67EKPK16rocblas_bfloat16KPKfKPfEEvlllT_PT11_llSC_llSA_PT12_llPT13_lli.num_named_barrier, 0
	.set _ZN12_GLOBAL__N_135rocblas_gemm_batched_general_kernelIfLi16ELi16ELi32ELi32ELi8ELi32ELi8ELi8ELi32ELc78ELc67EKPK16rocblas_bfloat16KPKfKPfEEvlllT_PT11_llSC_llSA_PT12_llPT13_lli.private_seg_size, 0
	.set _ZN12_GLOBAL__N_135rocblas_gemm_batched_general_kernelIfLi16ELi16ELi32ELi32ELi8ELi32ELi8ELi8ELi32ELc78ELc67EKPK16rocblas_bfloat16KPKfKPfEEvlllT_PT11_llSC_llSA_PT12_llPT13_lli.uses_vcc, 1
	.set _ZN12_GLOBAL__N_135rocblas_gemm_batched_general_kernelIfLi16ELi16ELi32ELi32ELi8ELi32ELi8ELi8ELi32ELc78ELc67EKPK16rocblas_bfloat16KPKfKPfEEvlllT_PT11_llSC_llSA_PT12_llPT13_lli.uses_flat_scratch, 0
	.set _ZN12_GLOBAL__N_135rocblas_gemm_batched_general_kernelIfLi16ELi16ELi32ELi32ELi8ELi32ELi8ELi8ELi32ELc78ELc67EKPK16rocblas_bfloat16KPKfKPfEEvlllT_PT11_llSC_llSA_PT12_llPT13_lli.has_dyn_sized_stack, 0
	.set _ZN12_GLOBAL__N_135rocblas_gemm_batched_general_kernelIfLi16ELi16ELi32ELi32ELi8ELi32ELi8ELi8ELi32ELc78ELc67EKPK16rocblas_bfloat16KPKfKPfEEvlllT_PT11_llSC_llSA_PT12_llPT13_lli.has_recursion, 0
	.set _ZN12_GLOBAL__N_135rocblas_gemm_batched_general_kernelIfLi16ELi16ELi32ELi32ELi8ELi32ELi8ELi8ELi32ELc78ELc67EKPK16rocblas_bfloat16KPKfKPfEEvlllT_PT11_llSC_llSA_PT12_llPT13_lli.has_indirect_call, 0
	.section	.AMDGPU.csdata,"",@progbits
; Kernel info:
; codeLenInByte = 1908
; TotalNumSgprs: 48
; NumVgprs: 44
; ScratchSize: 0
; MemoryBound: 0
; FloatMode: 240
; IeeeMode: 1
; LDSByteSize: 2048 bytes/workgroup (compile time only)
; SGPRBlocks: 0
; VGPRBlocks: 5
; NumSGPRsForWavesPerEU: 48
; NumVGPRsForWavesPerEU: 44
; Occupancy: 16
; WaveLimiterHint : 1
; COMPUTE_PGM_RSRC2:SCRATCH_EN: 0
; COMPUTE_PGM_RSRC2:USER_SGPR: 6
; COMPUTE_PGM_RSRC2:TRAP_HANDLER: 0
; COMPUTE_PGM_RSRC2:TGID_X_EN: 1
; COMPUTE_PGM_RSRC2:TGID_Y_EN: 1
; COMPUTE_PGM_RSRC2:TGID_Z_EN: 1
; COMPUTE_PGM_RSRC2:TIDIG_COMP_CNT: 1
	.section	.text._ZN12_GLOBAL__N_135rocblas_gemm_batched_general_kernelIfLi16ELi16ELi32ELi32ELi8ELi32ELi8ELi8ELi32ELc84ELc67EKPK16rocblas_bfloat16KPKfKPfEEvlllT_PT11_llSC_llSA_PT12_llPT13_lli,"axG",@progbits,_ZN12_GLOBAL__N_135rocblas_gemm_batched_general_kernelIfLi16ELi16ELi32ELi32ELi8ELi32ELi8ELi8ELi32ELc84ELc67EKPK16rocblas_bfloat16KPKfKPfEEvlllT_PT11_llSC_llSA_PT12_llPT13_lli,comdat
	.globl	_ZN12_GLOBAL__N_135rocblas_gemm_batched_general_kernelIfLi16ELi16ELi32ELi32ELi8ELi32ELi8ELi8ELi32ELc84ELc67EKPK16rocblas_bfloat16KPKfKPfEEvlllT_PT11_llSC_llSA_PT12_llPT13_lli ; -- Begin function _ZN12_GLOBAL__N_135rocblas_gemm_batched_general_kernelIfLi16ELi16ELi32ELi32ELi8ELi32ELi8ELi8ELi32ELc84ELc67EKPK16rocblas_bfloat16KPKfKPfEEvlllT_PT11_llSC_llSA_PT12_llPT13_lli
	.p2align	8
	.type	_ZN12_GLOBAL__N_135rocblas_gemm_batched_general_kernelIfLi16ELi16ELi32ELi32ELi8ELi32ELi8ELi8ELi32ELc84ELc67EKPK16rocblas_bfloat16KPKfKPfEEvlllT_PT11_llSC_llSA_PT12_llPT13_lli,@function
_ZN12_GLOBAL__N_135rocblas_gemm_batched_general_kernelIfLi16ELi16ELi32ELi32ELi8ELi32ELi8ELi8ELi32ELc84ELc67EKPK16rocblas_bfloat16KPKfKPfEEvlllT_PT11_llSC_llSA_PT12_llPT13_lli: ; @_ZN12_GLOBAL__N_135rocblas_gemm_batched_general_kernelIfLi16ELi16ELi32ELi32ELi8ELi32ELi8ELi8ELi32ELc84ELc67EKPK16rocblas_bfloat16KPKfKPfEEvlllT_PT11_llSC_llSA_PT12_llPT13_lli
; %bb.0:
	s_clause 0x1
	s_load_dwordx8 s[12:19], s[4:5], 0x58
	s_load_dwordx2 s[34:35], s[4:5], 0x10
	s_mov_b32 s9, 0
	s_load_dwordx4 s[28:31], s[4:5], 0x0
	s_lshl_b64 s[42:43], s[8:9], 3
	s_load_dwordx4 s[8:11], s[4:5], 0x78
	s_mov_b32 s40, s7
	v_mov_b32_e32 v10, 0
	v_mov_b32_e32 v9, 0
	;; [unrolled: 1-line block ×4, first 2 shown]
	s_waitcnt lgkmcnt(0)
	s_add_u32 s0, s12, s42
	s_addc_u32 s1, s13, s43
	s_add_u32 s2, s18, s42
	s_addc_u32 s3, s19, s43
	s_load_dwordx2 s[12:13], s[0:1], 0x0
	s_load_dwordx2 s[2:3], s[2:3], 0x0
	v_cmp_lt_i64_e64 s0, s[34:35], 1
	s_ashr_i32 s7, s6, 31
	s_ashr_i32 s41, s40, 31
	s_lshl_b64 s[6:7], s[6:7], 5
	s_lshl_b64 s[18:19], s[40:41], 5
	s_and_b32 vcc_lo, exec_lo, s0
	s_cbranch_vccnz .LBB193_7
; %bb.1:
	s_clause 0x1
	s_load_dwordx4 s[36:39], s[4:5], 0x40
	s_load_dwordx8 s[20:27], s[4:5], 0x20
	v_lshl_add_u32 v2, v1, 4, v0
	v_and_b32_e32 v6, 7, v0
	v_mov_b32_e32 v3, s7
	v_mov_b32_e32 v7, 0
	v_lshlrev_b32_e32 v11, 2, v0
	v_and_b32_e32 v14, 31, v2
	v_lshrrev_b32_e32 v10, 3, v2
	v_lshrrev_b32_e32 v13, 5, v2
	v_lshlrev_b32_e32 v15, 2, v6
	v_lshl_add_u32 v12, v1, 5, 0x400
	v_or_b32_e32 v2, s6, v14
	v_add_co_u32 v4, s0, v10, s18
	v_add_co_ci_u32_e64 v5, null, 0, s19, s0
	v_add_co_u32 v17, s0, s6, v14
	v_add_co_ci_u32_e64 v18, null, s7, 0, s0
	s_waitcnt lgkmcnt(0)
	v_mad_u64_u32 v[8:9], null, s36, v6, 0
	v_cmp_gt_i64_e64 s0, s[28:29], v[2:3]
	v_lshlrev_b32_e32 v16, 2, v14
	v_cmp_gt_i64_e64 s1, s[30:31], v[4:5]
	v_mul_lo_u32 v5, s23, v17
	s_add_u32 s26, s26, s42
	s_addc_u32 s27, s27, s43
	v_mov_b32_e32 v2, v9
	v_lshl_or_b32 v14, v13, 7, v16
	v_mul_lo_u32 v16, s22, v18
	s_add_u32 s20, s20, s42
	s_addc_u32 s21, s21, s43
	v_mad_u64_u32 v[2:3], null, s37, v6, v[2:3]
	v_mad_u64_u32 v[3:4], null, s22, v17, 0
	s_load_dwordx2 s[22:23], s[26:27], 0x0
	s_load_dwordx2 s[20:21], s[20:21], 0x0
	s_lshl_b64 s[26:27], s[40:41], 6
	s_lshl_b64 s[38:39], s[38:39], 1
	v_mov_b32_e32 v9, v2
	s_add_u32 s26, s38, s26
	v_add3_u32 v4, v4, v16, v5
	s_addc_u32 s27, s39, s27
	s_lshl_b64 s[24:25], s[24:25], 1
	v_lshlrev_b64 v[8:9], 1, v[8:9]
	v_lshl_or_b32 v15, v10, 5, v15
	v_lshlrev_b64 v[2:3], 1, v[3:4]
	v_add_nc_u32_e32 v15, 0x400, v15
	v_add_co_u32 v4, vcc_lo, s26, v8
	v_lshlrev_b32_e32 v8, 1, v10
	v_add_co_ci_u32_e64 v5, null, s27, v9, vcc_lo
	v_add_co_u32 v2, vcc_lo, v2, s24
	v_lshlrev_b32_e32 v9, 1, v13
	v_add_co_ci_u32_e64 v3, null, s25, v3, vcc_lo
	v_add_co_u32 v4, vcc_lo, v4, v8
	v_add_co_ci_u32_e64 v5, null, 0, v5, vcc_lo
	v_add_co_u32 v8, vcc_lo, v2, v9
	v_add_co_ci_u32_e64 v9, null, 0, v3, vcc_lo
	s_waitcnt lgkmcnt(0)
	v_add_co_u32 v2, vcc_lo, s22, v4
	v_add_co_ci_u32_e64 v3, null, s23, v5, vcc_lo
	v_add_co_u32 v4, vcc_lo, s20, v8
	v_add_co_ci_u32_e64 v5, null, s21, v9, vcc_lo
	v_mov_b32_e32 v8, 0
	v_mov_b32_e32 v9, 0
	;; [unrolled: 1-line block ×3, first 2 shown]
	s_lshl_b64 s[20:21], s[36:37], 4
	s_mov_b64 s[22:23], 0
	s_branch .LBB193_3
.LBB193_2:                              ;   in Loop: Header=BB193_3 Depth=1
	s_or_b32 exec_lo, exec_lo, s24
	ds_write_b32 v15, v17
	s_waitcnt lgkmcnt(0)
	s_barrier
	buffer_gl0_inv
	ds_read_b128 v[16:19], v12
	ds_read2_b32 v[32:33], v11 offset1:16
	ds_read_b128 v[20:23], v12 offset:512
	ds_read2_b32 v[34:35], v11 offset0:32 offset1:48
	ds_read2_b32 v[36:37], v11 offset0:64 offset1:80
	;; [unrolled: 1-line block ×3, first 2 shown]
	ds_read_b128 v[24:27], v12 offset:16
	ds_read2_b32 v[40:41], v11 offset0:128 offset1:144
	ds_read_b128 v[28:31], v12 offset:528
	ds_read2_b32 v[42:43], v11 offset0:160 offset1:176
	s_add_u32 s22, s22, 8
	s_addc_u32 s23, s23, 0
	v_add_co_u32 v2, vcc_lo, v2, s20
	v_cmp_lt_i64_e64 s24, s[22:23], s[34:35]
	v_add_co_ci_u32_e64 v3, null, s21, v3, vcc_lo
	v_add_co_u32 v4, vcc_lo, v4, 16
	v_add_co_ci_u32_e64 v5, null, 0, v5, vcc_lo
	s_waitcnt lgkmcnt(8)
	v_fmac_f32_e32 v10, v32, v16
	v_fmac_f32_e32 v9, v33, v16
	s_waitcnt lgkmcnt(7)
	v_fmac_f32_e32 v8, v32, v20
	v_fmac_f32_e32 v7, v33, v20
	ds_read2_b32 v[32:33], v11 offset0:192 offset1:208
	s_waitcnt lgkmcnt(7)
	v_fmac_f32_e32 v10, v34, v17
	v_fmac_f32_e32 v9, v35, v17
	v_fmac_f32_e32 v8, v34, v21
	v_fmac_f32_e32 v7, v35, v21
	ds_read2_b32 v[16:17], v11 offset0:224 offset1:240
	s_waitcnt lgkmcnt(7)
	v_fmac_f32_e32 v10, v36, v18
	v_fmac_f32_e32 v9, v37, v18
	;; [unrolled: 1-line block ×4, first 2 shown]
	s_and_b32 vcc_lo, exec_lo, s24
	s_waitcnt lgkmcnt(6)
	v_fmac_f32_e32 v10, v38, v19
	v_fmac_f32_e32 v9, v39, v19
	;; [unrolled: 1-line block ×4, first 2 shown]
	s_waitcnt lgkmcnt(0)
	v_fmac_f32_e32 v10, v40, v24
	v_fmac_f32_e32 v9, v41, v24
	;; [unrolled: 1-line block ×4, first 2 shown]
	s_barrier
	v_fmac_f32_e32 v10, v42, v25
	v_fmac_f32_e32 v9, v43, v25
	;; [unrolled: 1-line block ×4, first 2 shown]
	buffer_gl0_inv
	v_fmac_f32_e32 v10, v32, v26
	v_fmac_f32_e32 v9, v33, v26
	;; [unrolled: 1-line block ×8, first 2 shown]
	s_cbranch_vccz .LBB193_7
.LBB193_3:                              ; =>This Inner Loop Header: Depth=1
	v_add_co_u32 v16, s24, v13, s22
	v_add_co_ci_u32_e64 v17, null, 0, s23, s24
	v_cmp_gt_i64_e32 vcc_lo, s[34:35], v[16:17]
	v_mov_b32_e32 v16, 0
	s_and_b32 s25, s0, vcc_lo
	s_and_saveexec_b32 s24, s25
	s_cbranch_execz .LBB193_5
; %bb.4:                                ;   in Loop: Header=BB193_3 Depth=1
	flat_load_ushort v16, v[4:5]
	s_waitcnt vmcnt(0) lgkmcnt(0)
	v_lshlrev_b32_e32 v16, 16, v16
.LBB193_5:                              ;   in Loop: Header=BB193_3 Depth=1
	s_or_b32 exec_lo, exec_lo, s24
	v_add_co_u32 v17, s24, v6, s22
	v_add_co_ci_u32_e64 v18, null, 0, s23, s24
	ds_write_b32 v14, v16
	v_cmp_gt_i64_e32 vcc_lo, s[34:35], v[17:18]
	v_mov_b32_e32 v17, 0
	s_and_b32 s25, vcc_lo, s1
	s_and_saveexec_b32 s24, s25
	s_cbranch_execz .LBB193_2
; %bb.6:                                ;   in Loop: Header=BB193_3 Depth=1
	flat_load_ushort v16, v[2:3]
	s_waitcnt vmcnt(0) lgkmcnt(0)
	v_lshlrev_b32_e32 v17, 16, v16
	s_branch .LBB193_2
.LBB193_7:
	s_clause 0x1
	s_load_dword s20, s[4:5], 0x50
	s_load_dword s4, s[4:5], 0x18
	v_add_co_u32 v1, s5, s18, v1
	v_add_co_ci_u32_e64 v2, null, s19, 0, s5
	s_lshl_b64 s[0:1], s[10:11], 2
	s_waitcnt lgkmcnt(0)
	s_add_u32 s5, s2, s0
	v_cmp_gt_i64_e64 s0, s[30:31], v[1:2]
	s_addc_u32 s3, s3, s1
	v_cmp_neq_f32_e64 s10, s20, 0
	s_and_b32 vcc_lo, exec_lo, s10
	s_cbranch_vccnz .LBB193_20
; %bb.8:
	s_and_saveexec_b32 s10, s0
	s_cbranch_execz .LBB193_18
; %bb.9:
	v_mul_lo_u32 v5, v2, s8
	v_mul_lo_u32 v6, v1, s9
	v_mad_u64_u32 v[3:4], null, v1, s8, 0
	v_add3_u32 v4, v4, v6, v5
	v_add_co_u32 v5, s1, s6, v0
	v_add_co_ci_u32_e64 v6, null, s7, 0, s1
	v_lshlrev_b64 v[11:12], 2, v[3:4]
	v_cmp_gt_i64_e32 vcc_lo, s[28:29], v[5:6]
	v_lshlrev_b64 v[3:4], 2, v[5:6]
	v_add_co_u32 v11, s1, s5, v11
	v_add_co_ci_u32_e64 v12, null, s3, v12, s1
	s_and_saveexec_b32 s2, vcc_lo
	s_cbranch_execz .LBB193_11
; %bb.10:
	v_add_co_u32 v13, s1, v11, v3
	v_add_co_ci_u32_e64 v14, null, v12, v4, s1
	v_mul_f32_e32 v15, s4, v10
	flat_store_dword v[13:14], v15
.LBB193_11:
	s_or_b32 exec_lo, exec_lo, s2
	v_add_co_u32 v5, s1, v5, 16
	v_add_co_ci_u32_e64 v6, null, 0, v6, s1
	v_cmp_gt_i64_e64 s1, s[28:29], v[5:6]
	s_and_saveexec_b32 s11, s1
	s_cbranch_execz .LBB193_13
; %bb.12:
	v_add_co_u32 v5, s2, v11, v3
	v_add_co_ci_u32_e64 v6, null, v12, v4, s2
	v_mul_f32_e32 v13, s4, v9
	flat_store_dword v[5:6], v13 offset:64
.LBB193_13:
	s_or_b32 exec_lo, exec_lo, s11
	v_add_co_u32 v5, s2, v1, 16
	v_add_co_ci_u32_e64 v6, null, 0, v2, s2
	v_cmp_gt_i64_e64 s2, s[30:31], v[5:6]
	s_and_b32 exec_lo, exec_lo, s2
	s_cbranch_execz .LBB193_18
; %bb.14:
	s_lshl_b64 s[18:19], s[8:9], 6
	v_add_co_u32 v5, s2, v11, s18
	v_add_co_ci_u32_e64 v6, null, s19, v12, s2
	v_add_co_u32 v3, s2, v5, v3
	v_add_co_ci_u32_e64 v4, null, v6, v4, s2
	s_and_saveexec_b32 s2, vcc_lo
	s_cbranch_execz .LBB193_16
; %bb.15:
	v_mul_f32_e32 v5, s4, v8
	flat_store_dword v[3:4], v5
.LBB193_16:
	s_or_b32 exec_lo, exec_lo, s2
	s_and_b32 exec_lo, exec_lo, s1
	s_cbranch_execz .LBB193_18
; %bb.17:
	v_mul_f32_e32 v5, s4, v7
	flat_store_dword v[3:4], v5 offset:64
.LBB193_18:
	s_or_b32 exec_lo, exec_lo, s10
	s_cbranch_execz .LBB193_21
.LBB193_19:
	s_endpgm
.LBB193_20:
.LBB193_21:
	s_and_saveexec_b32 s1, s0
	s_cbranch_execz .LBB193_19
; %bb.22:
	v_mul_lo_u32 v5, v2, s14
	v_mul_lo_u32 v6, v1, s15
	v_mad_u64_u32 v[3:4], null, v1, s14, 0
	v_mul_lo_u32 v13, v2, s8
	v_mul_lo_u32 v14, v1, s9
	v_mad_u64_u32 v[11:12], null, v1, s8, 0
	s_lshl_b64 s[0:1], s[16:17], 2
	v_add3_u32 v4, v4, v6, v5
	v_add_co_u32 v5, s2, s6, v0
	v_add_co_ci_u32_e64 v6, null, s7, 0, s2
	v_add3_u32 v12, v12, v14, v13
	v_lshlrev_b64 v[3:4], 2, v[3:4]
	s_add_u32 s0, s12, s0
	s_addc_u32 s1, s13, s1
	v_cmp_gt_i64_e32 vcc_lo, s[28:29], v[5:6]
	v_lshlrev_b64 v[12:13], 2, v[11:12]
	v_add_co_u32 v0, s0, s0, v3
	v_add_co_ci_u32_e64 v11, null, s1, v4, s0
	v_add_co_u32 v12, s0, s5, v12
	v_lshlrev_b64 v[3:4], 2, v[5:6]
	v_add_co_ci_u32_e64 v13, null, s3, v13, s0
	s_and_saveexec_b32 s1, vcc_lo
	s_cbranch_execz .LBB193_24
; %bb.23:
	v_add_co_u32 v14, s0, v0, v3
	v_add_co_ci_u32_e64 v15, null, v11, v4, s0
	flat_load_dword v14, v[14:15]
	s_waitcnt vmcnt(0) lgkmcnt(0)
	v_mul_f32_e32 v16, s20, v14
	v_add_co_u32 v14, s0, v12, v3
	v_add_co_ci_u32_e64 v15, null, v13, v4, s0
	v_fmac_f32_e32 v16, s4, v10
	flat_store_dword v[14:15], v16
.LBB193_24:
	s_or_b32 exec_lo, exec_lo, s1
	v_add_co_u32 v5, s0, v5, 16
	v_add_co_ci_u32_e64 v6, null, 0, v6, s0
	v_cmp_gt_i64_e64 s0, s[28:29], v[5:6]
	s_and_saveexec_b32 s2, s0
	s_cbranch_execz .LBB193_26
; %bb.25:
	v_add_co_u32 v5, s1, v0, v3
	v_add_co_ci_u32_e64 v6, null, v11, v4, s1
	flat_load_dword v5, v[5:6] offset:64
	s_waitcnt vmcnt(0) lgkmcnt(0)
	v_mul_f32_e32 v10, s20, v5
	v_add_co_u32 v5, s1, v12, v3
	v_add_co_ci_u32_e64 v6, null, v13, v4, s1
	v_fmac_f32_e32 v10, s4, v9
	flat_store_dword v[5:6], v10 offset:64
.LBB193_26:
	s_or_b32 exec_lo, exec_lo, s2
	v_add_co_u32 v1, s1, v1, 16
	v_add_co_ci_u32_e64 v2, null, 0, v2, s1
	v_cmp_gt_i64_e64 s1, s[30:31], v[1:2]
	s_and_b32 exec_lo, exec_lo, s1
	s_cbranch_execz .LBB193_19
; %bb.27:
	s_lshl_b64 s[2:3], s[14:15], 6
	v_add_co_u32 v0, s1, v0, s2
	v_add_co_ci_u32_e64 v1, null, s3, v11, s1
	s_lshl_b64 s[2:3], s[8:9], 6
	v_add_co_u32 v2, s1, v12, s2
	v_add_co_ci_u32_e64 v5, null, s3, v13, s1
	v_add_co_u32 v0, s1, v0, v3
	v_add_co_ci_u32_e64 v1, null, v1, v4, s1
	;; [unrolled: 2-line block ×3, first 2 shown]
	s_and_saveexec_b32 s1, vcc_lo
	s_cbranch_execz .LBB193_29
; %bb.28:
	flat_load_dword v4, v[0:1]
	s_waitcnt vmcnt(0) lgkmcnt(0)
	v_mul_f32_e32 v4, s20, v4
	v_fmac_f32_e32 v4, s4, v8
	flat_store_dword v[2:3], v4
.LBB193_29:
	s_or_b32 exec_lo, exec_lo, s1
	s_and_b32 exec_lo, exec_lo, s0
	s_cbranch_execz .LBB193_19
; %bb.30:
	flat_load_dword v0, v[0:1] offset:64
	s_waitcnt vmcnt(0) lgkmcnt(0)
	v_mul_f32_e32 v0, s20, v0
	v_fmac_f32_e32 v0, s4, v7
	flat_store_dword v[2:3], v0 offset:64
	s_endpgm
	.section	.rodata,"a",@progbits
	.p2align	6, 0x0
	.amdhsa_kernel _ZN12_GLOBAL__N_135rocblas_gemm_batched_general_kernelIfLi16ELi16ELi32ELi32ELi8ELi32ELi8ELi8ELi32ELc84ELc67EKPK16rocblas_bfloat16KPKfKPfEEvlllT_PT11_llSC_llSA_PT12_llPT13_lli
		.amdhsa_group_segment_fixed_size 2048
		.amdhsa_private_segment_fixed_size 0
		.amdhsa_kernarg_size 140
		.amdhsa_user_sgpr_count 6
		.amdhsa_user_sgpr_private_segment_buffer 1
		.amdhsa_user_sgpr_dispatch_ptr 0
		.amdhsa_user_sgpr_queue_ptr 0
		.amdhsa_user_sgpr_kernarg_segment_ptr 1
		.amdhsa_user_sgpr_dispatch_id 0
		.amdhsa_user_sgpr_flat_scratch_init 0
		.amdhsa_user_sgpr_private_segment_size 0
		.amdhsa_wavefront_size32 1
		.amdhsa_uses_dynamic_stack 0
		.amdhsa_system_sgpr_private_segment_wavefront_offset 0
		.amdhsa_system_sgpr_workgroup_id_x 1
		.amdhsa_system_sgpr_workgroup_id_y 1
		.amdhsa_system_sgpr_workgroup_id_z 1
		.amdhsa_system_sgpr_workgroup_info 0
		.amdhsa_system_vgpr_workitem_id 1
		.amdhsa_next_free_vgpr 44
		.amdhsa_next_free_sgpr 44
		.amdhsa_reserve_vcc 1
		.amdhsa_reserve_flat_scratch 0
		.amdhsa_float_round_mode_32 0
		.amdhsa_float_round_mode_16_64 0
		.amdhsa_float_denorm_mode_32 3
		.amdhsa_float_denorm_mode_16_64 3
		.amdhsa_dx10_clamp 1
		.amdhsa_ieee_mode 1
		.amdhsa_fp16_overflow 0
		.amdhsa_workgroup_processor_mode 1
		.amdhsa_memory_ordered 1
		.amdhsa_forward_progress 1
		.amdhsa_shared_vgpr_count 0
		.amdhsa_exception_fp_ieee_invalid_op 0
		.amdhsa_exception_fp_denorm_src 0
		.amdhsa_exception_fp_ieee_div_zero 0
		.amdhsa_exception_fp_ieee_overflow 0
		.amdhsa_exception_fp_ieee_underflow 0
		.amdhsa_exception_fp_ieee_inexact 0
		.amdhsa_exception_int_div_zero 0
	.end_amdhsa_kernel
	.section	.text._ZN12_GLOBAL__N_135rocblas_gemm_batched_general_kernelIfLi16ELi16ELi32ELi32ELi8ELi32ELi8ELi8ELi32ELc84ELc67EKPK16rocblas_bfloat16KPKfKPfEEvlllT_PT11_llSC_llSA_PT12_llPT13_lli,"axG",@progbits,_ZN12_GLOBAL__N_135rocblas_gemm_batched_general_kernelIfLi16ELi16ELi32ELi32ELi8ELi32ELi8ELi8ELi32ELc84ELc67EKPK16rocblas_bfloat16KPKfKPfEEvlllT_PT11_llSC_llSA_PT12_llPT13_lli,comdat
.Lfunc_end193:
	.size	_ZN12_GLOBAL__N_135rocblas_gemm_batched_general_kernelIfLi16ELi16ELi32ELi32ELi8ELi32ELi8ELi8ELi32ELc84ELc67EKPK16rocblas_bfloat16KPKfKPfEEvlllT_PT11_llSC_llSA_PT12_llPT13_lli, .Lfunc_end193-_ZN12_GLOBAL__N_135rocblas_gemm_batched_general_kernelIfLi16ELi16ELi32ELi32ELi8ELi32ELi8ELi8ELi32ELc84ELc67EKPK16rocblas_bfloat16KPKfKPfEEvlllT_PT11_llSC_llSA_PT12_llPT13_lli
                                        ; -- End function
	.set _ZN12_GLOBAL__N_135rocblas_gemm_batched_general_kernelIfLi16ELi16ELi32ELi32ELi8ELi32ELi8ELi8ELi32ELc84ELc67EKPK16rocblas_bfloat16KPKfKPfEEvlllT_PT11_llSC_llSA_PT12_llPT13_lli.num_vgpr, 44
	.set _ZN12_GLOBAL__N_135rocblas_gemm_batched_general_kernelIfLi16ELi16ELi32ELi32ELi8ELi32ELi8ELi8ELi32ELc84ELc67EKPK16rocblas_bfloat16KPKfKPfEEvlllT_PT11_llSC_llSA_PT12_llPT13_lli.num_agpr, 0
	.set _ZN12_GLOBAL__N_135rocblas_gemm_batched_general_kernelIfLi16ELi16ELi32ELi32ELi8ELi32ELi8ELi8ELi32ELc84ELc67EKPK16rocblas_bfloat16KPKfKPfEEvlllT_PT11_llSC_llSA_PT12_llPT13_lli.numbered_sgpr, 44
	.set _ZN12_GLOBAL__N_135rocblas_gemm_batched_general_kernelIfLi16ELi16ELi32ELi32ELi8ELi32ELi8ELi8ELi32ELc84ELc67EKPK16rocblas_bfloat16KPKfKPfEEvlllT_PT11_llSC_llSA_PT12_llPT13_lli.num_named_barrier, 0
	.set _ZN12_GLOBAL__N_135rocblas_gemm_batched_general_kernelIfLi16ELi16ELi32ELi32ELi8ELi32ELi8ELi8ELi32ELc84ELc67EKPK16rocblas_bfloat16KPKfKPfEEvlllT_PT11_llSC_llSA_PT12_llPT13_lli.private_seg_size, 0
	.set _ZN12_GLOBAL__N_135rocblas_gemm_batched_general_kernelIfLi16ELi16ELi32ELi32ELi8ELi32ELi8ELi8ELi32ELc84ELc67EKPK16rocblas_bfloat16KPKfKPfEEvlllT_PT11_llSC_llSA_PT12_llPT13_lli.uses_vcc, 1
	.set _ZN12_GLOBAL__N_135rocblas_gemm_batched_general_kernelIfLi16ELi16ELi32ELi32ELi8ELi32ELi8ELi8ELi32ELc84ELc67EKPK16rocblas_bfloat16KPKfKPfEEvlllT_PT11_llSC_llSA_PT12_llPT13_lli.uses_flat_scratch, 0
	.set _ZN12_GLOBAL__N_135rocblas_gemm_batched_general_kernelIfLi16ELi16ELi32ELi32ELi8ELi32ELi8ELi8ELi32ELc84ELc67EKPK16rocblas_bfloat16KPKfKPfEEvlllT_PT11_llSC_llSA_PT12_llPT13_lli.has_dyn_sized_stack, 0
	.set _ZN12_GLOBAL__N_135rocblas_gemm_batched_general_kernelIfLi16ELi16ELi32ELi32ELi8ELi32ELi8ELi8ELi32ELc84ELc67EKPK16rocblas_bfloat16KPKfKPfEEvlllT_PT11_llSC_llSA_PT12_llPT13_lli.has_recursion, 0
	.set _ZN12_GLOBAL__N_135rocblas_gemm_batched_general_kernelIfLi16ELi16ELi32ELi32ELi8ELi32ELi8ELi8ELi32ELc84ELc67EKPK16rocblas_bfloat16KPKfKPfEEvlllT_PT11_llSC_llSA_PT12_llPT13_lli.has_indirect_call, 0
	.section	.AMDGPU.csdata,"",@progbits
; Kernel info:
; codeLenInByte = 1916
; TotalNumSgprs: 46
; NumVgprs: 44
; ScratchSize: 0
; MemoryBound: 0
; FloatMode: 240
; IeeeMode: 1
; LDSByteSize: 2048 bytes/workgroup (compile time only)
; SGPRBlocks: 0
; VGPRBlocks: 5
; NumSGPRsForWavesPerEU: 46
; NumVGPRsForWavesPerEU: 44
; Occupancy: 16
; WaveLimiterHint : 1
; COMPUTE_PGM_RSRC2:SCRATCH_EN: 0
; COMPUTE_PGM_RSRC2:USER_SGPR: 6
; COMPUTE_PGM_RSRC2:TRAP_HANDLER: 0
; COMPUTE_PGM_RSRC2:TGID_X_EN: 1
; COMPUTE_PGM_RSRC2:TGID_Y_EN: 1
; COMPUTE_PGM_RSRC2:TGID_Z_EN: 1
; COMPUTE_PGM_RSRC2:TIDIG_COMP_CNT: 1
	.section	.text._ZN12_GLOBAL__N_120gemm_ex_scale_kernelILi32ELi32EiPKPKiPKPiEEviiT1_T2_lllT3_llli,"axG",@progbits,_ZN12_GLOBAL__N_120gemm_ex_scale_kernelILi32ELi32EiPKPKiPKPiEEviiT1_T2_lllT3_llli,comdat
	.globl	_ZN12_GLOBAL__N_120gemm_ex_scale_kernelILi32ELi32EiPKPKiPKPiEEviiT1_T2_lllT3_llli ; -- Begin function _ZN12_GLOBAL__N_120gemm_ex_scale_kernelILi32ELi32EiPKPKiPKPiEEviiT1_T2_lllT3_llli
	.p2align	8
	.type	_ZN12_GLOBAL__N_120gemm_ex_scale_kernelILi32ELi32EiPKPKiPKPiEEviiT1_T2_lllT3_llli,@function
_ZN12_GLOBAL__N_120gemm_ex_scale_kernelILi32ELi32EiPKPKiPKPiEEviiT1_T2_lllT3_llli: ; @_ZN12_GLOBAL__N_120gemm_ex_scale_kernelILi32ELi32EiPKPKiPKPiEEviiT1_T2_lllT3_llli
; %bb.0:
	s_clause 0x1
	s_load_dwordx8 s[12:19], s[4:5], 0x0
	s_load_dwordx2 s[10:11], s[4:5], 0x20
	s_mov_b32 s9, 0
	s_waitcnt lgkmcnt(0)
	s_cmp_lg_u32 s14, 0
	s_cselect_b32 s15, -1, 0
	s_cmp_eq_u32 s14, 0
	s_cbranch_scc1 .LBB194_2
; %bb.1:
	s_lshl_b64 s[0:1], s[8:9], 3
	s_add_u32 s0, s16, s0
	s_addc_u32 s1, s17, s1
	s_lshl_b64 s[2:3], s[18:19], 2
	s_load_dwordx2 s[0:1], s[0:1], 0x0
	s_waitcnt lgkmcnt(0)
	s_add_u32 s16, s0, s2
	s_addc_u32 s17, s1, s3
	s_branch .LBB194_3
.LBB194_2:
	s_mov_b64 s[16:17], 0
.LBB194_3:
	v_lshl_add_u32 v0, s6, 5, v0
	v_lshl_add_u32 v2, s7, 5, v1
	v_cmp_gt_u32_e32 vcc_lo, s12, v0
	v_cmp_gt_u32_e64 s0, s13, v2
	s_and_b32 s0, vcc_lo, s0
	s_and_saveexec_b32 s1, s0
	s_cbranch_execz .LBB194_8
; %bb.4:
	s_load_dwordx4 s[0:3], s[4:5], 0x30
	s_lshl_b64 s[6:7], s[8:9], 3
	s_load_dwordx2 s[4:5], s[4:5], 0x40
	v_mov_b32_e32 v1, 0
	s_waitcnt lgkmcnt(0)
	s_add_u32 s0, s0, s6
	s_addc_u32 s1, s1, s7
	s_and_b32 vcc_lo, exec_lo, s15
	s_load_dwordx2 s[0:1], s[0:1], 0x0
	s_cbranch_vccz .LBB194_9
; %bb.5:
	v_mad_u64_u32 v[3:4], null, s10, v2, 0
	v_mad_u64_u32 v[4:5], null, s11, v2, v[4:5]
	v_lshlrev_b64 v[5:6], 2, v[0:1]
	v_lshlrev_b64 v[3:4], 2, v[3:4]
	v_add_co_u32 v3, vcc_lo, s16, v3
	v_add_co_ci_u32_e64 v4, null, s17, v4, vcc_lo
	v_add_co_u32 v3, vcc_lo, v3, v5
	v_add_co_ci_u32_e64 v4, null, v4, v6, vcc_lo
	flat_load_dword v3, v[3:4]
	s_waitcnt vmcnt(0) lgkmcnt(0)
	v_mul_lo_u32 v3, v3, s14
	s_cbranch_execnz .LBB194_7
.LBB194_6:
	v_mov_b32_e32 v3, 0
.LBB194_7:
	v_mad_u64_u32 v[4:5], null, s4, v2, 0
	s_lshl_b64 s[2:3], s[2:3], 2
	v_lshlrev_b64 v[0:1], 2, v[0:1]
	s_waitcnt lgkmcnt(0)
	s_add_u32 s0, s0, s2
	s_addc_u32 s1, s1, s3
	v_mad_u64_u32 v[5:6], null, s5, v2, v[5:6]
	v_lshlrev_b64 v[4:5], 2, v[4:5]
	v_add_co_u32 v2, vcc_lo, s0, v4
	v_add_co_ci_u32_e64 v4, null, s1, v5, vcc_lo
	v_add_co_u32 v0, vcc_lo, v2, v0
	v_add_co_ci_u32_e64 v1, null, v4, v1, vcc_lo
	flat_store_dword v[0:1], v3
.LBB194_8:
	s_endpgm
.LBB194_9:
                                        ; implicit-def: $vgpr3
	s_branch .LBB194_6
	.section	.rodata,"a",@progbits
	.p2align	6, 0x0
	.amdhsa_kernel _ZN12_GLOBAL__N_120gemm_ex_scale_kernelILi32ELi32EiPKPKiPKPiEEviiT1_T2_lllT3_llli
		.amdhsa_group_segment_fixed_size 0
		.amdhsa_private_segment_fixed_size 0
		.amdhsa_kernarg_size 84
		.amdhsa_user_sgpr_count 6
		.amdhsa_user_sgpr_private_segment_buffer 1
		.amdhsa_user_sgpr_dispatch_ptr 0
		.amdhsa_user_sgpr_queue_ptr 0
		.amdhsa_user_sgpr_kernarg_segment_ptr 1
		.amdhsa_user_sgpr_dispatch_id 0
		.amdhsa_user_sgpr_flat_scratch_init 0
		.amdhsa_user_sgpr_private_segment_size 0
		.amdhsa_wavefront_size32 1
		.amdhsa_uses_dynamic_stack 0
		.amdhsa_system_sgpr_private_segment_wavefront_offset 0
		.amdhsa_system_sgpr_workgroup_id_x 1
		.amdhsa_system_sgpr_workgroup_id_y 1
		.amdhsa_system_sgpr_workgroup_id_z 1
		.amdhsa_system_sgpr_workgroup_info 0
		.amdhsa_system_vgpr_workitem_id 1
		.amdhsa_next_free_vgpr 7
		.amdhsa_next_free_sgpr 20
		.amdhsa_reserve_vcc 1
		.amdhsa_reserve_flat_scratch 0
		.amdhsa_float_round_mode_32 0
		.amdhsa_float_round_mode_16_64 0
		.amdhsa_float_denorm_mode_32 3
		.amdhsa_float_denorm_mode_16_64 3
		.amdhsa_dx10_clamp 1
		.amdhsa_ieee_mode 1
		.amdhsa_fp16_overflow 0
		.amdhsa_workgroup_processor_mode 1
		.amdhsa_memory_ordered 1
		.amdhsa_forward_progress 1
		.amdhsa_shared_vgpr_count 0
		.amdhsa_exception_fp_ieee_invalid_op 0
		.amdhsa_exception_fp_denorm_src 0
		.amdhsa_exception_fp_ieee_div_zero 0
		.amdhsa_exception_fp_ieee_overflow 0
		.amdhsa_exception_fp_ieee_underflow 0
		.amdhsa_exception_fp_ieee_inexact 0
		.amdhsa_exception_int_div_zero 0
	.end_amdhsa_kernel
	.section	.text._ZN12_GLOBAL__N_120gemm_ex_scale_kernelILi32ELi32EiPKPKiPKPiEEviiT1_T2_lllT3_llli,"axG",@progbits,_ZN12_GLOBAL__N_120gemm_ex_scale_kernelILi32ELi32EiPKPKiPKPiEEviiT1_T2_lllT3_llli,comdat
.Lfunc_end194:
	.size	_ZN12_GLOBAL__N_120gemm_ex_scale_kernelILi32ELi32EiPKPKiPKPiEEviiT1_T2_lllT3_llli, .Lfunc_end194-_ZN12_GLOBAL__N_120gemm_ex_scale_kernelILi32ELi32EiPKPKiPKPiEEviiT1_T2_lllT3_llli
                                        ; -- End function
	.set _ZN12_GLOBAL__N_120gemm_ex_scale_kernelILi32ELi32EiPKPKiPKPiEEviiT1_T2_lllT3_llli.num_vgpr, 7
	.set _ZN12_GLOBAL__N_120gemm_ex_scale_kernelILi32ELi32EiPKPKiPKPiEEviiT1_T2_lllT3_llli.num_agpr, 0
	.set _ZN12_GLOBAL__N_120gemm_ex_scale_kernelILi32ELi32EiPKPKiPKPiEEviiT1_T2_lllT3_llli.numbered_sgpr, 20
	.set _ZN12_GLOBAL__N_120gemm_ex_scale_kernelILi32ELi32EiPKPKiPKPiEEviiT1_T2_lllT3_llli.num_named_barrier, 0
	.set _ZN12_GLOBAL__N_120gemm_ex_scale_kernelILi32ELi32EiPKPKiPKPiEEviiT1_T2_lllT3_llli.private_seg_size, 0
	.set _ZN12_GLOBAL__N_120gemm_ex_scale_kernelILi32ELi32EiPKPKiPKPiEEviiT1_T2_lllT3_llli.uses_vcc, 1
	.set _ZN12_GLOBAL__N_120gemm_ex_scale_kernelILi32ELi32EiPKPKiPKPiEEviiT1_T2_lllT3_llli.uses_flat_scratch, 0
	.set _ZN12_GLOBAL__N_120gemm_ex_scale_kernelILi32ELi32EiPKPKiPKPiEEviiT1_T2_lllT3_llli.has_dyn_sized_stack, 0
	.set _ZN12_GLOBAL__N_120gemm_ex_scale_kernelILi32ELi32EiPKPKiPKPiEEviiT1_T2_lllT3_llli.has_recursion, 0
	.set _ZN12_GLOBAL__N_120gemm_ex_scale_kernelILi32ELi32EiPKPKiPKPiEEviiT1_T2_lllT3_llli.has_indirect_call, 0
	.section	.AMDGPU.csdata,"",@progbits
; Kernel info:
; codeLenInByte = 368
; TotalNumSgprs: 22
; NumVgprs: 7
; ScratchSize: 0
; MemoryBound: 0
; FloatMode: 240
; IeeeMode: 1
; LDSByteSize: 0 bytes/workgroup (compile time only)
; SGPRBlocks: 0
; VGPRBlocks: 0
; NumSGPRsForWavesPerEU: 22
; NumVGPRsForWavesPerEU: 7
; Occupancy: 16
; WaveLimiterHint : 1
; COMPUTE_PGM_RSRC2:SCRATCH_EN: 0
; COMPUTE_PGM_RSRC2:USER_SGPR: 6
; COMPUTE_PGM_RSRC2:TRAP_HANDLER: 0
; COMPUTE_PGM_RSRC2:TGID_X_EN: 1
; COMPUTE_PGM_RSRC2:TGID_Y_EN: 1
; COMPUTE_PGM_RSRC2:TGID_Z_EN: 1
; COMPUTE_PGM_RSRC2:TIDIG_COMP_CNT: 1
	.section	.text._ZN12_GLOBAL__N_127rocblas_gemm_batched_kernelIiLi16ELi16ELi64ELi64ELi4ELi64ELi4ELi4ELi64ELc78ELc78EKPKaKPKiKPiEEvlllT_PT11_llSB_llS9_PT12_llPT13_lli,"axG",@progbits,_ZN12_GLOBAL__N_127rocblas_gemm_batched_kernelIiLi16ELi16ELi64ELi64ELi4ELi64ELi4ELi4ELi64ELc78ELc78EKPKaKPKiKPiEEvlllT_PT11_llSB_llS9_PT12_llPT13_lli,comdat
	.globl	_ZN12_GLOBAL__N_127rocblas_gemm_batched_kernelIiLi16ELi16ELi64ELi64ELi4ELi64ELi4ELi4ELi64ELc78ELc78EKPKaKPKiKPiEEvlllT_PT11_llSB_llS9_PT12_llPT13_lli ; -- Begin function _ZN12_GLOBAL__N_127rocblas_gemm_batched_kernelIiLi16ELi16ELi64ELi64ELi4ELi64ELi4ELi4ELi64ELc78ELc78EKPKaKPKiKPiEEvlllT_PT11_llSB_llS9_PT12_llPT13_lli
	.p2align	8
	.type	_ZN12_GLOBAL__N_127rocblas_gemm_batched_kernelIiLi16ELi16ELi64ELi64ELi4ELi64ELi4ELi4ELi64ELc78ELc78EKPKaKPKiKPiEEvlllT_PT11_llSB_llS9_PT12_llPT13_lli,@function
_ZN12_GLOBAL__N_127rocblas_gemm_batched_kernelIiLi16ELi16ELi64ELi64ELi4ELi64ELi4ELi4ELi64ELc78ELc78EKPKaKPKiKPiEEvlllT_PT11_llSB_llS9_PT12_llPT13_lli: ; @_ZN12_GLOBAL__N_127rocblas_gemm_batched_kernelIiLi16ELi16ELi64ELi64ELi4ELi64ELi4ELi4ELi64ELc78ELc78EKPKaKPKiKPiEEvlllT_PT11_llSB_llS9_PT12_llPT13_lli
; %bb.0:
	s_clause 0x1
	s_load_dwordx8 s[12:19], s[4:5], 0x58
	s_load_dwordx2 s[28:29], s[4:5], 0x10
	s_mov_b32 s9, 0
	s_load_dwordx4 s[0:3], s[4:5], 0x78
	s_lshl_b64 s[34:35], s[8:9], 3
	s_mov_b32 s10, s7
	v_mov_b32_e32 v4, 0
	v_mov_b32_e32 v16, 0
	;; [unrolled: 1-line block ×14, first 2 shown]
	s_waitcnt lgkmcnt(0)
	s_add_u32 s8, s12, s34
	s_addc_u32 s9, s13, s35
	s_add_u32 s18, s18, s34
	s_addc_u32 s19, s19, s35
	s_load_dwordx2 s[12:13], s[8:9], 0x0
	s_load_dwordx2 s[18:19], s[18:19], 0x0
	v_cmp_lt_i64_e64 s20, s[28:29], 1
	v_mov_b32_e32 v9, 0
	v_mov_b32_e32 v8, 0
	s_ashr_i32 s7, s6, 31
	s_ashr_i32 s11, s10, 31
	s_lshl_b64 s[6:7], s[6:7], 6
	s_and_b32 vcc_lo, exec_lo, s20
	s_lshl_b64 s[30:31], s[10:11], 6
	s_cbranch_vccnz .LBB195_3
; %bb.1:
	s_clause 0x1
	s_load_dwordx8 s[20:27], s[4:5], 0x20
	s_load_dwordx4 s[8:11], s[4:5], 0x40
	v_lshlrev_b32_e32 v6, 4, v1
	v_and_b32_e32 v9, 3, v0
	v_mov_b32_e32 v8, 0
	v_lshlrev_b32_e32 v7, 2, v0
	v_mov_b32_e32 v18, 0
	v_add_nc_u32_e32 v2, v6, v0
	v_add_nc_u32_e32 v17, 0x400, v6
	v_lshlrev_b32_e32 v11, 2, v9
	v_mov_b32_e32 v19, 0
	v_mov_b32_e32 v20, 0
	v_lshrrev_b32_e32 v10, 2, v2
	v_lshrrev_b32_e32 v13, 6, v2
	v_and_b32_e32 v12, 63, v2
	v_mov_b32_e32 v21, 0
	v_add_co_u32 v14, s33, v10, s30
	v_add_co_ci_u32_e64 v15, null, 0, s31, s33
	s_waitcnt lgkmcnt(0)
	s_add_u32 s20, s20, s34
	s_addc_u32 s21, s21, s35
	s_add_u32 s26, s26, s34
	s_addc_u32 s27, s27, s35
	v_mad_u64_u32 v[2:3], null, s8, v14, s[10:11]
	s_lshl_b64 s[10:11], s[22:23], 2
	s_add_u32 s24, s6, s24
	v_mul_lo_u32 v15, s8, v15
	v_mul_lo_u32 v14, s9, v14
	s_load_dwordx2 s[8:9], s[26:27], 0x0
	s_addc_u32 s25, s7, s25
	s_load_dwordx2 s[20:21], s[20:21], 0x0
	v_mad_u64_u32 v[4:5], null, s22, v13, s[24:25]
	v_add_co_u32 v2, vcc_lo, v2, v9
	v_add3_u32 v3, v14, v3, v15
	v_lshlrev_b32_e32 v16, 2, v12
	v_lshl_or_b32 v10, v10, 4, v11
	v_mov_b32_e32 v9, 0
	v_mad_u64_u32 v[5:6], null, s23, v13, v[5:6]
	v_add_co_ci_u32_e64 v3, null, 0, v3, vcc_lo
	v_add_co_u32 v4, vcc_lo, v4, v12
	v_lshl_or_b32 v22, v13, 8, v16
	v_add_nc_u32_e32 v23, 0x400, v10
	v_add_co_ci_u32_e64 v5, null, 0, v5, vcc_lo
	s_waitcnt lgkmcnt(0)
	v_add_co_u32 v24, vcc_lo, s8, v2
	v_add_co_ci_u32_e64 v25, null, s9, v3, vcc_lo
	v_add_co_u32 v2, vcc_lo, s20, v4
	v_add_co_ci_u32_e64 v3, null, s21, v5, vcc_lo
	v_mov_b32_e32 v5, 0
	v_mov_b32_e32 v6, 0
	;; [unrolled: 1-line block ×10, first 2 shown]
	s_mov_b64 s[8:9], 0
.LBB195_2:                              ; =>This Inner Loop Header: Depth=1
	flat_load_sbyte v28, v[2:3]
	v_add_co_u32 v26, vcc_lo, v24, s8
	v_add_co_ci_u32_e64 v27, null, s9, v25, vcc_lo
	s_add_u32 s8, s8, 4
	s_addc_u32 s9, s9, 0
	v_add_co_u32 v2, vcc_lo, v2, s10
	v_cmp_lt_i64_e64 s20, s[8:9], s[28:29]
	v_add_co_ci_u32_e64 v3, null, s11, v3, vcc_lo
	s_and_b32 vcc_lo, exec_lo, s20
	s_waitcnt vmcnt(0) lgkmcnt(0)
	ds_write_b32 v22, v28
	flat_load_sbyte v26, v[26:27]
	s_waitcnt vmcnt(0) lgkmcnt(0)
	ds_write_b32 v23, v26
	s_waitcnt lgkmcnt(0)
	s_barrier
	buffer_gl0_inv
	ds_read_b128 v[26:29], v17
	ds_read2_b32 v[42:43], v7 offset1:16
	ds_read2_b32 v[44:45], v7 offset0:32 offset1:48
	ds_read2_b32 v[46:47], v7 offset0:64 offset1:80
	ds_read2_b32 v[48:49], v7 offset0:96 offset1:112
	ds_read2_b32 v[50:51], v7 offset0:128 offset1:144
	ds_read2_b32 v[52:53], v7 offset0:160 offset1:176
	ds_read2_b32 v[54:55], v7 offset0:192 offset1:208
	ds_read2_b32 v[56:57], v7 offset0:224 offset1:240
	ds_read_b128 v[30:33], v17 offset:256
	ds_read_b128 v[34:37], v17 offset:512
	;; [unrolled: 1-line block ×3, first 2 shown]
	s_waitcnt lgkmcnt(0)
	s_barrier
	buffer_gl0_inv
	v_mul_lo_u32 v58, v26, v42
	v_mul_lo_u32 v59, v26, v43
	;; [unrolled: 1-line block ×64, first 2 shown]
	v_add3_u32 v4, v4, v58, v61
	v_add3_u32 v16, v16, v59, v62
	;; [unrolled: 1-line block ×32, first 2 shown]
	s_cbranch_vccnz .LBB195_2
.LBB195_3:
	s_clause 0x1
	s_load_dword s8, s[4:5], 0x18
	s_load_dword s4, s[4:5], 0x50
	v_add_co_u32 v22, s5, s30, v1
	v_add_co_ci_u32_e64 v23, null, s31, 0, s5
	v_add_co_u32 v24, s5, s6, v0
	v_add_co_ci_u32_e64 v25, null, s7, 0, s5
	s_lshl_b64 s[2:3], s[2:3], 2
	s_mov_b32 s5, 0
	s_waitcnt lgkmcnt(0)
	s_add_u32 s2, s18, s2
	s_addc_u32 s3, s19, s3
	v_mul_lo_u32 v17, v4, s8
	v_mul_lo_u32 v16, v16, s8
	;; [unrolled: 1-line block ×18, first 2 shown]
	v_lshlrev_b64 v[8:9], 2, v[24:25]
	s_cmp_eq_u32 s4, 0
	s_cbranch_scc1 .LBB195_7
; %bb.4:
	v_mul_lo_u32 v23, v23, s14
	v_mul_lo_u32 v24, v22, s15
	v_mad_u64_u32 v[20:21], null, v22, s14, 0
	s_lshl_b64 s[6:7], s[16:17], 2
	s_add_u32 s6, s12, s6
	s_addc_u32 s7, s13, s7
	s_lshl_b64 s[8:9], s[0:1], 6
	v_add3_u32 v21, v21, v24, v23
	v_mad_u64_u32 v[23:24], null, v22, s0, 0
	v_lshlrev_b64 v[20:21], 2, v[20:21]
	v_add3_u32 v24, v24, v19, v18
	v_add_co_u32 v28, vcc_lo, s6, v20
	v_add_co_ci_u32_e64 v29, null, s7, v21, vcc_lo
	v_lshlrev_b64 v[23:24], 2, v[23:24]
	v_add_co_u32 v20, vcc_lo, v28, v8
	v_add_co_ci_u32_e64 v21, null, v29, v9, vcc_lo
	s_lshl_b64 s[6:7], s[14:15], 6
	v_add_co_u32 v30, vcc_lo, s2, v23
	flat_load_dword v25, v[20:21]
	v_add_co_ci_u32_e64 v31, null, s3, v24, vcc_lo
	s_waitcnt vmcnt(0) lgkmcnt(0)
	v_mad_u64_u32 v[23:24], null, v25, s4, v[17:18]
	v_add_co_u32 v24, vcc_lo, v30, v8
	v_add_co_ci_u32_e64 v25, null, v31, v9, vcc_lo
	v_add_co_u32 v28, vcc_lo, v28, s6
	v_add_co_ci_u32_e64 v29, null, s7, v29, vcc_lo
	flat_store_dword v[24:25], v23
	flat_load_dword v23, v[20:21] offset:64
	s_waitcnt vmcnt(0) lgkmcnt(0)
	v_mad_u64_u32 v[26:27], null, v23, s4, v[16:17]
	flat_store_dword v[24:25], v26 offset:64
	flat_load_dword v23, v[20:21] offset:128
	s_waitcnt vmcnt(0) lgkmcnt(0)
	v_mad_u64_u32 v[26:27], null, v23, s4, v[15:16]
	flat_store_dword v[24:25], v26 offset:128
	flat_load_dword v20, v[20:21] offset:192
	v_add_co_u32 v26, vcc_lo, v28, v8
	v_add_co_ci_u32_e64 v27, null, v29, v9, vcc_lo
	v_add_co_u32 v30, vcc_lo, v30, s8
	v_add_co_ci_u32_e64 v31, null, s9, v31, vcc_lo
	v_add_co_u32 v23, vcc_lo, v30, v8
	s_waitcnt vmcnt(0) lgkmcnt(0)
	v_mad_u64_u32 v[20:21], null, v20, s4, v[14:15]
	flat_store_dword v[24:25], v20 offset:192
	flat_load_dword v20, v[26:27]
	v_add_co_ci_u32_e64 v24, null, v31, v9, vcc_lo
	s_waitcnt vmcnt(0) lgkmcnt(0)
	v_mad_u64_u32 v[20:21], null, v20, s4, v[13:14]
	flat_store_dword v[23:24], v20
	flat_load_dword v20, v[26:27] offset:64
	s_waitcnt vmcnt(0) lgkmcnt(0)
	v_mad_u64_u32 v[20:21], null, v20, s4, v[12:13]
	flat_store_dword v[23:24], v20 offset:64
	flat_load_dword v20, v[26:27] offset:128
	s_waitcnt vmcnt(0) lgkmcnt(0)
	v_mad_u64_u32 v[20:21], null, v20, s4, v[11:12]
	flat_store_dword v[23:24], v20 offset:128
	flat_load_dword v20, v[26:27] offset:192
	v_add_co_u32 v27, vcc_lo, v28, s6
	v_add_co_ci_u32_e64 v28, null, s7, v29, vcc_lo
	v_add_co_u32 v25, vcc_lo, v27, v8
	v_add_co_ci_u32_e64 v26, null, v28, v9, vcc_lo
	;; [unrolled: 2-line block ×3, first 2 shown]
	s_waitcnt vmcnt(0) lgkmcnt(0)
	v_mad_u64_u32 v[20:21], null, v20, s4, v[10:11]
	flat_store_dword v[23:24], v20 offset:192
	flat_load_dword v20, v[25:26]
	v_add_co_u32 v23, vcc_lo, v29, v8
	v_add_co_ci_u32_e64 v24, null, v30, v9, vcc_lo
	s_waitcnt vmcnt(0) lgkmcnt(0)
	v_mad_u64_u32 v[20:21], null, v20, s4, v[7:8]
	flat_store_dword v[23:24], v20
	flat_load_dword v20, v[25:26] offset:64
	s_waitcnt vmcnt(0) lgkmcnt(0)
	v_mad_u64_u32 v[20:21], null, v20, s4, v[6:7]
	flat_store_dword v[23:24], v20 offset:64
	flat_load_dword v20, v[25:26] offset:128
	s_waitcnt vmcnt(0) lgkmcnt(0)
	v_mad_u64_u32 v[20:21], null, v20, s4, v[5:6]
	flat_store_dword v[23:24], v20 offset:128
	flat_load_dword v20, v[25:26] offset:192
	v_add_co_u32 v25, vcc_lo, v27, s6
	v_add_co_ci_u32_e64 v26, null, s7, v28, vcc_lo
	v_add_co_u32 v25, vcc_lo, v25, v8
	v_add_co_ci_u32_e64 v26, null, v26, v9, vcc_lo
	s_waitcnt vmcnt(0) lgkmcnt(0)
	v_mad_u64_u32 v[20:21], null, v20, s4, v[4:5]
	flat_store_dword v[23:24], v20 offset:192
	flat_load_dword v20, v[25:26]
	v_add_co_u32 v23, vcc_lo, v29, s8
	v_add_co_ci_u32_e64 v24, null, s9, v30, vcc_lo
	v_add_co_u32 v23, vcc_lo, v23, v8
	v_add_co_ci_u32_e64 v24, null, v24, v9, vcc_lo
	s_waitcnt vmcnt(0) lgkmcnt(0)
	v_mad_u64_u32 v[20:21], null, v20, s4, v[3:4]
	flat_store_dword v[23:24], v20
	flat_load_dword v20, v[25:26] offset:64
	s_waitcnt vmcnt(0) lgkmcnt(0)
	v_mad_u64_u32 v[20:21], null, v20, s4, v[2:3]
	flat_store_dword v[23:24], v20 offset:64
	flat_load_dword v20, v[25:26] offset:128
	s_waitcnt vmcnt(0) lgkmcnt(0)
	v_mad_u64_u32 v[20:21], null, v20, s4, v[1:2]
	flat_store_dword v[23:24], v20 offset:128
	;; [unrolled: 4-line block ×3, first 2 shown]
	s_andn2_b32 vcc_lo, exec_lo, s5
	s_cbranch_vccnz .LBB195_6
.LBB195_5:
	v_mad_u64_u32 v[20:21], null, v22, s0, 0
	s_lshl_b64 s[0:1], s[0:1], 6
	v_add3_u32 v21, v21, v19, v18
	v_lshlrev_b64 v[18:19], 2, v[20:21]
	v_add_co_u32 v20, vcc_lo, s2, v18
	v_add_co_ci_u32_e64 v21, null, s3, v19, vcc_lo
	v_add_co_u32 v18, vcc_lo, v20, v8
	v_add_co_ci_u32_e64 v19, null, v21, v9, vcc_lo
	;; [unrolled: 2-line block ×3, first 2 shown]
	flat_store_dword v[18:19], v17
	flat_store_dword v[18:19], v16 offset:64
	flat_store_dword v[18:19], v15 offset:128
	;; [unrolled: 1-line block ×3, first 2 shown]
	v_add_co_u32 v14, vcc_lo, v20, v8
	v_add_co_ci_u32_e64 v15, null, v21, v9, vcc_lo
	v_add_co_u32 v16, vcc_lo, v20, s0
	v_add_co_ci_u32_e64 v17, null, s1, v21, vcc_lo
	flat_store_dword v[14:15], v13
	flat_store_dword v[14:15], v12 offset:64
	flat_store_dword v[14:15], v11 offset:128
	;; [unrolled: 1-line block ×3, first 2 shown]
	v_add_co_u32 v12, vcc_lo, v16, s0
	v_add_co_ci_u32_e64 v13, null, s1, v17, vcc_lo
	v_add_co_u32 v10, vcc_lo, v16, v8
	v_add_co_ci_u32_e64 v11, null, v17, v9, vcc_lo
	v_add_co_u32 v8, vcc_lo, v12, v8
	v_add_co_ci_u32_e64 v9, null, v13, v9, vcc_lo
	flat_store_dword v[10:11], v7
	flat_store_dword v[10:11], v6 offset:64
	flat_store_dword v[10:11], v5 offset:128
	;; [unrolled: 1-line block ×3, first 2 shown]
	flat_store_dword v[8:9], v3
	flat_store_dword v[8:9], v2 offset:64
	flat_store_dword v[8:9], v1 offset:128
	;; [unrolled: 1-line block ×3, first 2 shown]
.LBB195_6:
	s_endpgm
.LBB195_7:
	s_branch .LBB195_5
	.section	.rodata,"a",@progbits
	.p2align	6, 0x0
	.amdhsa_kernel _ZN12_GLOBAL__N_127rocblas_gemm_batched_kernelIiLi16ELi16ELi64ELi64ELi4ELi64ELi4ELi4ELi64ELc78ELc78EKPKaKPKiKPiEEvlllT_PT11_llSB_llS9_PT12_llPT13_lli
		.amdhsa_group_segment_fixed_size 2048
		.amdhsa_private_segment_fixed_size 0
		.amdhsa_kernarg_size 140
		.amdhsa_user_sgpr_count 6
		.amdhsa_user_sgpr_private_segment_buffer 1
		.amdhsa_user_sgpr_dispatch_ptr 0
		.amdhsa_user_sgpr_queue_ptr 0
		.amdhsa_user_sgpr_kernarg_segment_ptr 1
		.amdhsa_user_sgpr_dispatch_id 0
		.amdhsa_user_sgpr_flat_scratch_init 0
		.amdhsa_user_sgpr_private_segment_size 0
		.amdhsa_wavefront_size32 1
		.amdhsa_uses_dynamic_stack 0
		.amdhsa_system_sgpr_private_segment_wavefront_offset 0
		.amdhsa_system_sgpr_workgroup_id_x 1
		.amdhsa_system_sgpr_workgroup_id_y 1
		.amdhsa_system_sgpr_workgroup_id_z 1
		.amdhsa_system_sgpr_workgroup_info 0
		.amdhsa_system_vgpr_workitem_id 1
		.amdhsa_next_free_vgpr 94
		.amdhsa_next_free_sgpr 36
		.amdhsa_reserve_vcc 1
		.amdhsa_reserve_flat_scratch 0
		.amdhsa_float_round_mode_32 0
		.amdhsa_float_round_mode_16_64 0
		.amdhsa_float_denorm_mode_32 3
		.amdhsa_float_denorm_mode_16_64 3
		.amdhsa_dx10_clamp 1
		.amdhsa_ieee_mode 1
		.amdhsa_fp16_overflow 0
		.amdhsa_workgroup_processor_mode 1
		.amdhsa_memory_ordered 1
		.amdhsa_forward_progress 1
		.amdhsa_shared_vgpr_count 0
		.amdhsa_exception_fp_ieee_invalid_op 0
		.amdhsa_exception_fp_denorm_src 0
		.amdhsa_exception_fp_ieee_div_zero 0
		.amdhsa_exception_fp_ieee_overflow 0
		.amdhsa_exception_fp_ieee_underflow 0
		.amdhsa_exception_fp_ieee_inexact 0
		.amdhsa_exception_int_div_zero 0
	.end_amdhsa_kernel
	.section	.text._ZN12_GLOBAL__N_127rocblas_gemm_batched_kernelIiLi16ELi16ELi64ELi64ELi4ELi64ELi4ELi4ELi64ELc78ELc78EKPKaKPKiKPiEEvlllT_PT11_llSB_llS9_PT12_llPT13_lli,"axG",@progbits,_ZN12_GLOBAL__N_127rocblas_gemm_batched_kernelIiLi16ELi16ELi64ELi64ELi4ELi64ELi4ELi4ELi64ELc78ELc78EKPKaKPKiKPiEEvlllT_PT11_llSB_llS9_PT12_llPT13_lli,comdat
.Lfunc_end195:
	.size	_ZN12_GLOBAL__N_127rocblas_gemm_batched_kernelIiLi16ELi16ELi64ELi64ELi4ELi64ELi4ELi4ELi64ELc78ELc78EKPKaKPKiKPiEEvlllT_PT11_llSB_llS9_PT12_llPT13_lli, .Lfunc_end195-_ZN12_GLOBAL__N_127rocblas_gemm_batched_kernelIiLi16ELi16ELi64ELi64ELi4ELi64ELi4ELi4ELi64ELc78ELc78EKPKaKPKiKPiEEvlllT_PT11_llSB_llS9_PT12_llPT13_lli
                                        ; -- End function
	.set _ZN12_GLOBAL__N_127rocblas_gemm_batched_kernelIiLi16ELi16ELi64ELi64ELi4ELi64ELi4ELi4ELi64ELc78ELc78EKPKaKPKiKPiEEvlllT_PT11_llSB_llS9_PT12_llPT13_lli.num_vgpr, 94
	.set _ZN12_GLOBAL__N_127rocblas_gemm_batched_kernelIiLi16ELi16ELi64ELi64ELi4ELi64ELi4ELi4ELi64ELc78ELc78EKPKaKPKiKPiEEvlllT_PT11_llSB_llS9_PT12_llPT13_lli.num_agpr, 0
	.set _ZN12_GLOBAL__N_127rocblas_gemm_batched_kernelIiLi16ELi16ELi64ELi64ELi4ELi64ELi4ELi4ELi64ELc78ELc78EKPKaKPKiKPiEEvlllT_PT11_llSB_llS9_PT12_llPT13_lli.numbered_sgpr, 36
	.set _ZN12_GLOBAL__N_127rocblas_gemm_batched_kernelIiLi16ELi16ELi64ELi64ELi4ELi64ELi4ELi4ELi64ELc78ELc78EKPKaKPKiKPiEEvlllT_PT11_llSB_llS9_PT12_llPT13_lli.num_named_barrier, 0
	.set _ZN12_GLOBAL__N_127rocblas_gemm_batched_kernelIiLi16ELi16ELi64ELi64ELi4ELi64ELi4ELi4ELi64ELc78ELc78EKPKaKPKiKPiEEvlllT_PT11_llSB_llS9_PT12_llPT13_lli.private_seg_size, 0
	.set _ZN12_GLOBAL__N_127rocblas_gemm_batched_kernelIiLi16ELi16ELi64ELi64ELi4ELi64ELi4ELi4ELi64ELc78ELc78EKPKaKPKiKPiEEvlllT_PT11_llSB_llS9_PT12_llPT13_lli.uses_vcc, 1
	.set _ZN12_GLOBAL__N_127rocblas_gemm_batched_kernelIiLi16ELi16ELi64ELi64ELi4ELi64ELi4ELi4ELi64ELc78ELc78EKPKaKPKiKPiEEvlllT_PT11_llSB_llS9_PT12_llPT13_lli.uses_flat_scratch, 0
	.set _ZN12_GLOBAL__N_127rocblas_gemm_batched_kernelIiLi16ELi16ELi64ELi64ELi4ELi64ELi4ELi4ELi64ELc78ELc78EKPKaKPKiKPiEEvlllT_PT11_llSB_llS9_PT12_llPT13_lli.has_dyn_sized_stack, 0
	.set _ZN12_GLOBAL__N_127rocblas_gemm_batched_kernelIiLi16ELi16ELi64ELi64ELi4ELi64ELi4ELi4ELi64ELc78ELc78EKPKaKPKiKPiEEvlllT_PT11_llSB_llS9_PT12_llPT13_lli.has_recursion, 0
	.set _ZN12_GLOBAL__N_127rocblas_gemm_batched_kernelIiLi16ELi16ELi64ELi64ELi4ELi64ELi4ELi4ELi64ELc78ELc78EKPKaKPKiKPiEEvlllT_PT11_llSB_llS9_PT12_llPT13_lli.has_indirect_call, 0
	.section	.AMDGPU.csdata,"",@progbits
; Kernel info:
; codeLenInByte = 2820
; TotalNumSgprs: 38
; NumVgprs: 94
; ScratchSize: 0
; MemoryBound: 0
; FloatMode: 240
; IeeeMode: 1
; LDSByteSize: 2048 bytes/workgroup (compile time only)
; SGPRBlocks: 0
; VGPRBlocks: 11
; NumSGPRsForWavesPerEU: 38
; NumVGPRsForWavesPerEU: 94
; Occupancy: 10
; WaveLimiterHint : 1
; COMPUTE_PGM_RSRC2:SCRATCH_EN: 0
; COMPUTE_PGM_RSRC2:USER_SGPR: 6
; COMPUTE_PGM_RSRC2:TRAP_HANDLER: 0
; COMPUTE_PGM_RSRC2:TGID_X_EN: 1
; COMPUTE_PGM_RSRC2:TGID_Y_EN: 1
; COMPUTE_PGM_RSRC2:TGID_Z_EN: 1
; COMPUTE_PGM_RSRC2:TIDIG_COMP_CNT: 1
	.section	.text._ZN12_GLOBAL__N_127rocblas_gemm_batched_kernelIiLi16ELi16ELi64ELi64ELi4ELi64ELi4ELi4ELi64ELc84ELc78EKPKaKPKiKPiEEvlllT_PT11_llSB_llS9_PT12_llPT13_lli,"axG",@progbits,_ZN12_GLOBAL__N_127rocblas_gemm_batched_kernelIiLi16ELi16ELi64ELi64ELi4ELi64ELi4ELi4ELi64ELc84ELc78EKPKaKPKiKPiEEvlllT_PT11_llSB_llS9_PT12_llPT13_lli,comdat
	.globl	_ZN12_GLOBAL__N_127rocblas_gemm_batched_kernelIiLi16ELi16ELi64ELi64ELi4ELi64ELi4ELi4ELi64ELc84ELc78EKPKaKPKiKPiEEvlllT_PT11_llSB_llS9_PT12_llPT13_lli ; -- Begin function _ZN12_GLOBAL__N_127rocblas_gemm_batched_kernelIiLi16ELi16ELi64ELi64ELi4ELi64ELi4ELi4ELi64ELc84ELc78EKPKaKPKiKPiEEvlllT_PT11_llSB_llS9_PT12_llPT13_lli
	.p2align	8
	.type	_ZN12_GLOBAL__N_127rocblas_gemm_batched_kernelIiLi16ELi16ELi64ELi64ELi4ELi64ELi4ELi4ELi64ELc84ELc78EKPKaKPKiKPiEEvlllT_PT11_llSB_llS9_PT12_llPT13_lli,@function
_ZN12_GLOBAL__N_127rocblas_gemm_batched_kernelIiLi16ELi16ELi64ELi64ELi4ELi64ELi4ELi4ELi64ELc84ELc78EKPKaKPKiKPiEEvlllT_PT11_llSB_llS9_PT12_llPT13_lli: ; @_ZN12_GLOBAL__N_127rocblas_gemm_batched_kernelIiLi16ELi16ELi64ELi64ELi4ELi64ELi4ELi4ELi64ELc84ELc78EKPKaKPKiKPiEEvlllT_PT11_llSB_llS9_PT12_llPT13_lli
; %bb.0:
	s_clause 0x1
	s_load_dwordx8 s[12:19], s[4:5], 0x58
	s_load_dwordx2 s[28:29], s[4:5], 0x10
	s_mov_b32 s9, 0
	s_load_dwordx4 s[0:3], s[4:5], 0x78
	s_lshl_b64 s[30:31], s[8:9], 3
	s_mov_b32 s20, s7
	v_mov_b32_e32 v2, 0
	v_mov_b32_e32 v16, 0
	;; [unrolled: 1-line block ×14, first 2 shown]
	s_waitcnt lgkmcnt(0)
	s_add_u32 s8, s12, s30
	s_addc_u32 s9, s13, s31
	s_add_u32 s10, s18, s30
	s_addc_u32 s11, s19, s31
	s_load_dwordx2 s[8:9], s[8:9], 0x0
	s_load_dwordx2 s[10:11], s[10:11], 0x0
	v_cmp_lt_i64_e64 s12, s[28:29], 1
	v_mov_b32_e32 v9, 0
	v_mov_b32_e32 v8, 0
	s_ashr_i32 s7, s6, 31
	s_ashr_i32 s21, s20, 31
	s_lshl_b64 s[6:7], s[6:7], 6
	s_and_b32 vcc_lo, exec_lo, s12
	s_lshl_b64 s[12:13], s[20:21], 6
	s_cbranch_vccnz .LBB196_3
; %bb.1:
	s_load_dwordx8 s[20:27], s[4:5], 0x20
	v_lshlrev_b32_e32 v6, 4, v1
	s_load_dwordx4 s[36:39], s[4:5], 0x40
	v_and_b32_e32 v7, 3, v0
	v_mov_b32_e32 v8, 0
	v_lshlrev_b32_e32 v20, 2, v0
	v_add_nc_u32_e32 v2, v6, v0
	v_add_nc_u32_e32 v21, 0x400, v6
	v_lshlrev_b32_e32 v4, 2, v7
	v_mov_b32_e32 v18, 0
	v_mov_b32_e32 v6, 0
	v_lshrrev_b32_e32 v3, 2, v2
	v_lshrrev_b32_e32 v10, 6, v2
	v_and_b32_e32 v9, 63, v2
	v_mov_b32_e32 v16, 0
	v_add_co_u32 v5, s18, v3, s12
	v_add_co_ci_u32_e64 v11, null, 0, s13, s18
	s_waitcnt lgkmcnt(0)
	s_add_u32 s18, s20, s30
	s_addc_u32 s19, s21, s31
	s_add_u32 s20, s26, s30
	s_addc_u32 s21, s27, s31
	s_load_dwordx2 s[18:19], s[18:19], 0x0
	s_load_dwordx2 s[20:21], s[20:21], 0x0
	v_lshl_or_b32 v13, v3, 4, v4
	v_add_co_u32 v4, s24, s24, v10
	v_lshlrev_b32_e32 v12, 2, v9
	v_mad_u64_u32 v[2:3], null, s36, v5, s[38:39]
	v_mul_lo_u32 v11, s36, v11
	v_mul_lo_u32 v14, s37, v5
	v_add_co_ci_u32_e64 v5, null, s25, 0, s24
	v_add_co_u32 v9, s24, s6, v9
	v_add_co_ci_u32_e64 v15, null, s7, 0, s24
	v_lshl_or_b32 v17, v10, 8, v12
	v_mad_u64_u32 v[4:5], null, s22, v9, v[4:5]
	v_mul_lo_u32 v10, s22, v15
	v_mul_lo_u32 v9, s23, v9
	v_add3_u32 v3, v14, v3, v11
	v_add_co_u32 v2, vcc_lo, v2, v7
	v_add_nc_u32_e32 v19, 0x400, v13
	v_mov_b32_e32 v7, 0
	v_add_co_ci_u32_e64 v3, null, 0, v3, vcc_lo
	v_add3_u32 v5, v9, v5, v10
	s_waitcnt lgkmcnt(0)
	v_add_co_u32 v22, vcc_lo, s20, v2
	v_add_co_ci_u32_e64 v23, null, s21, v3, vcc_lo
	v_add_co_u32 v24, vcc_lo, s18, v4
	v_add_co_ci_u32_e64 v25, null, s19, v5, vcc_lo
	v_mov_b32_e32 v9, 0
	v_mov_b32_e32 v3, 0
	;; [unrolled: 1-line block ×11, first 2 shown]
	s_mov_b64 s[18:19], 0
.LBB196_2:                              ; =>This Inner Loop Header: Depth=1
	v_add_co_u32 v26, vcc_lo, v24, s18
	v_add_co_ci_u32_e64 v27, null, s19, v25, vcc_lo
	flat_load_sbyte v28, v[26:27]
	v_add_co_u32 v26, vcc_lo, v22, s18
	v_add_co_ci_u32_e64 v27, null, s19, v23, vcc_lo
	s_add_u32 s18, s18, 4
	s_addc_u32 s19, s19, 0
	v_cmp_lt_i64_e64 s20, s[18:19], s[28:29]
	s_and_b32 vcc_lo, exec_lo, s20
	s_waitcnt vmcnt(0) lgkmcnt(0)
	ds_write_b32 v17, v28
	flat_load_sbyte v26, v[26:27]
	s_waitcnt vmcnt(0) lgkmcnt(0)
	ds_write_b32 v19, v26
	s_waitcnt lgkmcnt(0)
	s_barrier
	buffer_gl0_inv
	ds_read_b128 v[26:29], v21
	ds_read2_b32 v[42:43], v20 offset1:16
	ds_read2_b32 v[44:45], v20 offset0:32 offset1:48
	ds_read2_b32 v[46:47], v20 offset0:64 offset1:80
	;; [unrolled: 1-line block ×7, first 2 shown]
	ds_read_b128 v[30:33], v21 offset:256
	ds_read_b128 v[34:37], v21 offset:512
	;; [unrolled: 1-line block ×3, first 2 shown]
	s_waitcnt lgkmcnt(0)
	s_barrier
	buffer_gl0_inv
	v_mul_lo_u32 v58, v26, v42
	v_mul_lo_u32 v59, v26, v43
	;; [unrolled: 1-line block ×64, first 2 shown]
	v_add3_u32 v2, v2, v58, v61
	v_add3_u32 v16, v16, v59, v62
	;; [unrolled: 1-line block ×32, first 2 shown]
	s_cbranch_vccnz .LBB196_2
.LBB196_3:
	s_clause 0x1
	s_load_dword s18, s[4:5], 0x18
	s_load_dword s4, s[4:5], 0x50
	v_add_co_u32 v19, s5, s12, v1
	v_add_co_ci_u32_e64 v21, null, s13, 0, s5
	v_add_co_u32 v22, s5, s6, v0
	v_add_co_ci_u32_e64 v23, null, s7, 0, s5
	v_mul_lo_u32 v20, v19, s1
	s_lshl_b64 s[2:3], s[2:3], 2
	s_mov_b32 s5, 0
	s_waitcnt lgkmcnt(0)
	s_add_u32 s2, s10, s2
	s_addc_u32 s3, s11, s3
	v_mul_lo_u32 v17, v2, s18
	v_mul_lo_u32 v16, v16, s18
	;; [unrolled: 1-line block ×17, first 2 shown]
	v_lshlrev_b64 v[8:9], 2, v[22:23]
	s_cmp_eq_u32 s4, 0
	s_cbranch_scc1 .LBB196_7
; %bb.4:
	v_mul_lo_u32 v23, v21, s14
	v_mul_lo_u32 v24, v19, s15
	v_mad_u64_u32 v[21:22], null, v19, s14, 0
	s_lshl_b64 s[6:7], s[16:17], 2
	s_add_u32 s6, s8, s6
	s_addc_u32 s7, s9, s7
	s_lshl_b64 s[8:9], s[0:1], 6
	v_add3_u32 v22, v22, v24, v23
	v_mad_u64_u32 v[23:24], null, v19, s0, 0
	v_lshlrev_b64 v[21:22], 2, v[21:22]
	v_add3_u32 v24, v24, v20, v18
	v_add_co_u32 v28, vcc_lo, s6, v21
	v_add_co_ci_u32_e64 v29, null, s7, v22, vcc_lo
	v_lshlrev_b64 v[23:24], 2, v[23:24]
	v_add_co_u32 v21, vcc_lo, v28, v8
	v_add_co_ci_u32_e64 v22, null, v29, v9, vcc_lo
	s_lshl_b64 s[6:7], s[14:15], 6
	v_add_co_u32 v30, vcc_lo, s2, v23
	flat_load_dword v25, v[21:22]
	v_add_co_ci_u32_e64 v31, null, s3, v24, vcc_lo
	s_waitcnt vmcnt(0) lgkmcnt(0)
	v_mad_u64_u32 v[23:24], null, v25, s4, v[17:18]
	v_add_co_u32 v24, vcc_lo, v30, v8
	v_add_co_ci_u32_e64 v25, null, v31, v9, vcc_lo
	v_add_co_u32 v32, vcc_lo, v28, s6
	v_add_co_ci_u32_e64 v29, null, s7, v29, vcc_lo
	flat_store_dword v[24:25], v23
	flat_load_dword v23, v[21:22] offset:64
	s_waitcnt vmcnt(0) lgkmcnt(0)
	v_mad_u64_u32 v[26:27], null, v23, s4, v[16:17]
	flat_store_dword v[24:25], v26 offset:64
	flat_load_dword v23, v[21:22] offset:128
	s_waitcnt vmcnt(0) lgkmcnt(0)
	v_mad_u64_u32 v[26:27], null, v23, s4, v[15:16]
	flat_store_dword v[24:25], v26 offset:128
	flat_load_dword v21, v[21:22] offset:192
	s_waitcnt vmcnt(0) lgkmcnt(0)
	v_mad_u64_u32 v[21:22], null, v21, s4, v[14:15]
	v_add_co_u32 v22, vcc_lo, v32, v8
	v_add_co_ci_u32_e64 v23, null, v29, v9, vcc_lo
	v_add_co_u32 v30, vcc_lo, v30, s8
	flat_store_dword v[24:25], v21 offset:192
	flat_load_dword v21, v[22:23]
	v_add_co_ci_u32_e64 v31, null, s9, v31, vcc_lo
	s_waitcnt vmcnt(0) lgkmcnt(0)
	v_mad_u64_u32 v[24:25], null, v21, s4, v[13:14]
	v_add_co_u32 v25, vcc_lo, v30, v8
	v_add_co_ci_u32_e64 v26, null, v31, v9, vcc_lo
	v_add_co_u32 v32, vcc_lo, v32, s6
	v_add_co_ci_u32_e64 v29, null, s7, v29, vcc_lo
	flat_store_dword v[25:26], v24
	flat_load_dword v21, v[22:23] offset:64
	s_waitcnt vmcnt(0) lgkmcnt(0)
	v_mad_u64_u32 v[27:28], null, v21, s4, v[12:13]
	flat_store_dword v[25:26], v27 offset:64
	flat_load_dword v21, v[22:23] offset:128
	s_waitcnt vmcnt(0) lgkmcnt(0)
	v_mad_u64_u32 v[27:28], null, v21, s4, v[11:12]
	flat_store_dword v[25:26], v27 offset:128
	flat_load_dword v21, v[22:23] offset:192
	s_waitcnt vmcnt(0) lgkmcnt(0)
	v_mad_u64_u32 v[21:22], null, v21, s4, v[10:11]
	v_add_co_u32 v22, vcc_lo, v32, v8
	v_add_co_ci_u32_e64 v23, null, v29, v9, vcc_lo
	v_add_co_u32 v30, vcc_lo, v30, s8
	flat_store_dword v[25:26], v21 offset:192
	flat_load_dword v21, v[22:23]
	v_add_co_ci_u32_e64 v31, null, s9, v31, vcc_lo
	s_waitcnt vmcnt(0) lgkmcnt(0)
	v_mad_u64_u32 v[24:25], null, v21, s4, v[7:8]
	v_add_co_u32 v25, vcc_lo, v30, v8
	v_add_co_ci_u32_e64 v26, null, v31, v9, vcc_lo
	flat_store_dword v[25:26], v24
	flat_load_dword v21, v[22:23] offset:64
	s_waitcnt vmcnt(0) lgkmcnt(0)
	v_mad_u64_u32 v[27:28], null, v21, s4, v[6:7]
	flat_store_dword v[25:26], v27 offset:64
	flat_load_dword v21, v[22:23] offset:128
	s_waitcnt vmcnt(0) lgkmcnt(0)
	v_mad_u64_u32 v[27:28], null, v21, s4, v[5:6]
	flat_store_dword v[25:26], v27 offset:128
	flat_load_dword v21, v[22:23] offset:192
	v_add_co_u32 v23, vcc_lo, v32, s6
	v_add_co_ci_u32_e64 v24, null, s7, v29, vcc_lo
	s_waitcnt vmcnt(0) lgkmcnt(0)
	v_mad_u64_u32 v[21:22], null, v21, s4, v[4:5]
	v_add_co_u32 v22, vcc_lo, v23, v8
	v_add_co_ci_u32_e64 v23, null, v24, v9, vcc_lo
	flat_store_dword v[25:26], v21 offset:192
	flat_load_dword v21, v[22:23]
	v_add_co_u32 v26, vcc_lo, v30, s8
	v_add_co_ci_u32_e64 v27, null, s9, v31, vcc_lo
	s_waitcnt vmcnt(0) lgkmcnt(0)
	v_mad_u64_u32 v[24:25], null, v21, s4, v[3:4]
	v_add_co_u32 v25, vcc_lo, v26, v8
	v_add_co_ci_u32_e64 v26, null, v27, v9, vcc_lo
	flat_store_dword v[25:26], v24
	flat_load_dword v21, v[22:23] offset:64
	s_waitcnt vmcnt(0) lgkmcnt(0)
	v_mad_u64_u32 v[27:28], null, v21, s4, v[2:3]
	flat_store_dword v[25:26], v27 offset:64
	flat_load_dword v21, v[22:23] offset:128
	s_waitcnt vmcnt(0) lgkmcnt(0)
	v_mad_u64_u32 v[27:28], null, v21, s4, v[1:2]
	flat_store_dword v[25:26], v27 offset:128
	flat_load_dword v21, v[22:23] offset:192
	s_waitcnt vmcnt(0) lgkmcnt(0)
	v_mad_u64_u32 v[21:22], null, v21, s4, v[0:1]
	flat_store_dword v[25:26], v21 offset:192
	s_andn2_b32 vcc_lo, exec_lo, s5
	s_cbranch_vccnz .LBB196_6
.LBB196_5:
	v_mad_u64_u32 v[21:22], null, v19, s0, 0
	s_lshl_b64 s[0:1], s[0:1], 6
	v_add3_u32 v22, v22, v20, v18
	v_lshlrev_b64 v[18:19], 2, v[21:22]
	v_add_co_u32 v20, vcc_lo, s2, v18
	v_add_co_ci_u32_e64 v21, null, s3, v19, vcc_lo
	v_add_co_u32 v18, vcc_lo, v20, v8
	v_add_co_ci_u32_e64 v19, null, v21, v9, vcc_lo
	;; [unrolled: 2-line block ×3, first 2 shown]
	flat_store_dword v[18:19], v17
	flat_store_dword v[18:19], v16 offset:64
	flat_store_dword v[18:19], v15 offset:128
	flat_store_dword v[18:19], v14 offset:192
	v_add_co_u32 v14, vcc_lo, v20, v8
	v_add_co_ci_u32_e64 v15, null, v21, v9, vcc_lo
	v_add_co_u32 v16, vcc_lo, v20, s0
	v_add_co_ci_u32_e64 v17, null, s1, v21, vcc_lo
	flat_store_dword v[14:15], v13
	flat_store_dword v[14:15], v12 offset:64
	flat_store_dword v[14:15], v11 offset:128
	;; [unrolled: 1-line block ×3, first 2 shown]
	v_add_co_u32 v12, vcc_lo, v16, s0
	v_add_co_ci_u32_e64 v13, null, s1, v17, vcc_lo
	v_add_co_u32 v10, vcc_lo, v16, v8
	v_add_co_ci_u32_e64 v11, null, v17, v9, vcc_lo
	;; [unrolled: 2-line block ×3, first 2 shown]
	flat_store_dword v[10:11], v7
	flat_store_dword v[10:11], v6 offset:64
	flat_store_dword v[10:11], v5 offset:128
	;; [unrolled: 1-line block ×3, first 2 shown]
	flat_store_dword v[8:9], v3
	flat_store_dword v[8:9], v2 offset:64
	flat_store_dword v[8:9], v1 offset:128
	;; [unrolled: 1-line block ×3, first 2 shown]
.LBB196_6:
	s_endpgm
.LBB196_7:
	s_branch .LBB196_5
	.section	.rodata,"a",@progbits
	.p2align	6, 0x0
	.amdhsa_kernel _ZN12_GLOBAL__N_127rocblas_gemm_batched_kernelIiLi16ELi16ELi64ELi64ELi4ELi64ELi4ELi4ELi64ELc84ELc78EKPKaKPKiKPiEEvlllT_PT11_llSB_llS9_PT12_llPT13_lli
		.amdhsa_group_segment_fixed_size 2048
		.amdhsa_private_segment_fixed_size 0
		.amdhsa_kernarg_size 140
		.amdhsa_user_sgpr_count 6
		.amdhsa_user_sgpr_private_segment_buffer 1
		.amdhsa_user_sgpr_dispatch_ptr 0
		.amdhsa_user_sgpr_queue_ptr 0
		.amdhsa_user_sgpr_kernarg_segment_ptr 1
		.amdhsa_user_sgpr_dispatch_id 0
		.amdhsa_user_sgpr_flat_scratch_init 0
		.amdhsa_user_sgpr_private_segment_size 0
		.amdhsa_wavefront_size32 1
		.amdhsa_uses_dynamic_stack 0
		.amdhsa_system_sgpr_private_segment_wavefront_offset 0
		.amdhsa_system_sgpr_workgroup_id_x 1
		.amdhsa_system_sgpr_workgroup_id_y 1
		.amdhsa_system_sgpr_workgroup_id_z 1
		.amdhsa_system_sgpr_workgroup_info 0
		.amdhsa_system_vgpr_workitem_id 1
		.amdhsa_next_free_vgpr 94
		.amdhsa_next_free_sgpr 40
		.amdhsa_reserve_vcc 1
		.amdhsa_reserve_flat_scratch 0
		.amdhsa_float_round_mode_32 0
		.amdhsa_float_round_mode_16_64 0
		.amdhsa_float_denorm_mode_32 3
		.amdhsa_float_denorm_mode_16_64 3
		.amdhsa_dx10_clamp 1
		.amdhsa_ieee_mode 1
		.amdhsa_fp16_overflow 0
		.amdhsa_workgroup_processor_mode 1
		.amdhsa_memory_ordered 1
		.amdhsa_forward_progress 1
		.amdhsa_shared_vgpr_count 0
		.amdhsa_exception_fp_ieee_invalid_op 0
		.amdhsa_exception_fp_denorm_src 0
		.amdhsa_exception_fp_ieee_div_zero 0
		.amdhsa_exception_fp_ieee_overflow 0
		.amdhsa_exception_fp_ieee_underflow 0
		.amdhsa_exception_fp_ieee_inexact 0
		.amdhsa_exception_int_div_zero 0
	.end_amdhsa_kernel
	.section	.text._ZN12_GLOBAL__N_127rocblas_gemm_batched_kernelIiLi16ELi16ELi64ELi64ELi4ELi64ELi4ELi4ELi64ELc84ELc78EKPKaKPKiKPiEEvlllT_PT11_llSB_llS9_PT12_llPT13_lli,"axG",@progbits,_ZN12_GLOBAL__N_127rocblas_gemm_batched_kernelIiLi16ELi16ELi64ELi64ELi4ELi64ELi4ELi4ELi64ELc84ELc78EKPKaKPKiKPiEEvlllT_PT11_llSB_llS9_PT12_llPT13_lli,comdat
.Lfunc_end196:
	.size	_ZN12_GLOBAL__N_127rocblas_gemm_batched_kernelIiLi16ELi16ELi64ELi64ELi4ELi64ELi4ELi4ELi64ELc84ELc78EKPKaKPKiKPiEEvlllT_PT11_llSB_llS9_PT12_llPT13_lli, .Lfunc_end196-_ZN12_GLOBAL__N_127rocblas_gemm_batched_kernelIiLi16ELi16ELi64ELi64ELi4ELi64ELi4ELi4ELi64ELc84ELc78EKPKaKPKiKPiEEvlllT_PT11_llSB_llS9_PT12_llPT13_lli
                                        ; -- End function
	.set _ZN12_GLOBAL__N_127rocblas_gemm_batched_kernelIiLi16ELi16ELi64ELi64ELi4ELi64ELi4ELi4ELi64ELc84ELc78EKPKaKPKiKPiEEvlllT_PT11_llSB_llS9_PT12_llPT13_lli.num_vgpr, 94
	.set _ZN12_GLOBAL__N_127rocblas_gemm_batched_kernelIiLi16ELi16ELi64ELi64ELi4ELi64ELi4ELi4ELi64ELc84ELc78EKPKaKPKiKPiEEvlllT_PT11_llSB_llS9_PT12_llPT13_lli.num_agpr, 0
	.set _ZN12_GLOBAL__N_127rocblas_gemm_batched_kernelIiLi16ELi16ELi64ELi64ELi4ELi64ELi4ELi4ELi64ELc84ELc78EKPKaKPKiKPiEEvlllT_PT11_llSB_llS9_PT12_llPT13_lli.numbered_sgpr, 40
	.set _ZN12_GLOBAL__N_127rocblas_gemm_batched_kernelIiLi16ELi16ELi64ELi64ELi4ELi64ELi4ELi4ELi64ELc84ELc78EKPKaKPKiKPiEEvlllT_PT11_llSB_llS9_PT12_llPT13_lli.num_named_barrier, 0
	.set _ZN12_GLOBAL__N_127rocblas_gemm_batched_kernelIiLi16ELi16ELi64ELi64ELi4ELi64ELi4ELi4ELi64ELc84ELc78EKPKaKPKiKPiEEvlllT_PT11_llSB_llS9_PT12_llPT13_lli.private_seg_size, 0
	.set _ZN12_GLOBAL__N_127rocblas_gemm_batched_kernelIiLi16ELi16ELi64ELi64ELi4ELi64ELi4ELi4ELi64ELc84ELc78EKPKaKPKiKPiEEvlllT_PT11_llSB_llS9_PT12_llPT13_lli.uses_vcc, 1
	.set _ZN12_GLOBAL__N_127rocblas_gemm_batched_kernelIiLi16ELi16ELi64ELi64ELi4ELi64ELi4ELi4ELi64ELc84ELc78EKPKaKPKiKPiEEvlllT_PT11_llSB_llS9_PT12_llPT13_lli.uses_flat_scratch, 0
	.set _ZN12_GLOBAL__N_127rocblas_gemm_batched_kernelIiLi16ELi16ELi64ELi64ELi4ELi64ELi4ELi4ELi64ELc84ELc78EKPKaKPKiKPiEEvlllT_PT11_llSB_llS9_PT12_llPT13_lli.has_dyn_sized_stack, 0
	.set _ZN12_GLOBAL__N_127rocblas_gemm_batched_kernelIiLi16ELi16ELi64ELi64ELi4ELi64ELi4ELi4ELi64ELc84ELc78EKPKaKPKiKPiEEvlllT_PT11_llSB_llS9_PT12_llPT13_lli.has_recursion, 0
	.set _ZN12_GLOBAL__N_127rocblas_gemm_batched_kernelIiLi16ELi16ELi64ELi64ELi4ELi64ELi4ELi4ELi64ELc84ELc78EKPKaKPKiKPiEEvlllT_PT11_llSB_llS9_PT12_llPT13_lli.has_indirect_call, 0
	.section	.AMDGPU.csdata,"",@progbits
; Kernel info:
; codeLenInByte = 2836
; TotalNumSgprs: 42
; NumVgprs: 94
; ScratchSize: 0
; MemoryBound: 0
; FloatMode: 240
; IeeeMode: 1
; LDSByteSize: 2048 bytes/workgroup (compile time only)
; SGPRBlocks: 0
; VGPRBlocks: 11
; NumSGPRsForWavesPerEU: 42
; NumVGPRsForWavesPerEU: 94
; Occupancy: 10
; WaveLimiterHint : 1
; COMPUTE_PGM_RSRC2:SCRATCH_EN: 0
; COMPUTE_PGM_RSRC2:USER_SGPR: 6
; COMPUTE_PGM_RSRC2:TRAP_HANDLER: 0
; COMPUTE_PGM_RSRC2:TGID_X_EN: 1
; COMPUTE_PGM_RSRC2:TGID_Y_EN: 1
; COMPUTE_PGM_RSRC2:TGID_Z_EN: 1
; COMPUTE_PGM_RSRC2:TIDIG_COMP_CNT: 1
	.section	.text._ZN12_GLOBAL__N_127rocblas_gemm_batched_kernelIiLi16ELi16ELi64ELi64ELi4ELi64ELi4ELi4ELi64ELc78ELc84EKPKaKPKiKPiEEvlllT_PT11_llSB_llS9_PT12_llPT13_lli,"axG",@progbits,_ZN12_GLOBAL__N_127rocblas_gemm_batched_kernelIiLi16ELi16ELi64ELi64ELi4ELi64ELi4ELi4ELi64ELc78ELc84EKPKaKPKiKPiEEvlllT_PT11_llSB_llS9_PT12_llPT13_lli,comdat
	.globl	_ZN12_GLOBAL__N_127rocblas_gemm_batched_kernelIiLi16ELi16ELi64ELi64ELi4ELi64ELi4ELi4ELi64ELc78ELc84EKPKaKPKiKPiEEvlllT_PT11_llSB_llS9_PT12_llPT13_lli ; -- Begin function _ZN12_GLOBAL__N_127rocblas_gemm_batched_kernelIiLi16ELi16ELi64ELi64ELi4ELi64ELi4ELi4ELi64ELc78ELc84EKPKaKPKiKPiEEvlllT_PT11_llSB_llS9_PT12_llPT13_lli
	.p2align	8
	.type	_ZN12_GLOBAL__N_127rocblas_gemm_batched_kernelIiLi16ELi16ELi64ELi64ELi4ELi64ELi4ELi4ELi64ELc78ELc84EKPKaKPKiKPiEEvlllT_PT11_llSB_llS9_PT12_llPT13_lli,@function
_ZN12_GLOBAL__N_127rocblas_gemm_batched_kernelIiLi16ELi16ELi64ELi64ELi4ELi64ELi4ELi4ELi64ELc78ELc84EKPKaKPKiKPiEEvlllT_PT11_llSB_llS9_PT12_llPT13_lli: ; @_ZN12_GLOBAL__N_127rocblas_gemm_batched_kernelIiLi16ELi16ELi64ELi64ELi4ELi64ELi4ELi4ELi64ELc78ELc84EKPKaKPKiKPiEEvlllT_PT11_llSB_llS9_PT12_llPT13_lli
; %bb.0:
	s_clause 0x1
	s_load_dwordx8 s[12:19], s[4:5], 0x58
	s_load_dwordx2 s[28:29], s[4:5], 0x10
	s_mov_b32 s9, 0
	s_mov_b32 s0, s7
	s_lshl_b64 s[34:35], s[8:9], 3
	s_load_dwordx4 s[8:11], s[4:5], 0x78
	v_mov_b32_e32 v13, 0
	v_mov_b32_e32 v23, 0
	;; [unrolled: 1-line block ×14, first 2 shown]
	s_waitcnt lgkmcnt(0)
	s_add_u32 s2, s12, s34
	s_addc_u32 s3, s13, s35
	s_add_u32 s18, s18, s34
	s_addc_u32 s19, s19, s35
	s_load_dwordx2 s[12:13], s[2:3], 0x0
	s_load_dwordx2 s[18:19], s[18:19], 0x0
	v_cmp_lt_i64_e64 s20, s[28:29], 1
	v_mov_b32_e32 v9, 0
	v_mov_b32_e32 v8, 0
	s_ashr_i32 s7, s6, 31
	s_ashr_i32 s1, s0, 31
	s_lshl_b64 s[6:7], s[6:7], 6
	s_and_b32 vcc_lo, exec_lo, s20
	s_lshl_b64 s[30:31], s[0:1], 6
	s_cbranch_vccnz .LBB197_3
; %bb.1:
	s_clause 0x1
	s_load_dwordx8 s[20:27], s[4:5], 0x20
	s_load_dwordx4 s[0:3], s[4:5], 0x40
	v_lshlrev_b32_e32 v13, 4, v1
	v_and_b32_e32 v28, 3, v0
	v_mov_b32_e32 v6, 0
	v_mov_b32_e32 v8, 0
	v_lshlrev_b32_e32 v16, 2, v0
	v_add_nc_u32_e32 v17, v13, v0
	v_lshlrev_b32_e32 v26, 2, v28
	v_mov_b32_e32 v9, 0
	v_mov_b32_e32 v18, 0
	;; [unrolled: 1-line block ×3, first 2 shown]
	v_lshrrev_b32_e32 v24, 2, v17
	v_lshrrev_b32_e32 v25, 6, v17
	v_and_b32_e32 v29, 63, v17
	v_add_nc_u32_e32 v17, 0x400, v13
	v_mov_b32_e32 v20, 0
	v_lshl_or_b32 v30, v24, 4, v26
	v_mov_b32_e32 v21, 0
	v_lshlrev_b32_e32 v13, 2, v29
	s_waitcnt lgkmcnt(0)
	s_add_u32 s36, s20, s34
	s_addc_u32 s37, s21, s35
	s_add_u32 s20, s26, s34
	s_addc_u32 s21, s27, s35
	v_add_co_u32 v2, s2, s2, v24
	s_load_dwordx2 s[26:27], s[20:21], 0x0
	v_add_co_ci_u32_e64 v3, null, s3, 0, s2
	s_lshl_b64 s[2:3], s[22:23], 2
	s_lshl_b64 s[20:21], s[0:1], 2
	v_mov_b32_e32 v7, 0
	v_mad_u64_u32 v[2:3], null, s0, v28, v[2:3]
	v_mov_b32_e32 v10, 0
	v_mov_b32_e32 v11, 0
	;; [unrolled: 1-line block ×7, first 2 shown]
	v_lshl_or_b32 v24, v25, 8, v13
	v_mov_b32_e32 v13, 0
	s_waitcnt lgkmcnt(0)
	s_add_u32 s26, s26, s30
	s_addc_u32 s27, s27, s31
	s_add_u32 s24, s6, s24
	s_addc_u32 s25, s7, s25
	v_mad_u64_u32 v[4:5], null, s22, v25, s[24:25]
	s_load_dwordx2 s[24:25], s[36:37], 0x0
	v_mad_u64_u32 v[26:27], null, s23, v25, v[5:6]
	v_mad_u64_u32 v[27:28], null, s1, v28, v[3:4]
	v_add_co_u32 v4, vcc_lo, v4, v29
	v_add_nc_u32_e32 v25, 0x400, v30
	s_mov_b64 s[22:23], 0
	v_add_co_ci_u32_e64 v5, null, 0, v26, vcc_lo
	v_add_co_u32 v2, vcc_lo, s26, v2
	v_add_co_ci_u32_e64 v3, null, s27, v27, vcc_lo
	s_waitcnt lgkmcnt(0)
	v_add_co_u32 v4, vcc_lo, s24, v4
	v_add_co_ci_u32_e64 v5, null, s25, v5, vcc_lo
.LBB197_2:                              ; =>This Inner Loop Header: Depth=1
	flat_load_sbyte v26, v[4:5]
	s_add_u32 s22, s22, 4
	s_addc_u32 s23, s23, 0
	v_add_co_u32 v4, vcc_lo, v4, s2
	v_cmp_lt_i64_e64 s0, s[22:23], s[28:29]
	v_add_co_ci_u32_e64 v5, null, s3, v5, vcc_lo
	s_and_b32 vcc_lo, exec_lo, s0
	s_waitcnt vmcnt(0) lgkmcnt(0)
	ds_write_b32 v24, v26
	flat_load_sbyte v26, v[2:3]
	v_add_co_u32 v2, s0, v2, s20
	v_add_co_ci_u32_e64 v3, null, s21, v3, s0
	s_waitcnt vmcnt(0) lgkmcnt(0)
	ds_write_b32 v25, v26
	s_waitcnt lgkmcnt(0)
	s_barrier
	buffer_gl0_inv
	ds_read_b128 v[26:29], v17
	ds_read2_b32 v[42:43], v16 offset1:16
	ds_read2_b32 v[44:45], v16 offset0:32 offset1:48
	ds_read2_b32 v[46:47], v16 offset0:64 offset1:80
	;; [unrolled: 1-line block ×7, first 2 shown]
	ds_read_b128 v[30:33], v17 offset:256
	ds_read_b128 v[34:37], v17 offset:512
	;; [unrolled: 1-line block ×3, first 2 shown]
	s_waitcnt lgkmcnt(0)
	s_barrier
	buffer_gl0_inv
	v_mul_lo_u32 v58, v26, v42
	v_mul_lo_u32 v59, v26, v43
	;; [unrolled: 1-line block ×64, first 2 shown]
	v_add3_u32 v13, v13, v58, v61
	v_add3_u32 v23, v23, v59, v62
	;; [unrolled: 1-line block ×32, first 2 shown]
	s_cbranch_vccnz .LBB197_2
.LBB197_3:
	s_clause 0x1
	s_load_dword s1, s[4:5], 0x18
	s_load_dword s0, s[4:5], 0x50
	v_add_co_u32 v24, s2, s30, v1
	v_add_co_ci_u32_e64 v25, null, s31, 0, s2
	v_add_co_u32 v26, s2, s6, v0
	v_add_co_ci_u32_e64 v27, null, s7, 0, s2
	s_lshl_b64 s[2:3], s[10:11], 2
	s_waitcnt lgkmcnt(0)
	v_mul_lo_u32 v17, v13, s1
	v_mul_lo_u32 v16, v23, s1
	;; [unrolled: 1-line block ×18, first 2 shown]
	v_lshlrev_b64 v[8:9], 2, v[26:27]
	s_add_u32 s1, s18, s2
	s_addc_u32 s2, s19, s3
	s_cmp_eq_u32 s0, 0
	s_mov_b32 s3, 0
	s_cbranch_scc1 .LBB197_7
; %bb.4:
	v_mul_lo_u32 v22, v25, s14
	v_mul_lo_u32 v23, v24, s15
	v_mad_u64_u32 v[20:21], null, v24, s14, 0
	s_lshl_b64 s[4:5], s[16:17], 2
	s_add_u32 s4, s12, s4
	s_addc_u32 s5, s13, s5
	s_lshl_b64 s[6:7], s[8:9], 6
	v_add3_u32 v21, v21, v23, v22
	v_mad_u64_u32 v[22:23], null, v24, s8, 0
	v_lshlrev_b64 v[20:21], 2, v[20:21]
	v_add3_u32 v23, v23, v19, v18
	v_add_co_u32 v27, vcc_lo, s4, v20
	v_add_co_ci_u32_e64 v28, null, s5, v21, vcc_lo
	v_lshlrev_b64 v[22:23], 2, v[22:23]
	v_add_co_u32 v20, vcc_lo, v27, v8
	v_add_co_ci_u32_e64 v21, null, v28, v9, vcc_lo
	s_lshl_b64 s[4:5], s[14:15], 6
	v_add_co_u32 v29, vcc_lo, s1, v22
	flat_load_dword v25, v[20:21]
	v_add_co_ci_u32_e64 v30, null, s2, v23, vcc_lo
	s_waitcnt vmcnt(0) lgkmcnt(0)
	v_mad_u64_u32 v[22:23], null, v25, s0, v[17:18]
	v_add_co_u32 v25, vcc_lo, v29, v8
	v_add_co_ci_u32_e64 v26, null, v30, v9, vcc_lo
	flat_store_dword v[25:26], v22
	flat_load_dword v22, v[20:21] offset:64
	s_waitcnt vmcnt(0) lgkmcnt(0)
	v_mad_u64_u32 v[22:23], null, v22, s0, v[16:17]
	flat_store_dword v[25:26], v22 offset:64
	flat_load_dword v22, v[20:21] offset:128
	s_waitcnt vmcnt(0) lgkmcnt(0)
	v_mad_u64_u32 v[22:23], null, v22, s0, v[15:16]
	v_add_co_u32 v23, vcc_lo, v27, s4
	v_add_co_ci_u32_e64 v31, null, s5, v28, vcc_lo
	flat_store_dword v[25:26], v22 offset:128
	flat_load_dword v20, v[20:21] offset:192
	s_waitcnt vmcnt(0) lgkmcnt(0)
	v_mad_u64_u32 v[20:21], null, v20, s0, v[14:15]
	v_add_co_u32 v21, vcc_lo, v23, v8
	v_add_co_ci_u32_e64 v22, null, v31, v9, vcc_lo
	v_add_co_u32 v32, vcc_lo, v29, s6
	flat_store_dword v[25:26], v20 offset:192
	flat_load_dword v20, v[21:22]
	v_add_co_ci_u32_e64 v30, null, s7, v30, vcc_lo
	s_waitcnt vmcnt(0) lgkmcnt(0)
	v_mad_u64_u32 v[25:26], null, v20, s0, v[13:14]
	v_add_co_u32 v26, vcc_lo, v32, v8
	v_add_co_ci_u32_e64 v27, null, v30, v9, vcc_lo
	v_add_co_u32 v23, vcc_lo, v23, s4
	v_add_co_ci_u32_e64 v31, null, s5, v31, vcc_lo
	flat_store_dword v[26:27], v25
	flat_load_dword v20, v[21:22] offset:64
	s_waitcnt vmcnt(0) lgkmcnt(0)
	v_mad_u64_u32 v[28:29], null, v20, s0, v[12:13]
	flat_store_dword v[26:27], v28 offset:64
	flat_load_dword v20, v[21:22] offset:128
	s_waitcnt vmcnt(0) lgkmcnt(0)
	v_mad_u64_u32 v[28:29], null, v20, s0, v[11:12]
	flat_store_dword v[26:27], v28 offset:128
	flat_load_dword v20, v[21:22] offset:192
	s_waitcnt vmcnt(0) lgkmcnt(0)
	v_mad_u64_u32 v[20:21], null, v20, s0, v[10:11]
	v_add_co_u32 v21, vcc_lo, v23, v8
	v_add_co_ci_u32_e64 v22, null, v31, v9, vcc_lo
	v_add_co_u32 v32, vcc_lo, v32, s6
	flat_store_dword v[26:27], v20 offset:192
	flat_load_dword v20, v[21:22]
	v_add_co_ci_u32_e64 v30, null, s7, v30, vcc_lo
	s_waitcnt vmcnt(0) lgkmcnt(0)
	v_mad_u64_u32 v[25:26], null, v20, s0, v[7:8]
	v_add_co_u32 v26, vcc_lo, v32, v8
	v_add_co_ci_u32_e64 v27, null, v30, v9, vcc_lo
	flat_store_dword v[26:27], v25
	flat_load_dword v20, v[21:22] offset:64
	s_waitcnt vmcnt(0) lgkmcnt(0)
	v_mad_u64_u32 v[28:29], null, v20, s0, v[6:7]
	flat_store_dword v[26:27], v28 offset:64
	flat_load_dword v20, v[21:22] offset:128
	s_waitcnt vmcnt(0) lgkmcnt(0)
	v_mad_u64_u32 v[28:29], null, v20, s0, v[5:6]
	flat_store_dword v[26:27], v28 offset:128
	flat_load_dword v20, v[21:22] offset:192
	v_add_co_u32 v22, vcc_lo, v23, s4
	v_add_co_ci_u32_e64 v23, null, s5, v31, vcc_lo
	s_waitcnt vmcnt(0) lgkmcnt(0)
	v_mad_u64_u32 v[20:21], null, v20, s0, v[4:5]
	v_add_co_u32 v21, vcc_lo, v22, v8
	v_add_co_ci_u32_e64 v22, null, v23, v9, vcc_lo
	v_add_co_u32 v23, vcc_lo, v32, s6
	flat_store_dword v[26:27], v20 offset:192
	flat_load_dword v20, v[21:22]
	v_add_co_ci_u32_e64 v27, null, s7, v30, vcc_lo
	s_waitcnt vmcnt(0) lgkmcnt(0)
	v_mad_u64_u32 v[25:26], null, v20, s0, v[3:4]
	v_add_co_u32 v26, vcc_lo, v23, v8
	v_add_co_ci_u32_e64 v27, null, v27, v9, vcc_lo
	flat_store_dword v[26:27], v25
	flat_load_dword v20, v[21:22] offset:64
	s_waitcnt vmcnt(0) lgkmcnt(0)
	v_mad_u64_u32 v[28:29], null, v20, s0, v[2:3]
	flat_store_dword v[26:27], v28 offset:64
	flat_load_dword v20, v[21:22] offset:128
	s_waitcnt vmcnt(0) lgkmcnt(0)
	v_mad_u64_u32 v[28:29], null, v20, s0, v[1:2]
	flat_store_dword v[26:27], v28 offset:128
	;; [unrolled: 4-line block ×3, first 2 shown]
	s_andn2_b32 vcc_lo, exec_lo, s3
	s_cbranch_vccnz .LBB197_6
.LBB197_5:
	v_mad_u64_u32 v[20:21], null, v24, s8, 0
	v_add3_u32 v21, v21, v19, v18
	v_lshlrev_b64 v[18:19], 2, v[20:21]
	v_add_co_u32 v20, vcc_lo, s1, v18
	v_add_co_ci_u32_e64 v21, null, s2, v19, vcc_lo
	s_lshl_b64 s[0:1], s[8:9], 6
	v_add_co_u32 v18, vcc_lo, v20, v8
	v_add_co_ci_u32_e64 v19, null, v21, v9, vcc_lo
	v_add_co_u32 v20, vcc_lo, v20, s0
	v_add_co_ci_u32_e64 v21, null, s1, v21, vcc_lo
	flat_store_dword v[18:19], v17
	flat_store_dword v[18:19], v16 offset:64
	flat_store_dword v[18:19], v15 offset:128
	;; [unrolled: 1-line block ×3, first 2 shown]
	v_add_co_u32 v14, vcc_lo, v20, v8
	v_add_co_ci_u32_e64 v15, null, v21, v9, vcc_lo
	v_add_co_u32 v16, vcc_lo, v20, s0
	v_add_co_ci_u32_e64 v17, null, s1, v21, vcc_lo
	flat_store_dword v[14:15], v13
	flat_store_dword v[14:15], v12 offset:64
	flat_store_dword v[14:15], v11 offset:128
	;; [unrolled: 1-line block ×3, first 2 shown]
	v_add_co_u32 v12, vcc_lo, v16, s0
	v_add_co_ci_u32_e64 v13, null, s1, v17, vcc_lo
	v_add_co_u32 v10, vcc_lo, v16, v8
	v_add_co_ci_u32_e64 v11, null, v17, v9, vcc_lo
	;; [unrolled: 2-line block ×3, first 2 shown]
	flat_store_dword v[10:11], v7
	flat_store_dword v[10:11], v6 offset:64
	flat_store_dword v[10:11], v5 offset:128
	;; [unrolled: 1-line block ×3, first 2 shown]
	flat_store_dword v[8:9], v3
	flat_store_dword v[8:9], v2 offset:64
	flat_store_dword v[8:9], v1 offset:128
	;; [unrolled: 1-line block ×3, first 2 shown]
.LBB197_6:
	s_endpgm
.LBB197_7:
	s_branch .LBB197_5
	.section	.rodata,"a",@progbits
	.p2align	6, 0x0
	.amdhsa_kernel _ZN12_GLOBAL__N_127rocblas_gemm_batched_kernelIiLi16ELi16ELi64ELi64ELi4ELi64ELi4ELi4ELi64ELc78ELc84EKPKaKPKiKPiEEvlllT_PT11_llSB_llS9_PT12_llPT13_lli
		.amdhsa_group_segment_fixed_size 2048
		.amdhsa_private_segment_fixed_size 0
		.amdhsa_kernarg_size 140
		.amdhsa_user_sgpr_count 6
		.amdhsa_user_sgpr_private_segment_buffer 1
		.amdhsa_user_sgpr_dispatch_ptr 0
		.amdhsa_user_sgpr_queue_ptr 0
		.amdhsa_user_sgpr_kernarg_segment_ptr 1
		.amdhsa_user_sgpr_dispatch_id 0
		.amdhsa_user_sgpr_flat_scratch_init 0
		.amdhsa_user_sgpr_private_segment_size 0
		.amdhsa_wavefront_size32 1
		.amdhsa_uses_dynamic_stack 0
		.amdhsa_system_sgpr_private_segment_wavefront_offset 0
		.amdhsa_system_sgpr_workgroup_id_x 1
		.amdhsa_system_sgpr_workgroup_id_y 1
		.amdhsa_system_sgpr_workgroup_id_z 1
		.amdhsa_system_sgpr_workgroup_info 0
		.amdhsa_system_vgpr_workitem_id 1
		.amdhsa_next_free_vgpr 94
		.amdhsa_next_free_sgpr 38
		.amdhsa_reserve_vcc 1
		.amdhsa_reserve_flat_scratch 0
		.amdhsa_float_round_mode_32 0
		.amdhsa_float_round_mode_16_64 0
		.amdhsa_float_denorm_mode_32 3
		.amdhsa_float_denorm_mode_16_64 3
		.amdhsa_dx10_clamp 1
		.amdhsa_ieee_mode 1
		.amdhsa_fp16_overflow 0
		.amdhsa_workgroup_processor_mode 1
		.amdhsa_memory_ordered 1
		.amdhsa_forward_progress 1
		.amdhsa_shared_vgpr_count 0
		.amdhsa_exception_fp_ieee_invalid_op 0
		.amdhsa_exception_fp_denorm_src 0
		.amdhsa_exception_fp_ieee_div_zero 0
		.amdhsa_exception_fp_ieee_overflow 0
		.amdhsa_exception_fp_ieee_underflow 0
		.amdhsa_exception_fp_ieee_inexact 0
		.amdhsa_exception_int_div_zero 0
	.end_amdhsa_kernel
	.section	.text._ZN12_GLOBAL__N_127rocblas_gemm_batched_kernelIiLi16ELi16ELi64ELi64ELi4ELi64ELi4ELi4ELi64ELc78ELc84EKPKaKPKiKPiEEvlllT_PT11_llSB_llS9_PT12_llPT13_lli,"axG",@progbits,_ZN12_GLOBAL__N_127rocblas_gemm_batched_kernelIiLi16ELi16ELi64ELi64ELi4ELi64ELi4ELi4ELi64ELc78ELc84EKPKaKPKiKPiEEvlllT_PT11_llSB_llS9_PT12_llPT13_lli,comdat
.Lfunc_end197:
	.size	_ZN12_GLOBAL__N_127rocblas_gemm_batched_kernelIiLi16ELi16ELi64ELi64ELi4ELi64ELi4ELi4ELi64ELc78ELc84EKPKaKPKiKPiEEvlllT_PT11_llSB_llS9_PT12_llPT13_lli, .Lfunc_end197-_ZN12_GLOBAL__N_127rocblas_gemm_batched_kernelIiLi16ELi16ELi64ELi64ELi4ELi64ELi4ELi4ELi64ELc78ELc84EKPKaKPKiKPiEEvlllT_PT11_llSB_llS9_PT12_llPT13_lli
                                        ; -- End function
	.set _ZN12_GLOBAL__N_127rocblas_gemm_batched_kernelIiLi16ELi16ELi64ELi64ELi4ELi64ELi4ELi4ELi64ELc78ELc84EKPKaKPKiKPiEEvlllT_PT11_llSB_llS9_PT12_llPT13_lli.num_vgpr, 94
	.set _ZN12_GLOBAL__N_127rocblas_gemm_batched_kernelIiLi16ELi16ELi64ELi64ELi4ELi64ELi4ELi4ELi64ELc78ELc84EKPKaKPKiKPiEEvlllT_PT11_llSB_llS9_PT12_llPT13_lli.num_agpr, 0
	.set _ZN12_GLOBAL__N_127rocblas_gemm_batched_kernelIiLi16ELi16ELi64ELi64ELi4ELi64ELi4ELi4ELi64ELc78ELc84EKPKaKPKiKPiEEvlllT_PT11_llSB_llS9_PT12_llPT13_lli.numbered_sgpr, 38
	.set _ZN12_GLOBAL__N_127rocblas_gemm_batched_kernelIiLi16ELi16ELi64ELi64ELi4ELi64ELi4ELi4ELi64ELc78ELc84EKPKaKPKiKPiEEvlllT_PT11_llSB_llS9_PT12_llPT13_lli.num_named_barrier, 0
	.set _ZN12_GLOBAL__N_127rocblas_gemm_batched_kernelIiLi16ELi16ELi64ELi64ELi4ELi64ELi4ELi4ELi64ELc78ELc84EKPKaKPKiKPiEEvlllT_PT11_llSB_llS9_PT12_llPT13_lli.private_seg_size, 0
	.set _ZN12_GLOBAL__N_127rocblas_gemm_batched_kernelIiLi16ELi16ELi64ELi64ELi4ELi64ELi4ELi4ELi64ELc78ELc84EKPKaKPKiKPiEEvlllT_PT11_llSB_llS9_PT12_llPT13_lli.uses_vcc, 1
	.set _ZN12_GLOBAL__N_127rocblas_gemm_batched_kernelIiLi16ELi16ELi64ELi64ELi4ELi64ELi4ELi4ELi64ELc78ELc84EKPKaKPKiKPiEEvlllT_PT11_llSB_llS9_PT12_llPT13_lli.uses_flat_scratch, 0
	.set _ZN12_GLOBAL__N_127rocblas_gemm_batched_kernelIiLi16ELi16ELi64ELi64ELi4ELi64ELi4ELi4ELi64ELc78ELc84EKPKaKPKiKPiEEvlllT_PT11_llSB_llS9_PT12_llPT13_lli.has_dyn_sized_stack, 0
	.set _ZN12_GLOBAL__N_127rocblas_gemm_batched_kernelIiLi16ELi16ELi64ELi64ELi4ELi64ELi4ELi4ELi64ELc78ELc84EKPKaKPKiKPiEEvlllT_PT11_llSB_llS9_PT12_llPT13_lli.has_recursion, 0
	.set _ZN12_GLOBAL__N_127rocblas_gemm_batched_kernelIiLi16ELi16ELi64ELi64ELi4ELi64ELi4ELi4ELi64ELc78ELc84EKPKaKPKiKPiEEvlllT_PT11_llSB_llS9_PT12_llPT13_lli.has_indirect_call, 0
	.section	.AMDGPU.csdata,"",@progbits
; Kernel info:
; codeLenInByte = 2804
; TotalNumSgprs: 40
; NumVgprs: 94
; ScratchSize: 0
; MemoryBound: 0
; FloatMode: 240
; IeeeMode: 1
; LDSByteSize: 2048 bytes/workgroup (compile time only)
; SGPRBlocks: 0
; VGPRBlocks: 11
; NumSGPRsForWavesPerEU: 40
; NumVGPRsForWavesPerEU: 94
; Occupancy: 10
; WaveLimiterHint : 1
; COMPUTE_PGM_RSRC2:SCRATCH_EN: 0
; COMPUTE_PGM_RSRC2:USER_SGPR: 6
; COMPUTE_PGM_RSRC2:TRAP_HANDLER: 0
; COMPUTE_PGM_RSRC2:TGID_X_EN: 1
; COMPUTE_PGM_RSRC2:TGID_Y_EN: 1
; COMPUTE_PGM_RSRC2:TGID_Z_EN: 1
; COMPUTE_PGM_RSRC2:TIDIG_COMP_CNT: 1
	.section	.text._ZN12_GLOBAL__N_127rocblas_gemm_batched_kernelIiLi16ELi16ELi64ELi64ELi4ELi64ELi4ELi4ELi64ELc84ELc84EKPKaKPKiKPiEEvlllT_PT11_llSB_llS9_PT12_llPT13_lli,"axG",@progbits,_ZN12_GLOBAL__N_127rocblas_gemm_batched_kernelIiLi16ELi16ELi64ELi64ELi4ELi64ELi4ELi4ELi64ELc84ELc84EKPKaKPKiKPiEEvlllT_PT11_llSB_llS9_PT12_llPT13_lli,comdat
	.globl	_ZN12_GLOBAL__N_127rocblas_gemm_batched_kernelIiLi16ELi16ELi64ELi64ELi4ELi64ELi4ELi4ELi64ELc84ELc84EKPKaKPKiKPiEEvlllT_PT11_llSB_llS9_PT12_llPT13_lli ; -- Begin function _ZN12_GLOBAL__N_127rocblas_gemm_batched_kernelIiLi16ELi16ELi64ELi64ELi4ELi64ELi4ELi4ELi64ELc84ELc84EKPKaKPKiKPiEEvlllT_PT11_llSB_llS9_PT12_llPT13_lli
	.p2align	8
	.type	_ZN12_GLOBAL__N_127rocblas_gemm_batched_kernelIiLi16ELi16ELi64ELi64ELi4ELi64ELi4ELi4ELi64ELc84ELc84EKPKaKPKiKPiEEvlllT_PT11_llSB_llS9_PT12_llPT13_lli,@function
_ZN12_GLOBAL__N_127rocblas_gemm_batched_kernelIiLi16ELi16ELi64ELi64ELi4ELi64ELi4ELi4ELi64ELc84ELc84EKPKaKPKiKPiEEvlllT_PT11_llSB_llS9_PT12_llPT13_lli: ; @_ZN12_GLOBAL__N_127rocblas_gemm_batched_kernelIiLi16ELi16ELi64ELi64ELi4ELi64ELi4ELi4ELi64ELc84ELc84EKPKaKPKiKPiEEvlllT_PT11_llSB_llS9_PT12_llPT13_lli
; %bb.0:
	s_clause 0x1
	s_load_dwordx8 s[12:19], s[4:5], 0x58
	s_load_dwordx2 s[28:29], s[4:5], 0x10
	s_mov_b32 s9, 0
	s_mov_b32 s0, s7
	s_lshl_b64 s[34:35], s[8:9], 3
	s_load_dwordx4 s[8:11], s[4:5], 0x78
	v_mov_b32_e32 v4, 0
	v_mov_b32_e32 v16, 0
	;; [unrolled: 1-line block ×14, first 2 shown]
	s_waitcnt lgkmcnt(0)
	s_add_u32 s2, s12, s34
	s_addc_u32 s3, s13, s35
	s_add_u32 s18, s18, s34
	s_addc_u32 s19, s19, s35
	s_load_dwordx2 s[12:13], s[2:3], 0x0
	s_load_dwordx2 s[18:19], s[18:19], 0x0
	v_cmp_lt_i64_e64 s20, s[28:29], 1
	v_mov_b32_e32 v9, 0
	v_mov_b32_e32 v8, 0
	s_ashr_i32 s7, s6, 31
	s_ashr_i32 s1, s0, 31
	s_lshl_b64 s[6:7], s[6:7], 6
	s_and_b32 vcc_lo, exec_lo, s20
	s_lshl_b64 s[30:31], s[0:1], 6
	s_cbranch_vccnz .LBB198_3
; %bb.1:
	s_clause 0x1
	s_load_dwordx8 s[20:27], s[4:5], 0x20
	s_load_dwordx4 s[0:3], s[4:5], 0x40
	v_lshlrev_b32_e32 v4, 4, v1
	v_and_b32_e32 v9, 3, v0
	v_mov_b32_e32 v8, 0
	v_lshlrev_b32_e32 v5, 2, v0
	v_mov_b32_e32 v18, 0
	v_add_nc_u32_e32 v2, v4, v0
	v_lshlrev_b32_e32 v3, 2, v9
	v_add_nc_u32_e32 v17, 0x400, v4
	v_mov_b32_e32 v19, 0
	v_mov_b32_e32 v20, 0
	v_lshrrev_b32_e32 v7, 2, v2
	v_and_b32_e32 v6, 63, v2
	v_lshrrev_b32_e32 v10, 6, v2
	v_mov_b32_e32 v21, 0
	v_mov_b32_e32 v16, 0
	v_lshl_or_b32 v12, v7, 4, v3
	v_lshlrev_b32_e32 v11, 2, v6
	s_waitcnt lgkmcnt(0)
	s_add_u32 s20, s20, s34
	v_add_co_u32 v2, s2, s2, v7
	s_addc_u32 s21, s21, s35
	v_add_co_ci_u32_e64 v3, null, s3, 0, s2
	s_add_u32 s2, s26, s34
	s_addc_u32 s3, s27, s35
	v_add_co_u32 v13, s26, s6, v6
	v_add_co_ci_u32_e64 v14, null, s7, 0, s26
	s_load_dwordx2 s[26:27], s[2:3], 0x0
	s_load_dwordx2 s[20:21], s[20:21], 0x0
	v_add_co_u32 v6, s2, s24, v10
	v_mad_u64_u32 v[2:3], null, s0, v9, v[2:3]
	v_add_co_ci_u32_e64 v7, null, s25, 0, s2
	v_mul_lo_u32 v14, s22, v14
	v_mul_lo_u32 v15, s23, v13
	s_lshl_b64 s[2:3], s[0:1], 2
	v_mad_u64_u32 v[6:7], null, s22, v13, v[6:7]
	v_mad_u64_u32 v[3:4], null, s1, v9, v[3:4]
	v_lshl_or_b32 v22, v10, 8, v11
	v_add_nc_u32_e32 v23, 0x400, v12
	v_mov_b32_e32 v9, 0
	v_mov_b32_e32 v10, 0
	v_add3_u32 v4, v15, v7, v14
	s_waitcnt lgkmcnt(0)
	s_add_u32 s0, s26, s30
	s_addc_u32 s1, s27, s31
	v_add_co_u32 v2, vcc_lo, s0, v2
	v_add_co_ci_u32_e64 v3, null, s1, v3, vcc_lo
	v_add_co_u32 v24, vcc_lo, s20, v6
	v_add_co_ci_u32_e64 v25, null, s21, v4, vcc_lo
	v_mov_b32_e32 v6, 0
	v_mov_b32_e32 v7, 0
	v_mov_b32_e32 v11, 0
	v_mov_b32_e32 v12, 0
	v_mov_b32_e32 v13, 0
	v_mov_b32_e32 v14, 0
	v_mov_b32_e32 v15, 0
	v_mov_b32_e32 v4, 0
	s_mov_b64 s[20:21], 0
.LBB198_2:                              ; =>This Inner Loop Header: Depth=1
	v_add_co_u32 v26, vcc_lo, v24, s20
	v_add_co_ci_u32_e64 v27, null, s21, v25, vcc_lo
	s_add_u32 s20, s20, 4
	s_addc_u32 s21, s21, 0
	v_cmp_lt_i64_e64 s0, s[20:21], s[28:29]
	flat_load_sbyte v26, v[26:27]
	s_and_b32 vcc_lo, exec_lo, s0
	s_waitcnt vmcnt(0) lgkmcnt(0)
	ds_write_b32 v22, v26
	flat_load_sbyte v26, v[2:3]
	v_add_co_u32 v2, s0, v2, s2
	v_add_co_ci_u32_e64 v3, null, s3, v3, s0
	s_waitcnt vmcnt(0) lgkmcnt(0)
	ds_write_b32 v23, v26
	s_waitcnt lgkmcnt(0)
	s_barrier
	buffer_gl0_inv
	ds_read_b128 v[26:29], v17
	ds_read2_b32 v[42:43], v5 offset1:16
	ds_read2_b32 v[44:45], v5 offset0:32 offset1:48
	ds_read2_b32 v[46:47], v5 offset0:64 offset1:80
	;; [unrolled: 1-line block ×7, first 2 shown]
	ds_read_b128 v[30:33], v17 offset:256
	ds_read_b128 v[34:37], v17 offset:512
	ds_read_b128 v[38:41], v17 offset:768
	s_waitcnt lgkmcnt(0)
	s_barrier
	buffer_gl0_inv
	v_mul_lo_u32 v58, v26, v42
	v_mul_lo_u32 v59, v26, v43
	;; [unrolled: 1-line block ×64, first 2 shown]
	v_add3_u32 v4, v4, v58, v61
	v_add3_u32 v16, v16, v59, v62
	;; [unrolled: 1-line block ×32, first 2 shown]
	s_cbranch_vccnz .LBB198_2
.LBB198_3:
	s_clause 0x1
	s_load_dword s1, s[4:5], 0x18
	s_load_dword s0, s[4:5], 0x50
	v_add_co_u32 v22, s2, s30, v1
	v_add_co_ci_u32_e64 v23, null, s31, 0, s2
	v_add_co_u32 v24, s2, s6, v0
	v_add_co_ci_u32_e64 v25, null, s7, 0, s2
	s_lshl_b64 s[2:3], s[10:11], 2
	s_waitcnt lgkmcnt(0)
	v_mul_lo_u32 v17, v4, s1
	v_mul_lo_u32 v16, v16, s1
	;; [unrolled: 1-line block ×18, first 2 shown]
	v_lshlrev_b64 v[8:9], 2, v[24:25]
	s_add_u32 s1, s18, s2
	s_addc_u32 s2, s19, s3
	s_cmp_eq_u32 s0, 0
	s_mov_b32 s3, 0
	s_cbranch_scc1 .LBB198_7
; %bb.4:
	v_mul_lo_u32 v23, v23, s14
	v_mul_lo_u32 v24, v22, s15
	v_mad_u64_u32 v[20:21], null, v22, s14, 0
	s_lshl_b64 s[4:5], s[16:17], 2
	s_add_u32 s4, s12, s4
	s_addc_u32 s5, s13, s5
	s_lshl_b64 s[6:7], s[8:9], 6
	v_add3_u32 v21, v21, v24, v23
	v_mad_u64_u32 v[23:24], null, v22, s8, 0
	v_lshlrev_b64 v[20:21], 2, v[20:21]
	v_add3_u32 v24, v24, v19, v18
	v_add_co_u32 v28, vcc_lo, s4, v20
	v_add_co_ci_u32_e64 v29, null, s5, v21, vcc_lo
	v_lshlrev_b64 v[23:24], 2, v[23:24]
	v_add_co_u32 v20, vcc_lo, v28, v8
	v_add_co_ci_u32_e64 v21, null, v29, v9, vcc_lo
	s_lshl_b64 s[4:5], s[14:15], 6
	v_add_co_u32 v30, vcc_lo, s1, v23
	flat_load_dword v25, v[20:21]
	v_add_co_ci_u32_e64 v31, null, s2, v24, vcc_lo
	s_waitcnt vmcnt(0) lgkmcnt(0)
	v_mad_u64_u32 v[23:24], null, v25, s0, v[17:18]
	v_add_co_u32 v24, vcc_lo, v30, v8
	v_add_co_ci_u32_e64 v25, null, v31, v9, vcc_lo
	v_add_co_u32 v28, vcc_lo, v28, s4
	v_add_co_ci_u32_e64 v29, null, s5, v29, vcc_lo
	flat_store_dword v[24:25], v23
	flat_load_dword v23, v[20:21] offset:64
	s_waitcnt vmcnt(0) lgkmcnt(0)
	v_mad_u64_u32 v[26:27], null, v23, s0, v[16:17]
	flat_store_dword v[24:25], v26 offset:64
	flat_load_dword v23, v[20:21] offset:128
	s_waitcnt vmcnt(0) lgkmcnt(0)
	v_mad_u64_u32 v[26:27], null, v23, s0, v[15:16]
	flat_store_dword v[24:25], v26 offset:128
	flat_load_dword v20, v[20:21] offset:192
	v_add_co_u32 v26, vcc_lo, v28, v8
	v_add_co_ci_u32_e64 v27, null, v29, v9, vcc_lo
	v_add_co_u32 v30, vcc_lo, v30, s6
	v_add_co_ci_u32_e64 v31, null, s7, v31, vcc_lo
	v_add_co_u32 v23, vcc_lo, v30, v8
	s_waitcnt vmcnt(0) lgkmcnt(0)
	v_mad_u64_u32 v[20:21], null, v20, s0, v[14:15]
	flat_store_dword v[24:25], v20 offset:192
	flat_load_dword v20, v[26:27]
	v_add_co_ci_u32_e64 v24, null, v31, v9, vcc_lo
	s_waitcnt vmcnt(0) lgkmcnt(0)
	v_mad_u64_u32 v[20:21], null, v20, s0, v[13:14]
	flat_store_dword v[23:24], v20
	flat_load_dword v20, v[26:27] offset:64
	s_waitcnt vmcnt(0) lgkmcnt(0)
	v_mad_u64_u32 v[20:21], null, v20, s0, v[12:13]
	flat_store_dword v[23:24], v20 offset:64
	flat_load_dword v20, v[26:27] offset:128
	s_waitcnt vmcnt(0) lgkmcnt(0)
	v_mad_u64_u32 v[20:21], null, v20, s0, v[11:12]
	flat_store_dword v[23:24], v20 offset:128
	flat_load_dword v20, v[26:27] offset:192
	v_add_co_u32 v27, vcc_lo, v28, s4
	v_add_co_ci_u32_e64 v28, null, s5, v29, vcc_lo
	v_add_co_u32 v25, vcc_lo, v27, v8
	v_add_co_ci_u32_e64 v26, null, v28, v9, vcc_lo
	;; [unrolled: 2-line block ×3, first 2 shown]
	s_waitcnt vmcnt(0) lgkmcnt(0)
	v_mad_u64_u32 v[20:21], null, v20, s0, v[10:11]
	flat_store_dword v[23:24], v20 offset:192
	flat_load_dword v20, v[25:26]
	v_add_co_u32 v23, vcc_lo, v29, v8
	v_add_co_ci_u32_e64 v24, null, v30, v9, vcc_lo
	s_waitcnt vmcnt(0) lgkmcnt(0)
	v_mad_u64_u32 v[20:21], null, v20, s0, v[7:8]
	flat_store_dword v[23:24], v20
	flat_load_dword v20, v[25:26] offset:64
	s_waitcnt vmcnt(0) lgkmcnt(0)
	v_mad_u64_u32 v[20:21], null, v20, s0, v[6:7]
	flat_store_dword v[23:24], v20 offset:64
	flat_load_dword v20, v[25:26] offset:128
	s_waitcnt vmcnt(0) lgkmcnt(0)
	v_mad_u64_u32 v[20:21], null, v20, s0, v[5:6]
	flat_store_dword v[23:24], v20 offset:128
	flat_load_dword v20, v[25:26] offset:192
	v_add_co_u32 v25, vcc_lo, v27, s4
	v_add_co_ci_u32_e64 v26, null, s5, v28, vcc_lo
	v_add_co_u32 v25, vcc_lo, v25, v8
	v_add_co_ci_u32_e64 v26, null, v26, v9, vcc_lo
	s_waitcnt vmcnt(0) lgkmcnt(0)
	v_mad_u64_u32 v[20:21], null, v20, s0, v[4:5]
	flat_store_dword v[23:24], v20 offset:192
	flat_load_dword v20, v[25:26]
	v_add_co_u32 v23, vcc_lo, v29, s6
	v_add_co_ci_u32_e64 v24, null, s7, v30, vcc_lo
	v_add_co_u32 v23, vcc_lo, v23, v8
	v_add_co_ci_u32_e64 v24, null, v24, v9, vcc_lo
	s_waitcnt vmcnt(0) lgkmcnt(0)
	v_mad_u64_u32 v[20:21], null, v20, s0, v[3:4]
	flat_store_dword v[23:24], v20
	flat_load_dword v20, v[25:26] offset:64
	s_waitcnt vmcnt(0) lgkmcnt(0)
	v_mad_u64_u32 v[20:21], null, v20, s0, v[2:3]
	flat_store_dword v[23:24], v20 offset:64
	flat_load_dword v20, v[25:26] offset:128
	s_waitcnt vmcnt(0) lgkmcnt(0)
	v_mad_u64_u32 v[20:21], null, v20, s0, v[1:2]
	flat_store_dword v[23:24], v20 offset:128
	;; [unrolled: 4-line block ×3, first 2 shown]
	s_andn2_b32 vcc_lo, exec_lo, s3
	s_cbranch_vccnz .LBB198_6
.LBB198_5:
	v_mad_u64_u32 v[20:21], null, v22, s8, 0
	v_add3_u32 v21, v21, v19, v18
	v_lshlrev_b64 v[18:19], 2, v[20:21]
	v_add_co_u32 v20, vcc_lo, s1, v18
	v_add_co_ci_u32_e64 v21, null, s2, v19, vcc_lo
	s_lshl_b64 s[0:1], s[8:9], 6
	v_add_co_u32 v18, vcc_lo, v20, v8
	v_add_co_ci_u32_e64 v19, null, v21, v9, vcc_lo
	v_add_co_u32 v20, vcc_lo, v20, s0
	v_add_co_ci_u32_e64 v21, null, s1, v21, vcc_lo
	flat_store_dword v[18:19], v17
	flat_store_dword v[18:19], v16 offset:64
	flat_store_dword v[18:19], v15 offset:128
	;; [unrolled: 1-line block ×3, first 2 shown]
	v_add_co_u32 v14, vcc_lo, v20, v8
	v_add_co_ci_u32_e64 v15, null, v21, v9, vcc_lo
	v_add_co_u32 v16, vcc_lo, v20, s0
	v_add_co_ci_u32_e64 v17, null, s1, v21, vcc_lo
	flat_store_dword v[14:15], v13
	flat_store_dword v[14:15], v12 offset:64
	flat_store_dword v[14:15], v11 offset:128
	;; [unrolled: 1-line block ×3, first 2 shown]
	v_add_co_u32 v12, vcc_lo, v16, s0
	v_add_co_ci_u32_e64 v13, null, s1, v17, vcc_lo
	v_add_co_u32 v10, vcc_lo, v16, v8
	v_add_co_ci_u32_e64 v11, null, v17, v9, vcc_lo
	;; [unrolled: 2-line block ×3, first 2 shown]
	flat_store_dword v[10:11], v7
	flat_store_dword v[10:11], v6 offset:64
	flat_store_dword v[10:11], v5 offset:128
	;; [unrolled: 1-line block ×3, first 2 shown]
	flat_store_dword v[8:9], v3
	flat_store_dword v[8:9], v2 offset:64
	flat_store_dword v[8:9], v1 offset:128
	;; [unrolled: 1-line block ×3, first 2 shown]
.LBB198_6:
	s_endpgm
.LBB198_7:
	s_branch .LBB198_5
	.section	.rodata,"a",@progbits
	.p2align	6, 0x0
	.amdhsa_kernel _ZN12_GLOBAL__N_127rocblas_gemm_batched_kernelIiLi16ELi16ELi64ELi64ELi4ELi64ELi4ELi4ELi64ELc84ELc84EKPKaKPKiKPiEEvlllT_PT11_llSB_llS9_PT12_llPT13_lli
		.amdhsa_group_segment_fixed_size 2048
		.amdhsa_private_segment_fixed_size 0
		.amdhsa_kernarg_size 140
		.amdhsa_user_sgpr_count 6
		.amdhsa_user_sgpr_private_segment_buffer 1
		.amdhsa_user_sgpr_dispatch_ptr 0
		.amdhsa_user_sgpr_queue_ptr 0
		.amdhsa_user_sgpr_kernarg_segment_ptr 1
		.amdhsa_user_sgpr_dispatch_id 0
		.amdhsa_user_sgpr_flat_scratch_init 0
		.amdhsa_user_sgpr_private_segment_size 0
		.amdhsa_wavefront_size32 1
		.amdhsa_uses_dynamic_stack 0
		.amdhsa_system_sgpr_private_segment_wavefront_offset 0
		.amdhsa_system_sgpr_workgroup_id_x 1
		.amdhsa_system_sgpr_workgroup_id_y 1
		.amdhsa_system_sgpr_workgroup_id_z 1
		.amdhsa_system_sgpr_workgroup_info 0
		.amdhsa_system_vgpr_workitem_id 1
		.amdhsa_next_free_vgpr 94
		.amdhsa_next_free_sgpr 36
		.amdhsa_reserve_vcc 1
		.amdhsa_reserve_flat_scratch 0
		.amdhsa_float_round_mode_32 0
		.amdhsa_float_round_mode_16_64 0
		.amdhsa_float_denorm_mode_32 3
		.amdhsa_float_denorm_mode_16_64 3
		.amdhsa_dx10_clamp 1
		.amdhsa_ieee_mode 1
		.amdhsa_fp16_overflow 0
		.amdhsa_workgroup_processor_mode 1
		.amdhsa_memory_ordered 1
		.amdhsa_forward_progress 1
		.amdhsa_shared_vgpr_count 0
		.amdhsa_exception_fp_ieee_invalid_op 0
		.amdhsa_exception_fp_denorm_src 0
		.amdhsa_exception_fp_ieee_div_zero 0
		.amdhsa_exception_fp_ieee_overflow 0
		.amdhsa_exception_fp_ieee_underflow 0
		.amdhsa_exception_fp_ieee_inexact 0
		.amdhsa_exception_int_div_zero 0
	.end_amdhsa_kernel
	.section	.text._ZN12_GLOBAL__N_127rocblas_gemm_batched_kernelIiLi16ELi16ELi64ELi64ELi4ELi64ELi4ELi4ELi64ELc84ELc84EKPKaKPKiKPiEEvlllT_PT11_llSB_llS9_PT12_llPT13_lli,"axG",@progbits,_ZN12_GLOBAL__N_127rocblas_gemm_batched_kernelIiLi16ELi16ELi64ELi64ELi4ELi64ELi4ELi4ELi64ELc84ELc84EKPKaKPKiKPiEEvlllT_PT11_llSB_llS9_PT12_llPT13_lli,comdat
.Lfunc_end198:
	.size	_ZN12_GLOBAL__N_127rocblas_gemm_batched_kernelIiLi16ELi16ELi64ELi64ELi4ELi64ELi4ELi4ELi64ELc84ELc84EKPKaKPKiKPiEEvlllT_PT11_llSB_llS9_PT12_llPT13_lli, .Lfunc_end198-_ZN12_GLOBAL__N_127rocblas_gemm_batched_kernelIiLi16ELi16ELi64ELi64ELi4ELi64ELi4ELi4ELi64ELc84ELc84EKPKaKPKiKPiEEvlllT_PT11_llSB_llS9_PT12_llPT13_lli
                                        ; -- End function
	.set _ZN12_GLOBAL__N_127rocblas_gemm_batched_kernelIiLi16ELi16ELi64ELi64ELi4ELi64ELi4ELi4ELi64ELc84ELc84EKPKaKPKiKPiEEvlllT_PT11_llSB_llS9_PT12_llPT13_lli.num_vgpr, 94
	.set _ZN12_GLOBAL__N_127rocblas_gemm_batched_kernelIiLi16ELi16ELi64ELi64ELi4ELi64ELi4ELi4ELi64ELc84ELc84EKPKaKPKiKPiEEvlllT_PT11_llSB_llS9_PT12_llPT13_lli.num_agpr, 0
	.set _ZN12_GLOBAL__N_127rocblas_gemm_batched_kernelIiLi16ELi16ELi64ELi64ELi4ELi64ELi4ELi4ELi64ELc84ELc84EKPKaKPKiKPiEEvlllT_PT11_llSB_llS9_PT12_llPT13_lli.numbered_sgpr, 36
	.set _ZN12_GLOBAL__N_127rocblas_gemm_batched_kernelIiLi16ELi16ELi64ELi64ELi4ELi64ELi4ELi4ELi64ELc84ELc84EKPKaKPKiKPiEEvlllT_PT11_llSB_llS9_PT12_llPT13_lli.num_named_barrier, 0
	.set _ZN12_GLOBAL__N_127rocblas_gemm_batched_kernelIiLi16ELi16ELi64ELi64ELi4ELi64ELi4ELi4ELi64ELc84ELc84EKPKaKPKiKPiEEvlllT_PT11_llSB_llS9_PT12_llPT13_lli.private_seg_size, 0
	.set _ZN12_GLOBAL__N_127rocblas_gemm_batched_kernelIiLi16ELi16ELi64ELi64ELi4ELi64ELi4ELi4ELi64ELc84ELc84EKPKaKPKiKPiEEvlllT_PT11_llSB_llS9_PT12_llPT13_lli.uses_vcc, 1
	.set _ZN12_GLOBAL__N_127rocblas_gemm_batched_kernelIiLi16ELi16ELi64ELi64ELi4ELi64ELi4ELi4ELi64ELc84ELc84EKPKaKPKiKPiEEvlllT_PT11_llSB_llS9_PT12_llPT13_lli.uses_flat_scratch, 0
	.set _ZN12_GLOBAL__N_127rocblas_gemm_batched_kernelIiLi16ELi16ELi64ELi64ELi4ELi64ELi4ELi4ELi64ELc84ELc84EKPKaKPKiKPiEEvlllT_PT11_llSB_llS9_PT12_llPT13_lli.has_dyn_sized_stack, 0
	.set _ZN12_GLOBAL__N_127rocblas_gemm_batched_kernelIiLi16ELi16ELi64ELi64ELi4ELi64ELi4ELi4ELi64ELc84ELc84EKPKaKPKiKPiEEvlllT_PT11_llSB_llS9_PT12_llPT13_lli.has_recursion, 0
	.set _ZN12_GLOBAL__N_127rocblas_gemm_batched_kernelIiLi16ELi16ELi64ELi64ELi4ELi64ELi4ELi4ELi64ELc84ELc84EKPKaKPKiKPiEEvlllT_PT11_llSB_llS9_PT12_llPT13_lli.has_indirect_call, 0
	.section	.AMDGPU.csdata,"",@progbits
; Kernel info:
; codeLenInByte = 2820
; TotalNumSgprs: 38
; NumVgprs: 94
; ScratchSize: 0
; MemoryBound: 0
; FloatMode: 240
; IeeeMode: 1
; LDSByteSize: 2048 bytes/workgroup (compile time only)
; SGPRBlocks: 0
; VGPRBlocks: 11
; NumSGPRsForWavesPerEU: 38
; NumVGPRsForWavesPerEU: 94
; Occupancy: 10
; WaveLimiterHint : 1
; COMPUTE_PGM_RSRC2:SCRATCH_EN: 0
; COMPUTE_PGM_RSRC2:USER_SGPR: 6
; COMPUTE_PGM_RSRC2:TRAP_HANDLER: 0
; COMPUTE_PGM_RSRC2:TGID_X_EN: 1
; COMPUTE_PGM_RSRC2:TGID_Y_EN: 1
; COMPUTE_PGM_RSRC2:TGID_Z_EN: 1
; COMPUTE_PGM_RSRC2:TIDIG_COMP_CNT: 1
	.section	.text._ZN12_GLOBAL__N_127rocblas_gemm_batched_kernelIiLi16ELi16ELi64ELi64ELi4ELi64ELi4ELi4ELi64ELc67ELc67EKPKaKPKiKPiEEvlllT_PT11_llSB_llS9_PT12_llPT13_lli,"axG",@progbits,_ZN12_GLOBAL__N_127rocblas_gemm_batched_kernelIiLi16ELi16ELi64ELi64ELi4ELi64ELi4ELi4ELi64ELc67ELc67EKPKaKPKiKPiEEvlllT_PT11_llSB_llS9_PT12_llPT13_lli,comdat
	.globl	_ZN12_GLOBAL__N_127rocblas_gemm_batched_kernelIiLi16ELi16ELi64ELi64ELi4ELi64ELi4ELi4ELi64ELc67ELc67EKPKaKPKiKPiEEvlllT_PT11_llSB_llS9_PT12_llPT13_lli ; -- Begin function _ZN12_GLOBAL__N_127rocblas_gemm_batched_kernelIiLi16ELi16ELi64ELi64ELi4ELi64ELi4ELi4ELi64ELc67ELc67EKPKaKPKiKPiEEvlllT_PT11_llSB_llS9_PT12_llPT13_lli
	.p2align	8
	.type	_ZN12_GLOBAL__N_127rocblas_gemm_batched_kernelIiLi16ELi16ELi64ELi64ELi4ELi64ELi4ELi4ELi64ELc67ELc67EKPKaKPKiKPiEEvlllT_PT11_llSB_llS9_PT12_llPT13_lli,@function
_ZN12_GLOBAL__N_127rocblas_gemm_batched_kernelIiLi16ELi16ELi64ELi64ELi4ELi64ELi4ELi4ELi64ELc67ELc67EKPKaKPKiKPiEEvlllT_PT11_llSB_llS9_PT12_llPT13_lli: ; @_ZN12_GLOBAL__N_127rocblas_gemm_batched_kernelIiLi16ELi16ELi64ELi64ELi4ELi64ELi4ELi4ELi64ELc67ELc67EKPKaKPKiKPiEEvlllT_PT11_llSB_llS9_PT12_llPT13_lli
; %bb.0:
	s_clause 0x1
	s_load_dwordx8 s[12:19], s[4:5], 0x58
	s_load_dwordx2 s[28:29], s[4:5], 0x10
	s_mov_b32 s9, 0
	s_mov_b32 s0, s7
	s_lshl_b64 s[34:35], s[8:9], 3
	s_load_dwordx4 s[8:11], s[4:5], 0x78
	v_mov_b32_e32 v4, 0
	v_mov_b32_e32 v16, 0
	;; [unrolled: 1-line block ×14, first 2 shown]
	s_waitcnt lgkmcnt(0)
	s_add_u32 s2, s12, s34
	s_addc_u32 s3, s13, s35
	s_add_u32 s18, s18, s34
	s_addc_u32 s19, s19, s35
	s_load_dwordx2 s[12:13], s[2:3], 0x0
	s_load_dwordx2 s[18:19], s[18:19], 0x0
	v_cmp_lt_i64_e64 s20, s[28:29], 1
	v_mov_b32_e32 v9, 0
	v_mov_b32_e32 v8, 0
	s_ashr_i32 s7, s6, 31
	s_ashr_i32 s1, s0, 31
	s_lshl_b64 s[6:7], s[6:7], 6
	s_and_b32 vcc_lo, exec_lo, s20
	s_lshl_b64 s[30:31], s[0:1], 6
	s_cbranch_vccnz .LBB199_3
; %bb.1:
	s_clause 0x1
	s_load_dwordx8 s[20:27], s[4:5], 0x20
	s_load_dwordx4 s[0:3], s[4:5], 0x40
	v_lshlrev_b32_e32 v4, 4, v1
	v_and_b32_e32 v9, 3, v0
	v_mov_b32_e32 v8, 0
	v_lshlrev_b32_e32 v5, 2, v0
	v_mov_b32_e32 v18, 0
	v_add_nc_u32_e32 v2, v4, v0
	v_lshlrev_b32_e32 v3, 2, v9
	v_add_nc_u32_e32 v17, 0x400, v4
	v_mov_b32_e32 v19, 0
	v_mov_b32_e32 v20, 0
	v_lshrrev_b32_e32 v7, 2, v2
	v_and_b32_e32 v6, 63, v2
	v_lshrrev_b32_e32 v10, 6, v2
	v_mov_b32_e32 v21, 0
	v_mov_b32_e32 v16, 0
	v_lshl_or_b32 v12, v7, 4, v3
	v_lshlrev_b32_e32 v11, 2, v6
	s_waitcnt lgkmcnt(0)
	s_add_u32 s20, s20, s34
	v_add_co_u32 v2, s2, s2, v7
	s_addc_u32 s21, s21, s35
	v_add_co_ci_u32_e64 v3, null, s3, 0, s2
	s_add_u32 s2, s26, s34
	s_addc_u32 s3, s27, s35
	v_add_co_u32 v13, s26, s6, v6
	v_add_co_ci_u32_e64 v14, null, s7, 0, s26
	s_load_dwordx2 s[26:27], s[2:3], 0x0
	s_load_dwordx2 s[20:21], s[20:21], 0x0
	v_add_co_u32 v6, s2, s24, v10
	v_mad_u64_u32 v[2:3], null, s0, v9, v[2:3]
	v_add_co_ci_u32_e64 v7, null, s25, 0, s2
	v_mul_lo_u32 v14, s22, v14
	v_mul_lo_u32 v15, s23, v13
	s_lshl_b64 s[2:3], s[0:1], 2
	v_mad_u64_u32 v[6:7], null, s22, v13, v[6:7]
	v_mad_u64_u32 v[3:4], null, s1, v9, v[3:4]
	v_lshl_or_b32 v22, v10, 8, v11
	v_add_nc_u32_e32 v23, 0x400, v12
	v_mov_b32_e32 v9, 0
	v_mov_b32_e32 v10, 0
	v_add3_u32 v4, v15, v7, v14
	s_waitcnt lgkmcnt(0)
	s_add_u32 s0, s26, s30
	s_addc_u32 s1, s27, s31
	v_add_co_u32 v2, vcc_lo, s0, v2
	v_add_co_ci_u32_e64 v3, null, s1, v3, vcc_lo
	v_add_co_u32 v24, vcc_lo, s20, v6
	v_add_co_ci_u32_e64 v25, null, s21, v4, vcc_lo
	v_mov_b32_e32 v6, 0
	v_mov_b32_e32 v7, 0
	;; [unrolled: 1-line block ×8, first 2 shown]
	s_mov_b64 s[20:21], 0
.LBB199_2:                              ; =>This Inner Loop Header: Depth=1
	v_add_co_u32 v26, vcc_lo, v24, s20
	v_add_co_ci_u32_e64 v27, null, s21, v25, vcc_lo
	s_add_u32 s20, s20, 4
	s_addc_u32 s21, s21, 0
	v_cmp_lt_i64_e64 s0, s[20:21], s[28:29]
	flat_load_sbyte v26, v[26:27]
	s_and_b32 vcc_lo, exec_lo, s0
	s_waitcnt vmcnt(0) lgkmcnt(0)
	ds_write_b32 v22, v26
	flat_load_sbyte v26, v[2:3]
	v_add_co_u32 v2, s0, v2, s2
	v_add_co_ci_u32_e64 v3, null, s3, v3, s0
	s_waitcnt vmcnt(0) lgkmcnt(0)
	ds_write_b32 v23, v26
	s_waitcnt lgkmcnt(0)
	s_barrier
	buffer_gl0_inv
	ds_read_b128 v[26:29], v17
	ds_read2_b32 v[42:43], v5 offset1:16
	ds_read2_b32 v[44:45], v5 offset0:32 offset1:48
	ds_read2_b32 v[46:47], v5 offset0:64 offset1:80
	;; [unrolled: 1-line block ×7, first 2 shown]
	ds_read_b128 v[30:33], v17 offset:256
	ds_read_b128 v[34:37], v17 offset:512
	;; [unrolled: 1-line block ×3, first 2 shown]
	s_waitcnt lgkmcnt(0)
	s_barrier
	buffer_gl0_inv
	v_mul_lo_u32 v58, v26, v42
	v_mul_lo_u32 v59, v26, v43
	v_mul_lo_u32 v60, v26, v44
	v_mul_lo_u32 v26, v26, v45
	v_mul_lo_u32 v61, v27, v46
	v_mul_lo_u32 v62, v27, v47
	v_mul_lo_u32 v63, v27, v48
	v_mul_lo_u32 v27, v27, v49
	v_mul_lo_u32 v70, v30, v42
	v_mul_lo_u32 v71, v30, v43
	v_mul_lo_u32 v72, v30, v44
	v_mul_lo_u32 v30, v30, v45
	v_mul_lo_u32 v73, v31, v46
	v_mul_lo_u32 v74, v31, v47
	v_mul_lo_u32 v75, v31, v48
	v_mul_lo_u32 v31, v31, v49
	v_mul_lo_u32 v82, v34, v42
	v_mul_lo_u32 v83, v34, v43
	v_mul_lo_u32 v84, v34, v44
	v_mul_lo_u32 v34, v34, v45
	v_mul_lo_u32 v85, v35, v46
	v_mul_lo_u32 v86, v35, v47
	v_mul_lo_u32 v87, v35, v48
	v_mul_lo_u32 v35, v35, v49
	v_mul_lo_u32 v42, v38, v42
	v_mul_lo_u32 v43, v38, v43
	v_mul_lo_u32 v44, v38, v44
	v_mul_lo_u32 v38, v38, v45
	v_mul_lo_u32 v45, v39, v46
	v_mul_lo_u32 v46, v39, v47
	v_mul_lo_u32 v47, v39, v48
	v_mul_lo_u32 v39, v39, v49
	v_mul_lo_u32 v64, v28, v50
	v_mul_lo_u32 v65, v28, v51
	v_mul_lo_u32 v66, v28, v52
	v_mul_lo_u32 v28, v28, v53
	v_mul_lo_u32 v67, v29, v54
	v_mul_lo_u32 v68, v29, v55
	v_mul_lo_u32 v69, v29, v56
	v_mul_lo_u32 v29, v29, v57
	v_mul_lo_u32 v76, v32, v50
	v_mul_lo_u32 v77, v32, v51
	v_mul_lo_u32 v78, v32, v52
	v_mul_lo_u32 v32, v32, v53
	v_mul_lo_u32 v79, v33, v54
	v_mul_lo_u32 v80, v33, v55
	v_mul_lo_u32 v81, v33, v56
	v_mul_lo_u32 v33, v33, v57
	v_mul_lo_u32 v88, v36, v50
	v_mul_lo_u32 v89, v36, v51
	v_mul_lo_u32 v90, v36, v52
	v_mul_lo_u32 v36, v36, v53
	v_mul_lo_u32 v91, v37, v54
	v_mul_lo_u32 v92, v37, v55
	v_mul_lo_u32 v93, v37, v56
	v_mul_lo_u32 v37, v37, v57
	v_mul_lo_u32 v48, v40, v50
	v_mul_lo_u32 v49, v40, v51
	v_mul_lo_u32 v50, v40, v52
	v_mul_lo_u32 v40, v40, v53
	v_mul_lo_u32 v51, v41, v54
	v_mul_lo_u32 v52, v41, v55
	v_mul_lo_u32 v53, v41, v56
	v_mul_lo_u32 v41, v41, v57
	v_add3_u32 v4, v4, v58, v61
	v_add3_u32 v16, v16, v59, v62
	;; [unrolled: 1-line block ×32, first 2 shown]
	s_cbranch_vccnz .LBB199_2
.LBB199_3:
	s_clause 0x1
	s_load_dword s1, s[4:5], 0x18
	s_load_dword s0, s[4:5], 0x50
	v_add_co_u32 v22, s2, s30, v1
	v_add_co_ci_u32_e64 v23, null, s31, 0, s2
	v_add_co_u32 v24, s2, s6, v0
	v_add_co_ci_u32_e64 v25, null, s7, 0, s2
	s_lshl_b64 s[2:3], s[10:11], 2
	s_waitcnt lgkmcnt(0)
	v_mul_lo_u32 v17, v4, s1
	v_mul_lo_u32 v16, v16, s1
	;; [unrolled: 1-line block ×18, first 2 shown]
	v_lshlrev_b64 v[8:9], 2, v[24:25]
	s_add_u32 s1, s18, s2
	s_addc_u32 s2, s19, s3
	s_cmp_eq_u32 s0, 0
	s_mov_b32 s3, 0
	s_cbranch_scc1 .LBB199_7
; %bb.4:
	v_mul_lo_u32 v23, v23, s14
	v_mul_lo_u32 v24, v22, s15
	v_mad_u64_u32 v[20:21], null, v22, s14, 0
	s_lshl_b64 s[4:5], s[16:17], 2
	s_add_u32 s4, s12, s4
	s_addc_u32 s5, s13, s5
	s_lshl_b64 s[6:7], s[8:9], 6
	v_add3_u32 v21, v21, v24, v23
	v_mad_u64_u32 v[23:24], null, v22, s8, 0
	v_lshlrev_b64 v[20:21], 2, v[20:21]
	v_add3_u32 v24, v24, v19, v18
	v_add_co_u32 v28, vcc_lo, s4, v20
	v_add_co_ci_u32_e64 v29, null, s5, v21, vcc_lo
	v_lshlrev_b64 v[23:24], 2, v[23:24]
	v_add_co_u32 v20, vcc_lo, v28, v8
	v_add_co_ci_u32_e64 v21, null, v29, v9, vcc_lo
	s_lshl_b64 s[4:5], s[14:15], 6
	v_add_co_u32 v30, vcc_lo, s1, v23
	flat_load_dword v25, v[20:21]
	v_add_co_ci_u32_e64 v31, null, s2, v24, vcc_lo
	s_waitcnt vmcnt(0) lgkmcnt(0)
	v_mad_u64_u32 v[23:24], null, v25, s0, v[17:18]
	v_add_co_u32 v24, vcc_lo, v30, v8
	v_add_co_ci_u32_e64 v25, null, v31, v9, vcc_lo
	v_add_co_u32 v28, vcc_lo, v28, s4
	v_add_co_ci_u32_e64 v29, null, s5, v29, vcc_lo
	flat_store_dword v[24:25], v23
	flat_load_dword v23, v[20:21] offset:64
	s_waitcnt vmcnt(0) lgkmcnt(0)
	v_mad_u64_u32 v[26:27], null, v23, s0, v[16:17]
	flat_store_dword v[24:25], v26 offset:64
	flat_load_dword v23, v[20:21] offset:128
	s_waitcnt vmcnt(0) lgkmcnt(0)
	v_mad_u64_u32 v[26:27], null, v23, s0, v[15:16]
	flat_store_dword v[24:25], v26 offset:128
	flat_load_dword v20, v[20:21] offset:192
	v_add_co_u32 v26, vcc_lo, v28, v8
	v_add_co_ci_u32_e64 v27, null, v29, v9, vcc_lo
	v_add_co_u32 v30, vcc_lo, v30, s6
	v_add_co_ci_u32_e64 v31, null, s7, v31, vcc_lo
	v_add_co_u32 v23, vcc_lo, v30, v8
	s_waitcnt vmcnt(0) lgkmcnt(0)
	v_mad_u64_u32 v[20:21], null, v20, s0, v[14:15]
	flat_store_dword v[24:25], v20 offset:192
	flat_load_dword v20, v[26:27]
	v_add_co_ci_u32_e64 v24, null, v31, v9, vcc_lo
	s_waitcnt vmcnt(0) lgkmcnt(0)
	v_mad_u64_u32 v[20:21], null, v20, s0, v[13:14]
	flat_store_dword v[23:24], v20
	flat_load_dword v20, v[26:27] offset:64
	s_waitcnt vmcnt(0) lgkmcnt(0)
	v_mad_u64_u32 v[20:21], null, v20, s0, v[12:13]
	flat_store_dword v[23:24], v20 offset:64
	flat_load_dword v20, v[26:27] offset:128
	s_waitcnt vmcnt(0) lgkmcnt(0)
	v_mad_u64_u32 v[20:21], null, v20, s0, v[11:12]
	flat_store_dword v[23:24], v20 offset:128
	flat_load_dword v20, v[26:27] offset:192
	v_add_co_u32 v27, vcc_lo, v28, s4
	v_add_co_ci_u32_e64 v28, null, s5, v29, vcc_lo
	v_add_co_u32 v25, vcc_lo, v27, v8
	v_add_co_ci_u32_e64 v26, null, v28, v9, vcc_lo
	;; [unrolled: 2-line block ×3, first 2 shown]
	s_waitcnt vmcnt(0) lgkmcnt(0)
	v_mad_u64_u32 v[20:21], null, v20, s0, v[10:11]
	flat_store_dword v[23:24], v20 offset:192
	flat_load_dword v20, v[25:26]
	v_add_co_u32 v23, vcc_lo, v29, v8
	v_add_co_ci_u32_e64 v24, null, v30, v9, vcc_lo
	s_waitcnt vmcnt(0) lgkmcnt(0)
	v_mad_u64_u32 v[20:21], null, v20, s0, v[7:8]
	flat_store_dword v[23:24], v20
	flat_load_dword v20, v[25:26] offset:64
	s_waitcnt vmcnt(0) lgkmcnt(0)
	v_mad_u64_u32 v[20:21], null, v20, s0, v[6:7]
	flat_store_dword v[23:24], v20 offset:64
	flat_load_dword v20, v[25:26] offset:128
	s_waitcnt vmcnt(0) lgkmcnt(0)
	v_mad_u64_u32 v[20:21], null, v20, s0, v[5:6]
	flat_store_dword v[23:24], v20 offset:128
	flat_load_dword v20, v[25:26] offset:192
	v_add_co_u32 v25, vcc_lo, v27, s4
	v_add_co_ci_u32_e64 v26, null, s5, v28, vcc_lo
	v_add_co_u32 v25, vcc_lo, v25, v8
	v_add_co_ci_u32_e64 v26, null, v26, v9, vcc_lo
	s_waitcnt vmcnt(0) lgkmcnt(0)
	v_mad_u64_u32 v[20:21], null, v20, s0, v[4:5]
	flat_store_dword v[23:24], v20 offset:192
	flat_load_dword v20, v[25:26]
	v_add_co_u32 v23, vcc_lo, v29, s6
	v_add_co_ci_u32_e64 v24, null, s7, v30, vcc_lo
	v_add_co_u32 v23, vcc_lo, v23, v8
	v_add_co_ci_u32_e64 v24, null, v24, v9, vcc_lo
	s_waitcnt vmcnt(0) lgkmcnt(0)
	v_mad_u64_u32 v[20:21], null, v20, s0, v[3:4]
	flat_store_dword v[23:24], v20
	flat_load_dword v20, v[25:26] offset:64
	s_waitcnt vmcnt(0) lgkmcnt(0)
	v_mad_u64_u32 v[20:21], null, v20, s0, v[2:3]
	flat_store_dword v[23:24], v20 offset:64
	flat_load_dword v20, v[25:26] offset:128
	s_waitcnt vmcnt(0) lgkmcnt(0)
	v_mad_u64_u32 v[20:21], null, v20, s0, v[1:2]
	flat_store_dword v[23:24], v20 offset:128
	;; [unrolled: 4-line block ×3, first 2 shown]
	s_andn2_b32 vcc_lo, exec_lo, s3
	s_cbranch_vccnz .LBB199_6
.LBB199_5:
	v_mad_u64_u32 v[20:21], null, v22, s8, 0
	v_add3_u32 v21, v21, v19, v18
	v_lshlrev_b64 v[18:19], 2, v[20:21]
	v_add_co_u32 v20, vcc_lo, s1, v18
	v_add_co_ci_u32_e64 v21, null, s2, v19, vcc_lo
	s_lshl_b64 s[0:1], s[8:9], 6
	v_add_co_u32 v18, vcc_lo, v20, v8
	v_add_co_ci_u32_e64 v19, null, v21, v9, vcc_lo
	v_add_co_u32 v20, vcc_lo, v20, s0
	v_add_co_ci_u32_e64 v21, null, s1, v21, vcc_lo
	flat_store_dword v[18:19], v17
	flat_store_dword v[18:19], v16 offset:64
	flat_store_dword v[18:19], v15 offset:128
	flat_store_dword v[18:19], v14 offset:192
	v_add_co_u32 v14, vcc_lo, v20, v8
	v_add_co_ci_u32_e64 v15, null, v21, v9, vcc_lo
	v_add_co_u32 v16, vcc_lo, v20, s0
	v_add_co_ci_u32_e64 v17, null, s1, v21, vcc_lo
	flat_store_dword v[14:15], v13
	flat_store_dword v[14:15], v12 offset:64
	flat_store_dword v[14:15], v11 offset:128
	;; [unrolled: 1-line block ×3, first 2 shown]
	v_add_co_u32 v12, vcc_lo, v16, s0
	v_add_co_ci_u32_e64 v13, null, s1, v17, vcc_lo
	v_add_co_u32 v10, vcc_lo, v16, v8
	v_add_co_ci_u32_e64 v11, null, v17, v9, vcc_lo
	;; [unrolled: 2-line block ×3, first 2 shown]
	flat_store_dword v[10:11], v7
	flat_store_dword v[10:11], v6 offset:64
	flat_store_dword v[10:11], v5 offset:128
	;; [unrolled: 1-line block ×3, first 2 shown]
	flat_store_dword v[8:9], v3
	flat_store_dword v[8:9], v2 offset:64
	flat_store_dword v[8:9], v1 offset:128
	;; [unrolled: 1-line block ×3, first 2 shown]
.LBB199_6:
	s_endpgm
.LBB199_7:
	s_branch .LBB199_5
	.section	.rodata,"a",@progbits
	.p2align	6, 0x0
	.amdhsa_kernel _ZN12_GLOBAL__N_127rocblas_gemm_batched_kernelIiLi16ELi16ELi64ELi64ELi4ELi64ELi4ELi4ELi64ELc67ELc67EKPKaKPKiKPiEEvlllT_PT11_llSB_llS9_PT12_llPT13_lli
		.amdhsa_group_segment_fixed_size 2048
		.amdhsa_private_segment_fixed_size 0
		.amdhsa_kernarg_size 140
		.amdhsa_user_sgpr_count 6
		.amdhsa_user_sgpr_private_segment_buffer 1
		.amdhsa_user_sgpr_dispatch_ptr 0
		.amdhsa_user_sgpr_queue_ptr 0
		.amdhsa_user_sgpr_kernarg_segment_ptr 1
		.amdhsa_user_sgpr_dispatch_id 0
		.amdhsa_user_sgpr_flat_scratch_init 0
		.amdhsa_user_sgpr_private_segment_size 0
		.amdhsa_wavefront_size32 1
		.amdhsa_uses_dynamic_stack 0
		.amdhsa_system_sgpr_private_segment_wavefront_offset 0
		.amdhsa_system_sgpr_workgroup_id_x 1
		.amdhsa_system_sgpr_workgroup_id_y 1
		.amdhsa_system_sgpr_workgroup_id_z 1
		.amdhsa_system_sgpr_workgroup_info 0
		.amdhsa_system_vgpr_workitem_id 1
		.amdhsa_next_free_vgpr 94
		.amdhsa_next_free_sgpr 36
		.amdhsa_reserve_vcc 1
		.amdhsa_reserve_flat_scratch 0
		.amdhsa_float_round_mode_32 0
		.amdhsa_float_round_mode_16_64 0
		.amdhsa_float_denorm_mode_32 3
		.amdhsa_float_denorm_mode_16_64 3
		.amdhsa_dx10_clamp 1
		.amdhsa_ieee_mode 1
		.amdhsa_fp16_overflow 0
		.amdhsa_workgroup_processor_mode 1
		.amdhsa_memory_ordered 1
		.amdhsa_forward_progress 1
		.amdhsa_shared_vgpr_count 0
		.amdhsa_exception_fp_ieee_invalid_op 0
		.amdhsa_exception_fp_denorm_src 0
		.amdhsa_exception_fp_ieee_div_zero 0
		.amdhsa_exception_fp_ieee_overflow 0
		.amdhsa_exception_fp_ieee_underflow 0
		.amdhsa_exception_fp_ieee_inexact 0
		.amdhsa_exception_int_div_zero 0
	.end_amdhsa_kernel
	.section	.text._ZN12_GLOBAL__N_127rocblas_gemm_batched_kernelIiLi16ELi16ELi64ELi64ELi4ELi64ELi4ELi4ELi64ELc67ELc67EKPKaKPKiKPiEEvlllT_PT11_llSB_llS9_PT12_llPT13_lli,"axG",@progbits,_ZN12_GLOBAL__N_127rocblas_gemm_batched_kernelIiLi16ELi16ELi64ELi64ELi4ELi64ELi4ELi4ELi64ELc67ELc67EKPKaKPKiKPiEEvlllT_PT11_llSB_llS9_PT12_llPT13_lli,comdat
.Lfunc_end199:
	.size	_ZN12_GLOBAL__N_127rocblas_gemm_batched_kernelIiLi16ELi16ELi64ELi64ELi4ELi64ELi4ELi4ELi64ELc67ELc67EKPKaKPKiKPiEEvlllT_PT11_llSB_llS9_PT12_llPT13_lli, .Lfunc_end199-_ZN12_GLOBAL__N_127rocblas_gemm_batched_kernelIiLi16ELi16ELi64ELi64ELi4ELi64ELi4ELi4ELi64ELc67ELc67EKPKaKPKiKPiEEvlllT_PT11_llSB_llS9_PT12_llPT13_lli
                                        ; -- End function
	.set _ZN12_GLOBAL__N_127rocblas_gemm_batched_kernelIiLi16ELi16ELi64ELi64ELi4ELi64ELi4ELi4ELi64ELc67ELc67EKPKaKPKiKPiEEvlllT_PT11_llSB_llS9_PT12_llPT13_lli.num_vgpr, 94
	.set _ZN12_GLOBAL__N_127rocblas_gemm_batched_kernelIiLi16ELi16ELi64ELi64ELi4ELi64ELi4ELi4ELi64ELc67ELc67EKPKaKPKiKPiEEvlllT_PT11_llSB_llS9_PT12_llPT13_lli.num_agpr, 0
	.set _ZN12_GLOBAL__N_127rocblas_gemm_batched_kernelIiLi16ELi16ELi64ELi64ELi4ELi64ELi4ELi4ELi64ELc67ELc67EKPKaKPKiKPiEEvlllT_PT11_llSB_llS9_PT12_llPT13_lli.numbered_sgpr, 36
	.set _ZN12_GLOBAL__N_127rocblas_gemm_batched_kernelIiLi16ELi16ELi64ELi64ELi4ELi64ELi4ELi4ELi64ELc67ELc67EKPKaKPKiKPiEEvlllT_PT11_llSB_llS9_PT12_llPT13_lli.num_named_barrier, 0
	.set _ZN12_GLOBAL__N_127rocblas_gemm_batched_kernelIiLi16ELi16ELi64ELi64ELi4ELi64ELi4ELi4ELi64ELc67ELc67EKPKaKPKiKPiEEvlllT_PT11_llSB_llS9_PT12_llPT13_lli.private_seg_size, 0
	.set _ZN12_GLOBAL__N_127rocblas_gemm_batched_kernelIiLi16ELi16ELi64ELi64ELi4ELi64ELi4ELi4ELi64ELc67ELc67EKPKaKPKiKPiEEvlllT_PT11_llSB_llS9_PT12_llPT13_lli.uses_vcc, 1
	.set _ZN12_GLOBAL__N_127rocblas_gemm_batched_kernelIiLi16ELi16ELi64ELi64ELi4ELi64ELi4ELi4ELi64ELc67ELc67EKPKaKPKiKPiEEvlllT_PT11_llSB_llS9_PT12_llPT13_lli.uses_flat_scratch, 0
	.set _ZN12_GLOBAL__N_127rocblas_gemm_batched_kernelIiLi16ELi16ELi64ELi64ELi4ELi64ELi4ELi4ELi64ELc67ELc67EKPKaKPKiKPiEEvlllT_PT11_llSB_llS9_PT12_llPT13_lli.has_dyn_sized_stack, 0
	.set _ZN12_GLOBAL__N_127rocblas_gemm_batched_kernelIiLi16ELi16ELi64ELi64ELi4ELi64ELi4ELi4ELi64ELc67ELc67EKPKaKPKiKPiEEvlllT_PT11_llSB_llS9_PT12_llPT13_lli.has_recursion, 0
	.set _ZN12_GLOBAL__N_127rocblas_gemm_batched_kernelIiLi16ELi16ELi64ELi64ELi4ELi64ELi4ELi4ELi64ELc67ELc67EKPKaKPKiKPiEEvlllT_PT11_llSB_llS9_PT12_llPT13_lli.has_indirect_call, 0
	.section	.AMDGPU.csdata,"",@progbits
; Kernel info:
; codeLenInByte = 2820
; TotalNumSgprs: 38
; NumVgprs: 94
; ScratchSize: 0
; MemoryBound: 0
; FloatMode: 240
; IeeeMode: 1
; LDSByteSize: 2048 bytes/workgroup (compile time only)
; SGPRBlocks: 0
; VGPRBlocks: 11
; NumSGPRsForWavesPerEU: 38
; NumVGPRsForWavesPerEU: 94
; Occupancy: 10
; WaveLimiterHint : 1
; COMPUTE_PGM_RSRC2:SCRATCH_EN: 0
; COMPUTE_PGM_RSRC2:USER_SGPR: 6
; COMPUTE_PGM_RSRC2:TRAP_HANDLER: 0
; COMPUTE_PGM_RSRC2:TGID_X_EN: 1
; COMPUTE_PGM_RSRC2:TGID_Y_EN: 1
; COMPUTE_PGM_RSRC2:TGID_Z_EN: 1
; COMPUTE_PGM_RSRC2:TIDIG_COMP_CNT: 1
	.section	.text._ZN12_GLOBAL__N_127rocblas_gemm_batched_kernelIiLi16ELi16ELi64ELi64ELi4ELi64ELi4ELi4ELi64ELc67ELc78EKPKaKPKiKPiEEvlllT_PT11_llSB_llS9_PT12_llPT13_lli,"axG",@progbits,_ZN12_GLOBAL__N_127rocblas_gemm_batched_kernelIiLi16ELi16ELi64ELi64ELi4ELi64ELi4ELi4ELi64ELc67ELc78EKPKaKPKiKPiEEvlllT_PT11_llSB_llS9_PT12_llPT13_lli,comdat
	.globl	_ZN12_GLOBAL__N_127rocblas_gemm_batched_kernelIiLi16ELi16ELi64ELi64ELi4ELi64ELi4ELi4ELi64ELc67ELc78EKPKaKPKiKPiEEvlllT_PT11_llSB_llS9_PT12_llPT13_lli ; -- Begin function _ZN12_GLOBAL__N_127rocblas_gemm_batched_kernelIiLi16ELi16ELi64ELi64ELi4ELi64ELi4ELi4ELi64ELc67ELc78EKPKaKPKiKPiEEvlllT_PT11_llSB_llS9_PT12_llPT13_lli
	.p2align	8
	.type	_ZN12_GLOBAL__N_127rocblas_gemm_batched_kernelIiLi16ELi16ELi64ELi64ELi4ELi64ELi4ELi4ELi64ELc67ELc78EKPKaKPKiKPiEEvlllT_PT11_llSB_llS9_PT12_llPT13_lli,@function
_ZN12_GLOBAL__N_127rocblas_gemm_batched_kernelIiLi16ELi16ELi64ELi64ELi4ELi64ELi4ELi4ELi64ELc67ELc78EKPKaKPKiKPiEEvlllT_PT11_llSB_llS9_PT12_llPT13_lli: ; @_ZN12_GLOBAL__N_127rocblas_gemm_batched_kernelIiLi16ELi16ELi64ELi64ELi4ELi64ELi4ELi4ELi64ELc67ELc78EKPKaKPKiKPiEEvlllT_PT11_llSB_llS9_PT12_llPT13_lli
; %bb.0:
	s_clause 0x1
	s_load_dwordx8 s[12:19], s[4:5], 0x58
	s_load_dwordx2 s[28:29], s[4:5], 0x10
	s_mov_b32 s9, 0
	s_load_dwordx4 s[0:3], s[4:5], 0x78
	s_lshl_b64 s[30:31], s[8:9], 3
	s_mov_b32 s20, s7
	v_mov_b32_e32 v2, 0
	v_mov_b32_e32 v16, 0
	;; [unrolled: 1-line block ×14, first 2 shown]
	s_waitcnt lgkmcnt(0)
	s_add_u32 s8, s12, s30
	s_addc_u32 s9, s13, s31
	s_add_u32 s10, s18, s30
	s_addc_u32 s11, s19, s31
	s_load_dwordx2 s[8:9], s[8:9], 0x0
	s_load_dwordx2 s[10:11], s[10:11], 0x0
	v_cmp_lt_i64_e64 s12, s[28:29], 1
	v_mov_b32_e32 v9, 0
	v_mov_b32_e32 v8, 0
	s_ashr_i32 s7, s6, 31
	s_ashr_i32 s21, s20, 31
	s_lshl_b64 s[6:7], s[6:7], 6
	s_and_b32 vcc_lo, exec_lo, s12
	s_lshl_b64 s[12:13], s[20:21], 6
	s_cbranch_vccnz .LBB200_3
; %bb.1:
	s_load_dwordx8 s[20:27], s[4:5], 0x20
	v_lshlrev_b32_e32 v6, 4, v1
	s_load_dwordx4 s[36:39], s[4:5], 0x40
	v_and_b32_e32 v7, 3, v0
	v_mov_b32_e32 v8, 0
	v_lshlrev_b32_e32 v20, 2, v0
	v_add_nc_u32_e32 v2, v6, v0
	v_add_nc_u32_e32 v21, 0x400, v6
	v_lshlrev_b32_e32 v4, 2, v7
	v_mov_b32_e32 v18, 0
	v_mov_b32_e32 v6, 0
	v_lshrrev_b32_e32 v3, 2, v2
	v_lshrrev_b32_e32 v10, 6, v2
	v_and_b32_e32 v9, 63, v2
	v_mov_b32_e32 v16, 0
	v_add_co_u32 v5, s18, v3, s12
	v_add_co_ci_u32_e64 v11, null, 0, s13, s18
	s_waitcnt lgkmcnt(0)
	s_add_u32 s18, s20, s30
	s_addc_u32 s19, s21, s31
	s_add_u32 s20, s26, s30
	s_addc_u32 s21, s27, s31
	s_load_dwordx2 s[18:19], s[18:19], 0x0
	s_load_dwordx2 s[20:21], s[20:21], 0x0
	v_lshl_or_b32 v13, v3, 4, v4
	v_add_co_u32 v4, s24, s24, v10
	v_lshlrev_b32_e32 v12, 2, v9
	v_mad_u64_u32 v[2:3], null, s36, v5, s[38:39]
	v_mul_lo_u32 v11, s36, v11
	v_mul_lo_u32 v14, s37, v5
	v_add_co_ci_u32_e64 v5, null, s25, 0, s24
	v_add_co_u32 v9, s24, s6, v9
	v_add_co_ci_u32_e64 v15, null, s7, 0, s24
	v_lshl_or_b32 v17, v10, 8, v12
	v_mad_u64_u32 v[4:5], null, s22, v9, v[4:5]
	v_mul_lo_u32 v10, s22, v15
	v_mul_lo_u32 v9, s23, v9
	v_add3_u32 v3, v14, v3, v11
	v_add_co_u32 v2, vcc_lo, v2, v7
	v_add_nc_u32_e32 v19, 0x400, v13
	v_mov_b32_e32 v7, 0
	v_add_co_ci_u32_e64 v3, null, 0, v3, vcc_lo
	v_add3_u32 v5, v9, v5, v10
	s_waitcnt lgkmcnt(0)
	v_add_co_u32 v22, vcc_lo, s20, v2
	v_add_co_ci_u32_e64 v23, null, s21, v3, vcc_lo
	v_add_co_u32 v24, vcc_lo, s18, v4
	v_add_co_ci_u32_e64 v25, null, s19, v5, vcc_lo
	v_mov_b32_e32 v9, 0
	v_mov_b32_e32 v3, 0
	;; [unrolled: 1-line block ×11, first 2 shown]
	s_mov_b64 s[18:19], 0
.LBB200_2:                              ; =>This Inner Loop Header: Depth=1
	v_add_co_u32 v26, vcc_lo, v24, s18
	v_add_co_ci_u32_e64 v27, null, s19, v25, vcc_lo
	flat_load_sbyte v28, v[26:27]
	v_add_co_u32 v26, vcc_lo, v22, s18
	v_add_co_ci_u32_e64 v27, null, s19, v23, vcc_lo
	s_add_u32 s18, s18, 4
	s_addc_u32 s19, s19, 0
	v_cmp_lt_i64_e64 s20, s[18:19], s[28:29]
	s_and_b32 vcc_lo, exec_lo, s20
	s_waitcnt vmcnt(0) lgkmcnt(0)
	ds_write_b32 v17, v28
	flat_load_sbyte v26, v[26:27]
	s_waitcnt vmcnt(0) lgkmcnt(0)
	ds_write_b32 v19, v26
	s_waitcnt lgkmcnt(0)
	s_barrier
	buffer_gl0_inv
	ds_read_b128 v[26:29], v21
	ds_read2_b32 v[42:43], v20 offset1:16
	ds_read2_b32 v[44:45], v20 offset0:32 offset1:48
	ds_read2_b32 v[46:47], v20 offset0:64 offset1:80
	;; [unrolled: 1-line block ×7, first 2 shown]
	ds_read_b128 v[30:33], v21 offset:256
	ds_read_b128 v[34:37], v21 offset:512
	;; [unrolled: 1-line block ×3, first 2 shown]
	s_waitcnt lgkmcnt(0)
	s_barrier
	buffer_gl0_inv
	v_mul_lo_u32 v58, v26, v42
	v_mul_lo_u32 v59, v26, v43
	;; [unrolled: 1-line block ×64, first 2 shown]
	v_add3_u32 v2, v2, v58, v61
	v_add3_u32 v16, v16, v59, v62
	;; [unrolled: 1-line block ×32, first 2 shown]
	s_cbranch_vccnz .LBB200_2
.LBB200_3:
	s_clause 0x1
	s_load_dword s18, s[4:5], 0x18
	s_load_dword s4, s[4:5], 0x50
	v_add_co_u32 v19, s5, s12, v1
	v_add_co_ci_u32_e64 v21, null, s13, 0, s5
	v_add_co_u32 v22, s5, s6, v0
	v_add_co_ci_u32_e64 v23, null, s7, 0, s5
	v_mul_lo_u32 v20, v19, s1
	s_lshl_b64 s[2:3], s[2:3], 2
	s_mov_b32 s5, 0
	s_waitcnt lgkmcnt(0)
	s_add_u32 s2, s10, s2
	s_addc_u32 s3, s11, s3
	v_mul_lo_u32 v17, v2, s18
	v_mul_lo_u32 v16, v16, s18
	;; [unrolled: 1-line block ×17, first 2 shown]
	v_lshlrev_b64 v[8:9], 2, v[22:23]
	s_cmp_eq_u32 s4, 0
	s_cbranch_scc1 .LBB200_7
; %bb.4:
	v_mul_lo_u32 v23, v21, s14
	v_mul_lo_u32 v24, v19, s15
	v_mad_u64_u32 v[21:22], null, v19, s14, 0
	s_lshl_b64 s[6:7], s[16:17], 2
	s_add_u32 s6, s8, s6
	s_addc_u32 s7, s9, s7
	s_lshl_b64 s[8:9], s[0:1], 6
	v_add3_u32 v22, v22, v24, v23
	v_mad_u64_u32 v[23:24], null, v19, s0, 0
	v_lshlrev_b64 v[21:22], 2, v[21:22]
	v_add3_u32 v24, v24, v20, v18
	v_add_co_u32 v28, vcc_lo, s6, v21
	v_add_co_ci_u32_e64 v29, null, s7, v22, vcc_lo
	v_lshlrev_b64 v[23:24], 2, v[23:24]
	v_add_co_u32 v21, vcc_lo, v28, v8
	v_add_co_ci_u32_e64 v22, null, v29, v9, vcc_lo
	s_lshl_b64 s[6:7], s[14:15], 6
	v_add_co_u32 v30, vcc_lo, s2, v23
	flat_load_dword v25, v[21:22]
	v_add_co_ci_u32_e64 v31, null, s3, v24, vcc_lo
	s_waitcnt vmcnt(0) lgkmcnt(0)
	v_mad_u64_u32 v[23:24], null, v25, s4, v[17:18]
	v_add_co_u32 v24, vcc_lo, v30, v8
	v_add_co_ci_u32_e64 v25, null, v31, v9, vcc_lo
	v_add_co_u32 v32, vcc_lo, v28, s6
	v_add_co_ci_u32_e64 v29, null, s7, v29, vcc_lo
	flat_store_dword v[24:25], v23
	flat_load_dword v23, v[21:22] offset:64
	s_waitcnt vmcnt(0) lgkmcnt(0)
	v_mad_u64_u32 v[26:27], null, v23, s4, v[16:17]
	flat_store_dword v[24:25], v26 offset:64
	flat_load_dword v23, v[21:22] offset:128
	s_waitcnt vmcnt(0) lgkmcnt(0)
	v_mad_u64_u32 v[26:27], null, v23, s4, v[15:16]
	flat_store_dword v[24:25], v26 offset:128
	flat_load_dword v21, v[21:22] offset:192
	s_waitcnt vmcnt(0) lgkmcnt(0)
	v_mad_u64_u32 v[21:22], null, v21, s4, v[14:15]
	v_add_co_u32 v22, vcc_lo, v32, v8
	v_add_co_ci_u32_e64 v23, null, v29, v9, vcc_lo
	v_add_co_u32 v30, vcc_lo, v30, s8
	flat_store_dword v[24:25], v21 offset:192
	flat_load_dword v21, v[22:23]
	v_add_co_ci_u32_e64 v31, null, s9, v31, vcc_lo
	s_waitcnt vmcnt(0) lgkmcnt(0)
	v_mad_u64_u32 v[24:25], null, v21, s4, v[13:14]
	v_add_co_u32 v25, vcc_lo, v30, v8
	v_add_co_ci_u32_e64 v26, null, v31, v9, vcc_lo
	v_add_co_u32 v32, vcc_lo, v32, s6
	v_add_co_ci_u32_e64 v29, null, s7, v29, vcc_lo
	flat_store_dword v[25:26], v24
	flat_load_dword v21, v[22:23] offset:64
	s_waitcnt vmcnt(0) lgkmcnt(0)
	v_mad_u64_u32 v[27:28], null, v21, s4, v[12:13]
	flat_store_dword v[25:26], v27 offset:64
	flat_load_dword v21, v[22:23] offset:128
	s_waitcnt vmcnt(0) lgkmcnt(0)
	v_mad_u64_u32 v[27:28], null, v21, s4, v[11:12]
	flat_store_dword v[25:26], v27 offset:128
	flat_load_dword v21, v[22:23] offset:192
	s_waitcnt vmcnt(0) lgkmcnt(0)
	v_mad_u64_u32 v[21:22], null, v21, s4, v[10:11]
	v_add_co_u32 v22, vcc_lo, v32, v8
	v_add_co_ci_u32_e64 v23, null, v29, v9, vcc_lo
	v_add_co_u32 v30, vcc_lo, v30, s8
	flat_store_dword v[25:26], v21 offset:192
	flat_load_dword v21, v[22:23]
	v_add_co_ci_u32_e64 v31, null, s9, v31, vcc_lo
	s_waitcnt vmcnt(0) lgkmcnt(0)
	v_mad_u64_u32 v[24:25], null, v21, s4, v[7:8]
	v_add_co_u32 v25, vcc_lo, v30, v8
	v_add_co_ci_u32_e64 v26, null, v31, v9, vcc_lo
	flat_store_dword v[25:26], v24
	flat_load_dword v21, v[22:23] offset:64
	s_waitcnt vmcnt(0) lgkmcnt(0)
	v_mad_u64_u32 v[27:28], null, v21, s4, v[6:7]
	flat_store_dword v[25:26], v27 offset:64
	flat_load_dword v21, v[22:23] offset:128
	s_waitcnt vmcnt(0) lgkmcnt(0)
	v_mad_u64_u32 v[27:28], null, v21, s4, v[5:6]
	flat_store_dword v[25:26], v27 offset:128
	flat_load_dword v21, v[22:23] offset:192
	v_add_co_u32 v23, vcc_lo, v32, s6
	v_add_co_ci_u32_e64 v24, null, s7, v29, vcc_lo
	s_waitcnt vmcnt(0) lgkmcnt(0)
	v_mad_u64_u32 v[21:22], null, v21, s4, v[4:5]
	v_add_co_u32 v22, vcc_lo, v23, v8
	v_add_co_ci_u32_e64 v23, null, v24, v9, vcc_lo
	flat_store_dword v[25:26], v21 offset:192
	flat_load_dword v21, v[22:23]
	v_add_co_u32 v26, vcc_lo, v30, s8
	v_add_co_ci_u32_e64 v27, null, s9, v31, vcc_lo
	s_waitcnt vmcnt(0) lgkmcnt(0)
	v_mad_u64_u32 v[24:25], null, v21, s4, v[3:4]
	v_add_co_u32 v25, vcc_lo, v26, v8
	v_add_co_ci_u32_e64 v26, null, v27, v9, vcc_lo
	flat_store_dword v[25:26], v24
	flat_load_dword v21, v[22:23] offset:64
	s_waitcnt vmcnt(0) lgkmcnt(0)
	v_mad_u64_u32 v[27:28], null, v21, s4, v[2:3]
	flat_store_dword v[25:26], v27 offset:64
	flat_load_dword v21, v[22:23] offset:128
	s_waitcnt vmcnt(0) lgkmcnt(0)
	v_mad_u64_u32 v[27:28], null, v21, s4, v[1:2]
	flat_store_dword v[25:26], v27 offset:128
	flat_load_dword v21, v[22:23] offset:192
	s_waitcnt vmcnt(0) lgkmcnt(0)
	v_mad_u64_u32 v[21:22], null, v21, s4, v[0:1]
	flat_store_dword v[25:26], v21 offset:192
	s_andn2_b32 vcc_lo, exec_lo, s5
	s_cbranch_vccnz .LBB200_6
.LBB200_5:
	v_mad_u64_u32 v[21:22], null, v19, s0, 0
	s_lshl_b64 s[0:1], s[0:1], 6
	v_add3_u32 v22, v22, v20, v18
	v_lshlrev_b64 v[18:19], 2, v[21:22]
	v_add_co_u32 v20, vcc_lo, s2, v18
	v_add_co_ci_u32_e64 v21, null, s3, v19, vcc_lo
	v_add_co_u32 v18, vcc_lo, v20, v8
	v_add_co_ci_u32_e64 v19, null, v21, v9, vcc_lo
	;; [unrolled: 2-line block ×3, first 2 shown]
	flat_store_dword v[18:19], v17
	flat_store_dword v[18:19], v16 offset:64
	flat_store_dword v[18:19], v15 offset:128
	;; [unrolled: 1-line block ×3, first 2 shown]
	v_add_co_u32 v14, vcc_lo, v20, v8
	v_add_co_ci_u32_e64 v15, null, v21, v9, vcc_lo
	v_add_co_u32 v16, vcc_lo, v20, s0
	v_add_co_ci_u32_e64 v17, null, s1, v21, vcc_lo
	flat_store_dword v[14:15], v13
	flat_store_dword v[14:15], v12 offset:64
	flat_store_dword v[14:15], v11 offset:128
	;; [unrolled: 1-line block ×3, first 2 shown]
	v_add_co_u32 v12, vcc_lo, v16, s0
	v_add_co_ci_u32_e64 v13, null, s1, v17, vcc_lo
	v_add_co_u32 v10, vcc_lo, v16, v8
	v_add_co_ci_u32_e64 v11, null, v17, v9, vcc_lo
	;; [unrolled: 2-line block ×3, first 2 shown]
	flat_store_dword v[10:11], v7
	flat_store_dword v[10:11], v6 offset:64
	flat_store_dword v[10:11], v5 offset:128
	;; [unrolled: 1-line block ×3, first 2 shown]
	flat_store_dword v[8:9], v3
	flat_store_dword v[8:9], v2 offset:64
	flat_store_dword v[8:9], v1 offset:128
	;; [unrolled: 1-line block ×3, first 2 shown]
.LBB200_6:
	s_endpgm
.LBB200_7:
	s_branch .LBB200_5
	.section	.rodata,"a",@progbits
	.p2align	6, 0x0
	.amdhsa_kernel _ZN12_GLOBAL__N_127rocblas_gemm_batched_kernelIiLi16ELi16ELi64ELi64ELi4ELi64ELi4ELi4ELi64ELc67ELc78EKPKaKPKiKPiEEvlllT_PT11_llSB_llS9_PT12_llPT13_lli
		.amdhsa_group_segment_fixed_size 2048
		.amdhsa_private_segment_fixed_size 0
		.amdhsa_kernarg_size 140
		.amdhsa_user_sgpr_count 6
		.amdhsa_user_sgpr_private_segment_buffer 1
		.amdhsa_user_sgpr_dispatch_ptr 0
		.amdhsa_user_sgpr_queue_ptr 0
		.amdhsa_user_sgpr_kernarg_segment_ptr 1
		.amdhsa_user_sgpr_dispatch_id 0
		.amdhsa_user_sgpr_flat_scratch_init 0
		.amdhsa_user_sgpr_private_segment_size 0
		.amdhsa_wavefront_size32 1
		.amdhsa_uses_dynamic_stack 0
		.amdhsa_system_sgpr_private_segment_wavefront_offset 0
		.amdhsa_system_sgpr_workgroup_id_x 1
		.amdhsa_system_sgpr_workgroup_id_y 1
		.amdhsa_system_sgpr_workgroup_id_z 1
		.amdhsa_system_sgpr_workgroup_info 0
		.amdhsa_system_vgpr_workitem_id 1
		.amdhsa_next_free_vgpr 94
		.amdhsa_next_free_sgpr 40
		.amdhsa_reserve_vcc 1
		.amdhsa_reserve_flat_scratch 0
		.amdhsa_float_round_mode_32 0
		.amdhsa_float_round_mode_16_64 0
		.amdhsa_float_denorm_mode_32 3
		.amdhsa_float_denorm_mode_16_64 3
		.amdhsa_dx10_clamp 1
		.amdhsa_ieee_mode 1
		.amdhsa_fp16_overflow 0
		.amdhsa_workgroup_processor_mode 1
		.amdhsa_memory_ordered 1
		.amdhsa_forward_progress 1
		.amdhsa_shared_vgpr_count 0
		.amdhsa_exception_fp_ieee_invalid_op 0
		.amdhsa_exception_fp_denorm_src 0
		.amdhsa_exception_fp_ieee_div_zero 0
		.amdhsa_exception_fp_ieee_overflow 0
		.amdhsa_exception_fp_ieee_underflow 0
		.amdhsa_exception_fp_ieee_inexact 0
		.amdhsa_exception_int_div_zero 0
	.end_amdhsa_kernel
	.section	.text._ZN12_GLOBAL__N_127rocblas_gemm_batched_kernelIiLi16ELi16ELi64ELi64ELi4ELi64ELi4ELi4ELi64ELc67ELc78EKPKaKPKiKPiEEvlllT_PT11_llSB_llS9_PT12_llPT13_lli,"axG",@progbits,_ZN12_GLOBAL__N_127rocblas_gemm_batched_kernelIiLi16ELi16ELi64ELi64ELi4ELi64ELi4ELi4ELi64ELc67ELc78EKPKaKPKiKPiEEvlllT_PT11_llSB_llS9_PT12_llPT13_lli,comdat
.Lfunc_end200:
	.size	_ZN12_GLOBAL__N_127rocblas_gemm_batched_kernelIiLi16ELi16ELi64ELi64ELi4ELi64ELi4ELi4ELi64ELc67ELc78EKPKaKPKiKPiEEvlllT_PT11_llSB_llS9_PT12_llPT13_lli, .Lfunc_end200-_ZN12_GLOBAL__N_127rocblas_gemm_batched_kernelIiLi16ELi16ELi64ELi64ELi4ELi64ELi4ELi4ELi64ELc67ELc78EKPKaKPKiKPiEEvlllT_PT11_llSB_llS9_PT12_llPT13_lli
                                        ; -- End function
	.set _ZN12_GLOBAL__N_127rocblas_gemm_batched_kernelIiLi16ELi16ELi64ELi64ELi4ELi64ELi4ELi4ELi64ELc67ELc78EKPKaKPKiKPiEEvlllT_PT11_llSB_llS9_PT12_llPT13_lli.num_vgpr, 94
	.set _ZN12_GLOBAL__N_127rocblas_gemm_batched_kernelIiLi16ELi16ELi64ELi64ELi4ELi64ELi4ELi4ELi64ELc67ELc78EKPKaKPKiKPiEEvlllT_PT11_llSB_llS9_PT12_llPT13_lli.num_agpr, 0
	.set _ZN12_GLOBAL__N_127rocblas_gemm_batched_kernelIiLi16ELi16ELi64ELi64ELi4ELi64ELi4ELi4ELi64ELc67ELc78EKPKaKPKiKPiEEvlllT_PT11_llSB_llS9_PT12_llPT13_lli.numbered_sgpr, 40
	.set _ZN12_GLOBAL__N_127rocblas_gemm_batched_kernelIiLi16ELi16ELi64ELi64ELi4ELi64ELi4ELi4ELi64ELc67ELc78EKPKaKPKiKPiEEvlllT_PT11_llSB_llS9_PT12_llPT13_lli.num_named_barrier, 0
	.set _ZN12_GLOBAL__N_127rocblas_gemm_batched_kernelIiLi16ELi16ELi64ELi64ELi4ELi64ELi4ELi4ELi64ELc67ELc78EKPKaKPKiKPiEEvlllT_PT11_llSB_llS9_PT12_llPT13_lli.private_seg_size, 0
	.set _ZN12_GLOBAL__N_127rocblas_gemm_batched_kernelIiLi16ELi16ELi64ELi64ELi4ELi64ELi4ELi4ELi64ELc67ELc78EKPKaKPKiKPiEEvlllT_PT11_llSB_llS9_PT12_llPT13_lli.uses_vcc, 1
	.set _ZN12_GLOBAL__N_127rocblas_gemm_batched_kernelIiLi16ELi16ELi64ELi64ELi4ELi64ELi4ELi4ELi64ELc67ELc78EKPKaKPKiKPiEEvlllT_PT11_llSB_llS9_PT12_llPT13_lli.uses_flat_scratch, 0
	.set _ZN12_GLOBAL__N_127rocblas_gemm_batched_kernelIiLi16ELi16ELi64ELi64ELi4ELi64ELi4ELi4ELi64ELc67ELc78EKPKaKPKiKPiEEvlllT_PT11_llSB_llS9_PT12_llPT13_lli.has_dyn_sized_stack, 0
	.set _ZN12_GLOBAL__N_127rocblas_gemm_batched_kernelIiLi16ELi16ELi64ELi64ELi4ELi64ELi4ELi4ELi64ELc67ELc78EKPKaKPKiKPiEEvlllT_PT11_llSB_llS9_PT12_llPT13_lli.has_recursion, 0
	.set _ZN12_GLOBAL__N_127rocblas_gemm_batched_kernelIiLi16ELi16ELi64ELi64ELi4ELi64ELi4ELi4ELi64ELc67ELc78EKPKaKPKiKPiEEvlllT_PT11_llSB_llS9_PT12_llPT13_lli.has_indirect_call, 0
	.section	.AMDGPU.csdata,"",@progbits
; Kernel info:
; codeLenInByte = 2836
; TotalNumSgprs: 42
; NumVgprs: 94
; ScratchSize: 0
; MemoryBound: 0
; FloatMode: 240
; IeeeMode: 1
; LDSByteSize: 2048 bytes/workgroup (compile time only)
; SGPRBlocks: 0
; VGPRBlocks: 11
; NumSGPRsForWavesPerEU: 42
; NumVGPRsForWavesPerEU: 94
; Occupancy: 10
; WaveLimiterHint : 1
; COMPUTE_PGM_RSRC2:SCRATCH_EN: 0
; COMPUTE_PGM_RSRC2:USER_SGPR: 6
; COMPUTE_PGM_RSRC2:TRAP_HANDLER: 0
; COMPUTE_PGM_RSRC2:TGID_X_EN: 1
; COMPUTE_PGM_RSRC2:TGID_Y_EN: 1
; COMPUTE_PGM_RSRC2:TGID_Z_EN: 1
; COMPUTE_PGM_RSRC2:TIDIG_COMP_CNT: 1
	.section	.text._ZN12_GLOBAL__N_127rocblas_gemm_batched_kernelIiLi16ELi16ELi64ELi64ELi4ELi64ELi4ELi4ELi64ELc67ELc84EKPKaKPKiKPiEEvlllT_PT11_llSB_llS9_PT12_llPT13_lli,"axG",@progbits,_ZN12_GLOBAL__N_127rocblas_gemm_batched_kernelIiLi16ELi16ELi64ELi64ELi4ELi64ELi4ELi4ELi64ELc67ELc84EKPKaKPKiKPiEEvlllT_PT11_llSB_llS9_PT12_llPT13_lli,comdat
	.globl	_ZN12_GLOBAL__N_127rocblas_gemm_batched_kernelIiLi16ELi16ELi64ELi64ELi4ELi64ELi4ELi4ELi64ELc67ELc84EKPKaKPKiKPiEEvlllT_PT11_llSB_llS9_PT12_llPT13_lli ; -- Begin function _ZN12_GLOBAL__N_127rocblas_gemm_batched_kernelIiLi16ELi16ELi64ELi64ELi4ELi64ELi4ELi4ELi64ELc67ELc84EKPKaKPKiKPiEEvlllT_PT11_llSB_llS9_PT12_llPT13_lli
	.p2align	8
	.type	_ZN12_GLOBAL__N_127rocblas_gemm_batched_kernelIiLi16ELi16ELi64ELi64ELi4ELi64ELi4ELi4ELi64ELc67ELc84EKPKaKPKiKPiEEvlllT_PT11_llSB_llS9_PT12_llPT13_lli,@function
_ZN12_GLOBAL__N_127rocblas_gemm_batched_kernelIiLi16ELi16ELi64ELi64ELi4ELi64ELi4ELi4ELi64ELc67ELc84EKPKaKPKiKPiEEvlllT_PT11_llSB_llS9_PT12_llPT13_lli: ; @_ZN12_GLOBAL__N_127rocblas_gemm_batched_kernelIiLi16ELi16ELi64ELi64ELi4ELi64ELi4ELi4ELi64ELc67ELc84EKPKaKPKiKPiEEvlllT_PT11_llSB_llS9_PT12_llPT13_lli
; %bb.0:
	s_clause 0x1
	s_load_dwordx8 s[12:19], s[4:5], 0x58
	s_load_dwordx2 s[28:29], s[4:5], 0x10
	s_mov_b32 s9, 0
	s_mov_b32 s0, s7
	s_lshl_b64 s[34:35], s[8:9], 3
	s_load_dwordx4 s[8:11], s[4:5], 0x78
	v_mov_b32_e32 v4, 0
	v_mov_b32_e32 v16, 0
	;; [unrolled: 1-line block ×14, first 2 shown]
	s_waitcnt lgkmcnt(0)
	s_add_u32 s2, s12, s34
	s_addc_u32 s3, s13, s35
	s_add_u32 s18, s18, s34
	s_addc_u32 s19, s19, s35
	s_load_dwordx2 s[12:13], s[2:3], 0x0
	s_load_dwordx2 s[18:19], s[18:19], 0x0
	v_cmp_lt_i64_e64 s20, s[28:29], 1
	v_mov_b32_e32 v9, 0
	v_mov_b32_e32 v8, 0
	s_ashr_i32 s7, s6, 31
	s_ashr_i32 s1, s0, 31
	s_lshl_b64 s[6:7], s[6:7], 6
	s_and_b32 vcc_lo, exec_lo, s20
	s_lshl_b64 s[30:31], s[0:1], 6
	s_cbranch_vccnz .LBB201_3
; %bb.1:
	s_clause 0x1
	s_load_dwordx8 s[20:27], s[4:5], 0x20
	s_load_dwordx4 s[0:3], s[4:5], 0x40
	v_lshlrev_b32_e32 v4, 4, v1
	v_and_b32_e32 v9, 3, v0
	v_mov_b32_e32 v8, 0
	v_lshlrev_b32_e32 v5, 2, v0
	v_mov_b32_e32 v18, 0
	v_add_nc_u32_e32 v2, v4, v0
	v_lshlrev_b32_e32 v3, 2, v9
	v_add_nc_u32_e32 v17, 0x400, v4
	v_mov_b32_e32 v19, 0
	v_mov_b32_e32 v20, 0
	v_lshrrev_b32_e32 v7, 2, v2
	v_and_b32_e32 v6, 63, v2
	v_lshrrev_b32_e32 v10, 6, v2
	v_mov_b32_e32 v21, 0
	v_mov_b32_e32 v16, 0
	v_lshl_or_b32 v12, v7, 4, v3
	v_lshlrev_b32_e32 v11, 2, v6
	s_waitcnt lgkmcnt(0)
	s_add_u32 s20, s20, s34
	v_add_co_u32 v2, s2, s2, v7
	s_addc_u32 s21, s21, s35
	v_add_co_ci_u32_e64 v3, null, s3, 0, s2
	s_add_u32 s2, s26, s34
	s_addc_u32 s3, s27, s35
	v_add_co_u32 v13, s26, s6, v6
	v_add_co_ci_u32_e64 v14, null, s7, 0, s26
	s_load_dwordx2 s[26:27], s[2:3], 0x0
	s_load_dwordx2 s[20:21], s[20:21], 0x0
	v_add_co_u32 v6, s2, s24, v10
	v_mad_u64_u32 v[2:3], null, s0, v9, v[2:3]
	v_add_co_ci_u32_e64 v7, null, s25, 0, s2
	v_mul_lo_u32 v14, s22, v14
	v_mul_lo_u32 v15, s23, v13
	s_lshl_b64 s[2:3], s[0:1], 2
	v_mad_u64_u32 v[6:7], null, s22, v13, v[6:7]
	v_mad_u64_u32 v[3:4], null, s1, v9, v[3:4]
	v_lshl_or_b32 v22, v10, 8, v11
	v_add_nc_u32_e32 v23, 0x400, v12
	v_mov_b32_e32 v9, 0
	v_mov_b32_e32 v10, 0
	v_add3_u32 v4, v15, v7, v14
	s_waitcnt lgkmcnt(0)
	s_add_u32 s0, s26, s30
	s_addc_u32 s1, s27, s31
	v_add_co_u32 v2, vcc_lo, s0, v2
	v_add_co_ci_u32_e64 v3, null, s1, v3, vcc_lo
	v_add_co_u32 v24, vcc_lo, s20, v6
	v_add_co_ci_u32_e64 v25, null, s21, v4, vcc_lo
	v_mov_b32_e32 v6, 0
	v_mov_b32_e32 v7, 0
	;; [unrolled: 1-line block ×8, first 2 shown]
	s_mov_b64 s[20:21], 0
.LBB201_2:                              ; =>This Inner Loop Header: Depth=1
	v_add_co_u32 v26, vcc_lo, v24, s20
	v_add_co_ci_u32_e64 v27, null, s21, v25, vcc_lo
	s_add_u32 s20, s20, 4
	s_addc_u32 s21, s21, 0
	v_cmp_lt_i64_e64 s0, s[20:21], s[28:29]
	flat_load_sbyte v26, v[26:27]
	s_and_b32 vcc_lo, exec_lo, s0
	s_waitcnt vmcnt(0) lgkmcnt(0)
	ds_write_b32 v22, v26
	flat_load_sbyte v26, v[2:3]
	v_add_co_u32 v2, s0, v2, s2
	v_add_co_ci_u32_e64 v3, null, s3, v3, s0
	s_waitcnt vmcnt(0) lgkmcnt(0)
	ds_write_b32 v23, v26
	s_waitcnt lgkmcnt(0)
	s_barrier
	buffer_gl0_inv
	ds_read_b128 v[26:29], v17
	ds_read2_b32 v[42:43], v5 offset1:16
	ds_read2_b32 v[44:45], v5 offset0:32 offset1:48
	ds_read2_b32 v[46:47], v5 offset0:64 offset1:80
	;; [unrolled: 1-line block ×7, first 2 shown]
	ds_read_b128 v[30:33], v17 offset:256
	ds_read_b128 v[34:37], v17 offset:512
	;; [unrolled: 1-line block ×3, first 2 shown]
	s_waitcnt lgkmcnt(0)
	s_barrier
	buffer_gl0_inv
	v_mul_lo_u32 v58, v26, v42
	v_mul_lo_u32 v59, v26, v43
	;; [unrolled: 1-line block ×64, first 2 shown]
	v_add3_u32 v4, v4, v58, v61
	v_add3_u32 v16, v16, v59, v62
	;; [unrolled: 1-line block ×32, first 2 shown]
	s_cbranch_vccnz .LBB201_2
.LBB201_3:
	s_clause 0x1
	s_load_dword s1, s[4:5], 0x18
	s_load_dword s0, s[4:5], 0x50
	v_add_co_u32 v22, s2, s30, v1
	v_add_co_ci_u32_e64 v23, null, s31, 0, s2
	v_add_co_u32 v24, s2, s6, v0
	v_add_co_ci_u32_e64 v25, null, s7, 0, s2
	s_lshl_b64 s[2:3], s[10:11], 2
	s_waitcnt lgkmcnt(0)
	v_mul_lo_u32 v17, v4, s1
	v_mul_lo_u32 v16, v16, s1
	v_mul_lo_u32 v15, v15, s1
	v_mul_lo_u32 v14, v14, s1
	v_mul_lo_u32 v13, v13, s1
	v_mul_lo_u32 v12, v12, s1
	v_mul_lo_u32 v11, v11, s1
	v_mul_lo_u32 v10, v10, s1
	v_mul_lo_u32 v7, v7, s1
	v_mul_lo_u32 v6, v6, s1
	v_mul_lo_u32 v5, v21, s1
	v_mul_lo_u32 v4, v20, s1
	v_mul_lo_u32 v3, v19, s1
	v_mul_lo_u32 v2, v18, s1
	v_mul_lo_u32 v1, v9, s1
	v_mul_lo_u32 v0, v8, s1
	v_mul_lo_u32 v18, v23, s8
	v_mul_lo_u32 v19, v22, s9
	v_lshlrev_b64 v[8:9], 2, v[24:25]
	s_add_u32 s1, s18, s2
	s_addc_u32 s2, s19, s3
	s_cmp_eq_u32 s0, 0
	s_mov_b32 s3, 0
	s_cbranch_scc1 .LBB201_7
; %bb.4:
	v_mul_lo_u32 v23, v23, s14
	v_mul_lo_u32 v24, v22, s15
	v_mad_u64_u32 v[20:21], null, v22, s14, 0
	s_lshl_b64 s[4:5], s[16:17], 2
	s_add_u32 s4, s12, s4
	s_addc_u32 s5, s13, s5
	s_lshl_b64 s[6:7], s[8:9], 6
	v_add3_u32 v21, v21, v24, v23
	v_mad_u64_u32 v[23:24], null, v22, s8, 0
	v_lshlrev_b64 v[20:21], 2, v[20:21]
	v_add3_u32 v24, v24, v19, v18
	v_add_co_u32 v28, vcc_lo, s4, v20
	v_add_co_ci_u32_e64 v29, null, s5, v21, vcc_lo
	v_lshlrev_b64 v[23:24], 2, v[23:24]
	v_add_co_u32 v20, vcc_lo, v28, v8
	v_add_co_ci_u32_e64 v21, null, v29, v9, vcc_lo
	s_lshl_b64 s[4:5], s[14:15], 6
	v_add_co_u32 v30, vcc_lo, s1, v23
	flat_load_dword v25, v[20:21]
	v_add_co_ci_u32_e64 v31, null, s2, v24, vcc_lo
	s_waitcnt vmcnt(0) lgkmcnt(0)
	v_mad_u64_u32 v[23:24], null, v25, s0, v[17:18]
	v_add_co_u32 v24, vcc_lo, v30, v8
	v_add_co_ci_u32_e64 v25, null, v31, v9, vcc_lo
	v_add_co_u32 v28, vcc_lo, v28, s4
	v_add_co_ci_u32_e64 v29, null, s5, v29, vcc_lo
	flat_store_dword v[24:25], v23
	flat_load_dword v23, v[20:21] offset:64
	s_waitcnt vmcnt(0) lgkmcnt(0)
	v_mad_u64_u32 v[26:27], null, v23, s0, v[16:17]
	flat_store_dword v[24:25], v26 offset:64
	flat_load_dword v23, v[20:21] offset:128
	s_waitcnt vmcnt(0) lgkmcnt(0)
	v_mad_u64_u32 v[26:27], null, v23, s0, v[15:16]
	flat_store_dword v[24:25], v26 offset:128
	flat_load_dword v20, v[20:21] offset:192
	v_add_co_u32 v26, vcc_lo, v28, v8
	v_add_co_ci_u32_e64 v27, null, v29, v9, vcc_lo
	v_add_co_u32 v30, vcc_lo, v30, s6
	v_add_co_ci_u32_e64 v31, null, s7, v31, vcc_lo
	v_add_co_u32 v23, vcc_lo, v30, v8
	s_waitcnt vmcnt(0) lgkmcnt(0)
	v_mad_u64_u32 v[20:21], null, v20, s0, v[14:15]
	flat_store_dword v[24:25], v20 offset:192
	flat_load_dword v20, v[26:27]
	v_add_co_ci_u32_e64 v24, null, v31, v9, vcc_lo
	s_waitcnt vmcnt(0) lgkmcnt(0)
	v_mad_u64_u32 v[20:21], null, v20, s0, v[13:14]
	flat_store_dword v[23:24], v20
	flat_load_dword v20, v[26:27] offset:64
	s_waitcnt vmcnt(0) lgkmcnt(0)
	v_mad_u64_u32 v[20:21], null, v20, s0, v[12:13]
	flat_store_dword v[23:24], v20 offset:64
	flat_load_dword v20, v[26:27] offset:128
	s_waitcnt vmcnt(0) lgkmcnt(0)
	v_mad_u64_u32 v[20:21], null, v20, s0, v[11:12]
	flat_store_dword v[23:24], v20 offset:128
	flat_load_dword v20, v[26:27] offset:192
	v_add_co_u32 v27, vcc_lo, v28, s4
	v_add_co_ci_u32_e64 v28, null, s5, v29, vcc_lo
	v_add_co_u32 v25, vcc_lo, v27, v8
	v_add_co_ci_u32_e64 v26, null, v28, v9, vcc_lo
	;; [unrolled: 2-line block ×3, first 2 shown]
	s_waitcnt vmcnt(0) lgkmcnt(0)
	v_mad_u64_u32 v[20:21], null, v20, s0, v[10:11]
	flat_store_dword v[23:24], v20 offset:192
	flat_load_dword v20, v[25:26]
	v_add_co_u32 v23, vcc_lo, v29, v8
	v_add_co_ci_u32_e64 v24, null, v30, v9, vcc_lo
	s_waitcnt vmcnt(0) lgkmcnt(0)
	v_mad_u64_u32 v[20:21], null, v20, s0, v[7:8]
	flat_store_dword v[23:24], v20
	flat_load_dword v20, v[25:26] offset:64
	s_waitcnt vmcnt(0) lgkmcnt(0)
	v_mad_u64_u32 v[20:21], null, v20, s0, v[6:7]
	flat_store_dword v[23:24], v20 offset:64
	flat_load_dword v20, v[25:26] offset:128
	s_waitcnt vmcnt(0) lgkmcnt(0)
	v_mad_u64_u32 v[20:21], null, v20, s0, v[5:6]
	flat_store_dword v[23:24], v20 offset:128
	flat_load_dword v20, v[25:26] offset:192
	v_add_co_u32 v25, vcc_lo, v27, s4
	v_add_co_ci_u32_e64 v26, null, s5, v28, vcc_lo
	v_add_co_u32 v25, vcc_lo, v25, v8
	v_add_co_ci_u32_e64 v26, null, v26, v9, vcc_lo
	s_waitcnt vmcnt(0) lgkmcnt(0)
	v_mad_u64_u32 v[20:21], null, v20, s0, v[4:5]
	flat_store_dword v[23:24], v20 offset:192
	flat_load_dword v20, v[25:26]
	v_add_co_u32 v23, vcc_lo, v29, s6
	v_add_co_ci_u32_e64 v24, null, s7, v30, vcc_lo
	v_add_co_u32 v23, vcc_lo, v23, v8
	v_add_co_ci_u32_e64 v24, null, v24, v9, vcc_lo
	s_waitcnt vmcnt(0) lgkmcnt(0)
	v_mad_u64_u32 v[20:21], null, v20, s0, v[3:4]
	flat_store_dword v[23:24], v20
	flat_load_dword v20, v[25:26] offset:64
	s_waitcnt vmcnt(0) lgkmcnt(0)
	v_mad_u64_u32 v[20:21], null, v20, s0, v[2:3]
	flat_store_dword v[23:24], v20 offset:64
	flat_load_dword v20, v[25:26] offset:128
	s_waitcnt vmcnt(0) lgkmcnt(0)
	v_mad_u64_u32 v[20:21], null, v20, s0, v[1:2]
	flat_store_dword v[23:24], v20 offset:128
	;; [unrolled: 4-line block ×3, first 2 shown]
	s_andn2_b32 vcc_lo, exec_lo, s3
	s_cbranch_vccnz .LBB201_6
.LBB201_5:
	v_mad_u64_u32 v[20:21], null, v22, s8, 0
	v_add3_u32 v21, v21, v19, v18
	v_lshlrev_b64 v[18:19], 2, v[20:21]
	v_add_co_u32 v20, vcc_lo, s1, v18
	v_add_co_ci_u32_e64 v21, null, s2, v19, vcc_lo
	s_lshl_b64 s[0:1], s[8:9], 6
	v_add_co_u32 v18, vcc_lo, v20, v8
	v_add_co_ci_u32_e64 v19, null, v21, v9, vcc_lo
	v_add_co_u32 v20, vcc_lo, v20, s0
	v_add_co_ci_u32_e64 v21, null, s1, v21, vcc_lo
	flat_store_dword v[18:19], v17
	flat_store_dword v[18:19], v16 offset:64
	flat_store_dword v[18:19], v15 offset:128
	;; [unrolled: 1-line block ×3, first 2 shown]
	v_add_co_u32 v14, vcc_lo, v20, v8
	v_add_co_ci_u32_e64 v15, null, v21, v9, vcc_lo
	v_add_co_u32 v16, vcc_lo, v20, s0
	v_add_co_ci_u32_e64 v17, null, s1, v21, vcc_lo
	flat_store_dword v[14:15], v13
	flat_store_dword v[14:15], v12 offset:64
	flat_store_dword v[14:15], v11 offset:128
	;; [unrolled: 1-line block ×3, first 2 shown]
	v_add_co_u32 v12, vcc_lo, v16, s0
	v_add_co_ci_u32_e64 v13, null, s1, v17, vcc_lo
	v_add_co_u32 v10, vcc_lo, v16, v8
	v_add_co_ci_u32_e64 v11, null, v17, v9, vcc_lo
	v_add_co_u32 v8, vcc_lo, v12, v8
	v_add_co_ci_u32_e64 v9, null, v13, v9, vcc_lo
	flat_store_dword v[10:11], v7
	flat_store_dword v[10:11], v6 offset:64
	flat_store_dword v[10:11], v5 offset:128
	flat_store_dword v[10:11], v4 offset:192
	flat_store_dword v[8:9], v3
	flat_store_dword v[8:9], v2 offset:64
	flat_store_dword v[8:9], v1 offset:128
	;; [unrolled: 1-line block ×3, first 2 shown]
.LBB201_6:
	s_endpgm
.LBB201_7:
	s_branch .LBB201_5
	.section	.rodata,"a",@progbits
	.p2align	6, 0x0
	.amdhsa_kernel _ZN12_GLOBAL__N_127rocblas_gemm_batched_kernelIiLi16ELi16ELi64ELi64ELi4ELi64ELi4ELi4ELi64ELc67ELc84EKPKaKPKiKPiEEvlllT_PT11_llSB_llS9_PT12_llPT13_lli
		.amdhsa_group_segment_fixed_size 2048
		.amdhsa_private_segment_fixed_size 0
		.amdhsa_kernarg_size 140
		.amdhsa_user_sgpr_count 6
		.amdhsa_user_sgpr_private_segment_buffer 1
		.amdhsa_user_sgpr_dispatch_ptr 0
		.amdhsa_user_sgpr_queue_ptr 0
		.amdhsa_user_sgpr_kernarg_segment_ptr 1
		.amdhsa_user_sgpr_dispatch_id 0
		.amdhsa_user_sgpr_flat_scratch_init 0
		.amdhsa_user_sgpr_private_segment_size 0
		.amdhsa_wavefront_size32 1
		.amdhsa_uses_dynamic_stack 0
		.amdhsa_system_sgpr_private_segment_wavefront_offset 0
		.amdhsa_system_sgpr_workgroup_id_x 1
		.amdhsa_system_sgpr_workgroup_id_y 1
		.amdhsa_system_sgpr_workgroup_id_z 1
		.amdhsa_system_sgpr_workgroup_info 0
		.amdhsa_system_vgpr_workitem_id 1
		.amdhsa_next_free_vgpr 94
		.amdhsa_next_free_sgpr 36
		.amdhsa_reserve_vcc 1
		.amdhsa_reserve_flat_scratch 0
		.amdhsa_float_round_mode_32 0
		.amdhsa_float_round_mode_16_64 0
		.amdhsa_float_denorm_mode_32 3
		.amdhsa_float_denorm_mode_16_64 3
		.amdhsa_dx10_clamp 1
		.amdhsa_ieee_mode 1
		.amdhsa_fp16_overflow 0
		.amdhsa_workgroup_processor_mode 1
		.amdhsa_memory_ordered 1
		.amdhsa_forward_progress 1
		.amdhsa_shared_vgpr_count 0
		.amdhsa_exception_fp_ieee_invalid_op 0
		.amdhsa_exception_fp_denorm_src 0
		.amdhsa_exception_fp_ieee_div_zero 0
		.amdhsa_exception_fp_ieee_overflow 0
		.amdhsa_exception_fp_ieee_underflow 0
		.amdhsa_exception_fp_ieee_inexact 0
		.amdhsa_exception_int_div_zero 0
	.end_amdhsa_kernel
	.section	.text._ZN12_GLOBAL__N_127rocblas_gemm_batched_kernelIiLi16ELi16ELi64ELi64ELi4ELi64ELi4ELi4ELi64ELc67ELc84EKPKaKPKiKPiEEvlllT_PT11_llSB_llS9_PT12_llPT13_lli,"axG",@progbits,_ZN12_GLOBAL__N_127rocblas_gemm_batched_kernelIiLi16ELi16ELi64ELi64ELi4ELi64ELi4ELi4ELi64ELc67ELc84EKPKaKPKiKPiEEvlllT_PT11_llSB_llS9_PT12_llPT13_lli,comdat
.Lfunc_end201:
	.size	_ZN12_GLOBAL__N_127rocblas_gemm_batched_kernelIiLi16ELi16ELi64ELi64ELi4ELi64ELi4ELi4ELi64ELc67ELc84EKPKaKPKiKPiEEvlllT_PT11_llSB_llS9_PT12_llPT13_lli, .Lfunc_end201-_ZN12_GLOBAL__N_127rocblas_gemm_batched_kernelIiLi16ELi16ELi64ELi64ELi4ELi64ELi4ELi4ELi64ELc67ELc84EKPKaKPKiKPiEEvlllT_PT11_llSB_llS9_PT12_llPT13_lli
                                        ; -- End function
	.set _ZN12_GLOBAL__N_127rocblas_gemm_batched_kernelIiLi16ELi16ELi64ELi64ELi4ELi64ELi4ELi4ELi64ELc67ELc84EKPKaKPKiKPiEEvlllT_PT11_llSB_llS9_PT12_llPT13_lli.num_vgpr, 94
	.set _ZN12_GLOBAL__N_127rocblas_gemm_batched_kernelIiLi16ELi16ELi64ELi64ELi4ELi64ELi4ELi4ELi64ELc67ELc84EKPKaKPKiKPiEEvlllT_PT11_llSB_llS9_PT12_llPT13_lli.num_agpr, 0
	.set _ZN12_GLOBAL__N_127rocblas_gemm_batched_kernelIiLi16ELi16ELi64ELi64ELi4ELi64ELi4ELi4ELi64ELc67ELc84EKPKaKPKiKPiEEvlllT_PT11_llSB_llS9_PT12_llPT13_lli.numbered_sgpr, 36
	.set _ZN12_GLOBAL__N_127rocblas_gemm_batched_kernelIiLi16ELi16ELi64ELi64ELi4ELi64ELi4ELi4ELi64ELc67ELc84EKPKaKPKiKPiEEvlllT_PT11_llSB_llS9_PT12_llPT13_lli.num_named_barrier, 0
	.set _ZN12_GLOBAL__N_127rocblas_gemm_batched_kernelIiLi16ELi16ELi64ELi64ELi4ELi64ELi4ELi4ELi64ELc67ELc84EKPKaKPKiKPiEEvlllT_PT11_llSB_llS9_PT12_llPT13_lli.private_seg_size, 0
	.set _ZN12_GLOBAL__N_127rocblas_gemm_batched_kernelIiLi16ELi16ELi64ELi64ELi4ELi64ELi4ELi4ELi64ELc67ELc84EKPKaKPKiKPiEEvlllT_PT11_llSB_llS9_PT12_llPT13_lli.uses_vcc, 1
	.set _ZN12_GLOBAL__N_127rocblas_gemm_batched_kernelIiLi16ELi16ELi64ELi64ELi4ELi64ELi4ELi4ELi64ELc67ELc84EKPKaKPKiKPiEEvlllT_PT11_llSB_llS9_PT12_llPT13_lli.uses_flat_scratch, 0
	.set _ZN12_GLOBAL__N_127rocblas_gemm_batched_kernelIiLi16ELi16ELi64ELi64ELi4ELi64ELi4ELi4ELi64ELc67ELc84EKPKaKPKiKPiEEvlllT_PT11_llSB_llS9_PT12_llPT13_lli.has_dyn_sized_stack, 0
	.set _ZN12_GLOBAL__N_127rocblas_gemm_batched_kernelIiLi16ELi16ELi64ELi64ELi4ELi64ELi4ELi4ELi64ELc67ELc84EKPKaKPKiKPiEEvlllT_PT11_llSB_llS9_PT12_llPT13_lli.has_recursion, 0
	.set _ZN12_GLOBAL__N_127rocblas_gemm_batched_kernelIiLi16ELi16ELi64ELi64ELi4ELi64ELi4ELi4ELi64ELc67ELc84EKPKaKPKiKPiEEvlllT_PT11_llSB_llS9_PT12_llPT13_lli.has_indirect_call, 0
	.section	.AMDGPU.csdata,"",@progbits
; Kernel info:
; codeLenInByte = 2820
; TotalNumSgprs: 38
; NumVgprs: 94
; ScratchSize: 0
; MemoryBound: 0
; FloatMode: 240
; IeeeMode: 1
; LDSByteSize: 2048 bytes/workgroup (compile time only)
; SGPRBlocks: 0
; VGPRBlocks: 11
; NumSGPRsForWavesPerEU: 38
; NumVGPRsForWavesPerEU: 94
; Occupancy: 10
; WaveLimiterHint : 1
; COMPUTE_PGM_RSRC2:SCRATCH_EN: 0
; COMPUTE_PGM_RSRC2:USER_SGPR: 6
; COMPUTE_PGM_RSRC2:TRAP_HANDLER: 0
; COMPUTE_PGM_RSRC2:TGID_X_EN: 1
; COMPUTE_PGM_RSRC2:TGID_Y_EN: 1
; COMPUTE_PGM_RSRC2:TGID_Z_EN: 1
; COMPUTE_PGM_RSRC2:TIDIG_COMP_CNT: 1
	.section	.text._ZN12_GLOBAL__N_127rocblas_gemm_batched_kernelIiLi16ELi16ELi64ELi64ELi4ELi64ELi4ELi4ELi64ELc78ELc67EKPKaKPKiKPiEEvlllT_PT11_llSB_llS9_PT12_llPT13_lli,"axG",@progbits,_ZN12_GLOBAL__N_127rocblas_gemm_batched_kernelIiLi16ELi16ELi64ELi64ELi4ELi64ELi4ELi4ELi64ELc78ELc67EKPKaKPKiKPiEEvlllT_PT11_llSB_llS9_PT12_llPT13_lli,comdat
	.globl	_ZN12_GLOBAL__N_127rocblas_gemm_batched_kernelIiLi16ELi16ELi64ELi64ELi4ELi64ELi4ELi4ELi64ELc78ELc67EKPKaKPKiKPiEEvlllT_PT11_llSB_llS9_PT12_llPT13_lli ; -- Begin function _ZN12_GLOBAL__N_127rocblas_gemm_batched_kernelIiLi16ELi16ELi64ELi64ELi4ELi64ELi4ELi4ELi64ELc78ELc67EKPKaKPKiKPiEEvlllT_PT11_llSB_llS9_PT12_llPT13_lli
	.p2align	8
	.type	_ZN12_GLOBAL__N_127rocblas_gemm_batched_kernelIiLi16ELi16ELi64ELi64ELi4ELi64ELi4ELi4ELi64ELc78ELc67EKPKaKPKiKPiEEvlllT_PT11_llSB_llS9_PT12_llPT13_lli,@function
_ZN12_GLOBAL__N_127rocblas_gemm_batched_kernelIiLi16ELi16ELi64ELi64ELi4ELi64ELi4ELi4ELi64ELc78ELc67EKPKaKPKiKPiEEvlllT_PT11_llSB_llS9_PT12_llPT13_lli: ; @_ZN12_GLOBAL__N_127rocblas_gemm_batched_kernelIiLi16ELi16ELi64ELi64ELi4ELi64ELi4ELi4ELi64ELc78ELc67EKPKaKPKiKPiEEvlllT_PT11_llSB_llS9_PT12_llPT13_lli
; %bb.0:
	s_clause 0x1
	s_load_dwordx8 s[12:19], s[4:5], 0x58
	s_load_dwordx2 s[28:29], s[4:5], 0x10
	s_mov_b32 s9, 0
	s_mov_b32 s0, s7
	s_lshl_b64 s[34:35], s[8:9], 3
	s_load_dwordx4 s[8:11], s[4:5], 0x78
	v_mov_b32_e32 v13, 0
	v_mov_b32_e32 v23, 0
	v_mov_b32_e32 v15, 0
	v_mov_b32_e32 v14, 0
	v_mov_b32_e32 v22, 0
	v_mov_b32_e32 v12, 0
	v_mov_b32_e32 v11, 0
	v_mov_b32_e32 v10, 0
	v_mov_b32_e32 v7, 0
	v_mov_b32_e32 v6, 0
	v_mov_b32_e32 v21, 0
	v_mov_b32_e32 v20, 0
	v_mov_b32_e32 v19, 0
	v_mov_b32_e32 v18, 0
	s_waitcnt lgkmcnt(0)
	s_add_u32 s2, s12, s34
	s_addc_u32 s3, s13, s35
	s_add_u32 s18, s18, s34
	s_addc_u32 s19, s19, s35
	s_load_dwordx2 s[12:13], s[2:3], 0x0
	s_load_dwordx2 s[18:19], s[18:19], 0x0
	v_cmp_lt_i64_e64 s20, s[28:29], 1
	v_mov_b32_e32 v9, 0
	v_mov_b32_e32 v8, 0
	s_ashr_i32 s7, s6, 31
	s_ashr_i32 s1, s0, 31
	s_lshl_b64 s[6:7], s[6:7], 6
	s_and_b32 vcc_lo, exec_lo, s20
	s_lshl_b64 s[30:31], s[0:1], 6
	s_cbranch_vccnz .LBB202_3
; %bb.1:
	s_clause 0x1
	s_load_dwordx8 s[20:27], s[4:5], 0x20
	s_load_dwordx4 s[0:3], s[4:5], 0x40
	v_lshlrev_b32_e32 v13, 4, v1
	v_and_b32_e32 v28, 3, v0
	v_mov_b32_e32 v6, 0
	v_mov_b32_e32 v8, 0
	v_lshlrev_b32_e32 v16, 2, v0
	v_add_nc_u32_e32 v17, v13, v0
	v_lshlrev_b32_e32 v26, 2, v28
	v_mov_b32_e32 v9, 0
	v_mov_b32_e32 v18, 0
	;; [unrolled: 1-line block ×3, first 2 shown]
	v_lshrrev_b32_e32 v24, 2, v17
	v_lshrrev_b32_e32 v25, 6, v17
	v_and_b32_e32 v29, 63, v17
	v_add_nc_u32_e32 v17, 0x400, v13
	v_mov_b32_e32 v20, 0
	v_lshl_or_b32 v30, v24, 4, v26
	v_mov_b32_e32 v21, 0
	v_lshlrev_b32_e32 v13, 2, v29
	s_waitcnt lgkmcnt(0)
	s_add_u32 s36, s20, s34
	s_addc_u32 s37, s21, s35
	s_add_u32 s20, s26, s34
	s_addc_u32 s21, s27, s35
	v_add_co_u32 v2, s2, s2, v24
	s_load_dwordx2 s[26:27], s[20:21], 0x0
	v_add_co_ci_u32_e64 v3, null, s3, 0, s2
	s_lshl_b64 s[2:3], s[22:23], 2
	s_lshl_b64 s[20:21], s[0:1], 2
	v_mov_b32_e32 v7, 0
	v_mad_u64_u32 v[2:3], null, s0, v28, v[2:3]
	v_mov_b32_e32 v10, 0
	v_mov_b32_e32 v11, 0
	;; [unrolled: 1-line block ×7, first 2 shown]
	v_lshl_or_b32 v24, v25, 8, v13
	v_mov_b32_e32 v13, 0
	s_waitcnt lgkmcnt(0)
	s_add_u32 s26, s26, s30
	s_addc_u32 s27, s27, s31
	s_add_u32 s24, s6, s24
	s_addc_u32 s25, s7, s25
	v_mad_u64_u32 v[4:5], null, s22, v25, s[24:25]
	s_load_dwordx2 s[24:25], s[36:37], 0x0
	v_mad_u64_u32 v[26:27], null, s23, v25, v[5:6]
	v_mad_u64_u32 v[27:28], null, s1, v28, v[3:4]
	v_add_co_u32 v4, vcc_lo, v4, v29
	v_add_nc_u32_e32 v25, 0x400, v30
	s_mov_b64 s[22:23], 0
	v_add_co_ci_u32_e64 v5, null, 0, v26, vcc_lo
	v_add_co_u32 v2, vcc_lo, s26, v2
	v_add_co_ci_u32_e64 v3, null, s27, v27, vcc_lo
	s_waitcnt lgkmcnt(0)
	v_add_co_u32 v4, vcc_lo, s24, v4
	v_add_co_ci_u32_e64 v5, null, s25, v5, vcc_lo
.LBB202_2:                              ; =>This Inner Loop Header: Depth=1
	flat_load_sbyte v26, v[4:5]
	s_add_u32 s22, s22, 4
	s_addc_u32 s23, s23, 0
	v_add_co_u32 v4, vcc_lo, v4, s2
	v_cmp_lt_i64_e64 s0, s[22:23], s[28:29]
	v_add_co_ci_u32_e64 v5, null, s3, v5, vcc_lo
	s_and_b32 vcc_lo, exec_lo, s0
	s_waitcnt vmcnt(0) lgkmcnt(0)
	ds_write_b32 v24, v26
	flat_load_sbyte v26, v[2:3]
	v_add_co_u32 v2, s0, v2, s20
	v_add_co_ci_u32_e64 v3, null, s21, v3, s0
	s_waitcnt vmcnt(0) lgkmcnt(0)
	ds_write_b32 v25, v26
	s_waitcnt lgkmcnt(0)
	s_barrier
	buffer_gl0_inv
	ds_read_b128 v[26:29], v17
	ds_read2_b32 v[42:43], v16 offset1:16
	ds_read2_b32 v[44:45], v16 offset0:32 offset1:48
	ds_read2_b32 v[46:47], v16 offset0:64 offset1:80
	;; [unrolled: 1-line block ×7, first 2 shown]
	ds_read_b128 v[30:33], v17 offset:256
	ds_read_b128 v[34:37], v17 offset:512
	;; [unrolled: 1-line block ×3, first 2 shown]
	s_waitcnt lgkmcnt(0)
	s_barrier
	buffer_gl0_inv
	v_mul_lo_u32 v58, v26, v42
	v_mul_lo_u32 v59, v26, v43
	v_mul_lo_u32 v60, v26, v44
	v_mul_lo_u32 v26, v26, v45
	v_mul_lo_u32 v61, v27, v46
	v_mul_lo_u32 v62, v27, v47
	v_mul_lo_u32 v63, v27, v48
	v_mul_lo_u32 v27, v27, v49
	v_mul_lo_u32 v70, v30, v42
	v_mul_lo_u32 v71, v30, v43
	v_mul_lo_u32 v72, v30, v44
	v_mul_lo_u32 v30, v30, v45
	v_mul_lo_u32 v73, v31, v46
	v_mul_lo_u32 v74, v31, v47
	v_mul_lo_u32 v75, v31, v48
	v_mul_lo_u32 v31, v31, v49
	v_mul_lo_u32 v82, v34, v42
	v_mul_lo_u32 v83, v34, v43
	v_mul_lo_u32 v84, v34, v44
	v_mul_lo_u32 v34, v34, v45
	v_mul_lo_u32 v85, v35, v46
	v_mul_lo_u32 v86, v35, v47
	v_mul_lo_u32 v87, v35, v48
	v_mul_lo_u32 v35, v35, v49
	v_mul_lo_u32 v42, v38, v42
	v_mul_lo_u32 v43, v38, v43
	v_mul_lo_u32 v44, v38, v44
	v_mul_lo_u32 v38, v38, v45
	v_mul_lo_u32 v45, v39, v46
	v_mul_lo_u32 v46, v39, v47
	v_mul_lo_u32 v47, v39, v48
	v_mul_lo_u32 v39, v39, v49
	v_mul_lo_u32 v64, v28, v50
	v_mul_lo_u32 v65, v28, v51
	v_mul_lo_u32 v66, v28, v52
	v_mul_lo_u32 v28, v28, v53
	v_mul_lo_u32 v67, v29, v54
	v_mul_lo_u32 v68, v29, v55
	v_mul_lo_u32 v69, v29, v56
	v_mul_lo_u32 v29, v29, v57
	v_mul_lo_u32 v76, v32, v50
	v_mul_lo_u32 v77, v32, v51
	v_mul_lo_u32 v78, v32, v52
	v_mul_lo_u32 v32, v32, v53
	v_mul_lo_u32 v79, v33, v54
	v_mul_lo_u32 v80, v33, v55
	v_mul_lo_u32 v81, v33, v56
	v_mul_lo_u32 v33, v33, v57
	v_mul_lo_u32 v88, v36, v50
	v_mul_lo_u32 v89, v36, v51
	v_mul_lo_u32 v90, v36, v52
	v_mul_lo_u32 v36, v36, v53
	v_mul_lo_u32 v91, v37, v54
	v_mul_lo_u32 v92, v37, v55
	v_mul_lo_u32 v93, v37, v56
	v_mul_lo_u32 v37, v37, v57
	v_mul_lo_u32 v48, v40, v50
	v_mul_lo_u32 v49, v40, v51
	v_mul_lo_u32 v50, v40, v52
	v_mul_lo_u32 v40, v40, v53
	v_mul_lo_u32 v51, v41, v54
	v_mul_lo_u32 v52, v41, v55
	v_mul_lo_u32 v53, v41, v56
	v_mul_lo_u32 v41, v41, v57
	v_add3_u32 v13, v13, v58, v61
	v_add3_u32 v23, v23, v59, v62
	;; [unrolled: 1-line block ×32, first 2 shown]
	s_cbranch_vccnz .LBB202_2
.LBB202_3:
	s_clause 0x1
	s_load_dword s1, s[4:5], 0x18
	s_load_dword s0, s[4:5], 0x50
	v_add_co_u32 v24, s2, s30, v1
	v_add_co_ci_u32_e64 v25, null, s31, 0, s2
	v_add_co_u32 v26, s2, s6, v0
	v_add_co_ci_u32_e64 v27, null, s7, 0, s2
	s_lshl_b64 s[2:3], s[10:11], 2
	s_waitcnt lgkmcnt(0)
	v_mul_lo_u32 v17, v13, s1
	v_mul_lo_u32 v16, v23, s1
	;; [unrolled: 1-line block ×18, first 2 shown]
	v_lshlrev_b64 v[8:9], 2, v[26:27]
	s_add_u32 s1, s18, s2
	s_addc_u32 s2, s19, s3
	s_cmp_eq_u32 s0, 0
	s_mov_b32 s3, 0
	s_cbranch_scc1 .LBB202_7
; %bb.4:
	v_mul_lo_u32 v22, v25, s14
	v_mul_lo_u32 v23, v24, s15
	v_mad_u64_u32 v[20:21], null, v24, s14, 0
	s_lshl_b64 s[4:5], s[16:17], 2
	s_add_u32 s4, s12, s4
	s_addc_u32 s5, s13, s5
	s_lshl_b64 s[6:7], s[8:9], 6
	v_add3_u32 v21, v21, v23, v22
	v_mad_u64_u32 v[22:23], null, v24, s8, 0
	v_lshlrev_b64 v[20:21], 2, v[20:21]
	v_add3_u32 v23, v23, v19, v18
	v_add_co_u32 v27, vcc_lo, s4, v20
	v_add_co_ci_u32_e64 v28, null, s5, v21, vcc_lo
	v_lshlrev_b64 v[22:23], 2, v[22:23]
	v_add_co_u32 v20, vcc_lo, v27, v8
	v_add_co_ci_u32_e64 v21, null, v28, v9, vcc_lo
	s_lshl_b64 s[4:5], s[14:15], 6
	v_add_co_u32 v29, vcc_lo, s1, v22
	flat_load_dword v25, v[20:21]
	v_add_co_ci_u32_e64 v30, null, s2, v23, vcc_lo
	s_waitcnt vmcnt(0) lgkmcnt(0)
	v_mad_u64_u32 v[22:23], null, v25, s0, v[17:18]
	v_add_co_u32 v25, vcc_lo, v29, v8
	v_add_co_ci_u32_e64 v26, null, v30, v9, vcc_lo
	flat_store_dword v[25:26], v22
	flat_load_dword v22, v[20:21] offset:64
	s_waitcnt vmcnt(0) lgkmcnt(0)
	v_mad_u64_u32 v[22:23], null, v22, s0, v[16:17]
	flat_store_dword v[25:26], v22 offset:64
	flat_load_dword v22, v[20:21] offset:128
	s_waitcnt vmcnt(0) lgkmcnt(0)
	v_mad_u64_u32 v[22:23], null, v22, s0, v[15:16]
	v_add_co_u32 v23, vcc_lo, v27, s4
	v_add_co_ci_u32_e64 v31, null, s5, v28, vcc_lo
	flat_store_dword v[25:26], v22 offset:128
	flat_load_dword v20, v[20:21] offset:192
	s_waitcnt vmcnt(0) lgkmcnt(0)
	v_mad_u64_u32 v[20:21], null, v20, s0, v[14:15]
	v_add_co_u32 v21, vcc_lo, v23, v8
	v_add_co_ci_u32_e64 v22, null, v31, v9, vcc_lo
	v_add_co_u32 v32, vcc_lo, v29, s6
	flat_store_dword v[25:26], v20 offset:192
	flat_load_dword v20, v[21:22]
	v_add_co_ci_u32_e64 v30, null, s7, v30, vcc_lo
	s_waitcnt vmcnt(0) lgkmcnt(0)
	v_mad_u64_u32 v[25:26], null, v20, s0, v[13:14]
	v_add_co_u32 v26, vcc_lo, v32, v8
	v_add_co_ci_u32_e64 v27, null, v30, v9, vcc_lo
	v_add_co_u32 v23, vcc_lo, v23, s4
	v_add_co_ci_u32_e64 v31, null, s5, v31, vcc_lo
	flat_store_dword v[26:27], v25
	flat_load_dword v20, v[21:22] offset:64
	s_waitcnt vmcnt(0) lgkmcnt(0)
	v_mad_u64_u32 v[28:29], null, v20, s0, v[12:13]
	flat_store_dword v[26:27], v28 offset:64
	flat_load_dword v20, v[21:22] offset:128
	s_waitcnt vmcnt(0) lgkmcnt(0)
	v_mad_u64_u32 v[28:29], null, v20, s0, v[11:12]
	flat_store_dword v[26:27], v28 offset:128
	flat_load_dword v20, v[21:22] offset:192
	s_waitcnt vmcnt(0) lgkmcnt(0)
	v_mad_u64_u32 v[20:21], null, v20, s0, v[10:11]
	v_add_co_u32 v21, vcc_lo, v23, v8
	v_add_co_ci_u32_e64 v22, null, v31, v9, vcc_lo
	v_add_co_u32 v32, vcc_lo, v32, s6
	flat_store_dword v[26:27], v20 offset:192
	flat_load_dword v20, v[21:22]
	v_add_co_ci_u32_e64 v30, null, s7, v30, vcc_lo
	s_waitcnt vmcnt(0) lgkmcnt(0)
	v_mad_u64_u32 v[25:26], null, v20, s0, v[7:8]
	v_add_co_u32 v26, vcc_lo, v32, v8
	v_add_co_ci_u32_e64 v27, null, v30, v9, vcc_lo
	flat_store_dword v[26:27], v25
	flat_load_dword v20, v[21:22] offset:64
	s_waitcnt vmcnt(0) lgkmcnt(0)
	v_mad_u64_u32 v[28:29], null, v20, s0, v[6:7]
	flat_store_dword v[26:27], v28 offset:64
	flat_load_dword v20, v[21:22] offset:128
	s_waitcnt vmcnt(0) lgkmcnt(0)
	v_mad_u64_u32 v[28:29], null, v20, s0, v[5:6]
	flat_store_dword v[26:27], v28 offset:128
	flat_load_dword v20, v[21:22] offset:192
	v_add_co_u32 v22, vcc_lo, v23, s4
	v_add_co_ci_u32_e64 v23, null, s5, v31, vcc_lo
	s_waitcnt vmcnt(0) lgkmcnt(0)
	v_mad_u64_u32 v[20:21], null, v20, s0, v[4:5]
	v_add_co_u32 v21, vcc_lo, v22, v8
	v_add_co_ci_u32_e64 v22, null, v23, v9, vcc_lo
	v_add_co_u32 v23, vcc_lo, v32, s6
	flat_store_dword v[26:27], v20 offset:192
	flat_load_dword v20, v[21:22]
	v_add_co_ci_u32_e64 v27, null, s7, v30, vcc_lo
	s_waitcnt vmcnt(0) lgkmcnt(0)
	v_mad_u64_u32 v[25:26], null, v20, s0, v[3:4]
	v_add_co_u32 v26, vcc_lo, v23, v8
	v_add_co_ci_u32_e64 v27, null, v27, v9, vcc_lo
	flat_store_dword v[26:27], v25
	flat_load_dword v20, v[21:22] offset:64
	s_waitcnt vmcnt(0) lgkmcnt(0)
	v_mad_u64_u32 v[28:29], null, v20, s0, v[2:3]
	flat_store_dword v[26:27], v28 offset:64
	flat_load_dword v20, v[21:22] offset:128
	s_waitcnt vmcnt(0) lgkmcnt(0)
	v_mad_u64_u32 v[28:29], null, v20, s0, v[1:2]
	flat_store_dword v[26:27], v28 offset:128
	;; [unrolled: 4-line block ×3, first 2 shown]
	s_andn2_b32 vcc_lo, exec_lo, s3
	s_cbranch_vccnz .LBB202_6
.LBB202_5:
	v_mad_u64_u32 v[20:21], null, v24, s8, 0
	v_add3_u32 v21, v21, v19, v18
	v_lshlrev_b64 v[18:19], 2, v[20:21]
	v_add_co_u32 v20, vcc_lo, s1, v18
	v_add_co_ci_u32_e64 v21, null, s2, v19, vcc_lo
	s_lshl_b64 s[0:1], s[8:9], 6
	v_add_co_u32 v18, vcc_lo, v20, v8
	v_add_co_ci_u32_e64 v19, null, v21, v9, vcc_lo
	v_add_co_u32 v20, vcc_lo, v20, s0
	v_add_co_ci_u32_e64 v21, null, s1, v21, vcc_lo
	flat_store_dword v[18:19], v17
	flat_store_dword v[18:19], v16 offset:64
	flat_store_dword v[18:19], v15 offset:128
	;; [unrolled: 1-line block ×3, first 2 shown]
	v_add_co_u32 v14, vcc_lo, v20, v8
	v_add_co_ci_u32_e64 v15, null, v21, v9, vcc_lo
	v_add_co_u32 v16, vcc_lo, v20, s0
	v_add_co_ci_u32_e64 v17, null, s1, v21, vcc_lo
	flat_store_dword v[14:15], v13
	flat_store_dword v[14:15], v12 offset:64
	flat_store_dword v[14:15], v11 offset:128
	;; [unrolled: 1-line block ×3, first 2 shown]
	v_add_co_u32 v12, vcc_lo, v16, s0
	v_add_co_ci_u32_e64 v13, null, s1, v17, vcc_lo
	v_add_co_u32 v10, vcc_lo, v16, v8
	v_add_co_ci_u32_e64 v11, null, v17, v9, vcc_lo
	v_add_co_u32 v8, vcc_lo, v12, v8
	v_add_co_ci_u32_e64 v9, null, v13, v9, vcc_lo
	flat_store_dword v[10:11], v7
	flat_store_dword v[10:11], v6 offset:64
	flat_store_dword v[10:11], v5 offset:128
	flat_store_dword v[10:11], v4 offset:192
	flat_store_dword v[8:9], v3
	flat_store_dword v[8:9], v2 offset:64
	flat_store_dword v[8:9], v1 offset:128
	;; [unrolled: 1-line block ×3, first 2 shown]
.LBB202_6:
	s_endpgm
.LBB202_7:
	s_branch .LBB202_5
	.section	.rodata,"a",@progbits
	.p2align	6, 0x0
	.amdhsa_kernel _ZN12_GLOBAL__N_127rocblas_gemm_batched_kernelIiLi16ELi16ELi64ELi64ELi4ELi64ELi4ELi4ELi64ELc78ELc67EKPKaKPKiKPiEEvlllT_PT11_llSB_llS9_PT12_llPT13_lli
		.amdhsa_group_segment_fixed_size 2048
		.amdhsa_private_segment_fixed_size 0
		.amdhsa_kernarg_size 140
		.amdhsa_user_sgpr_count 6
		.amdhsa_user_sgpr_private_segment_buffer 1
		.amdhsa_user_sgpr_dispatch_ptr 0
		.amdhsa_user_sgpr_queue_ptr 0
		.amdhsa_user_sgpr_kernarg_segment_ptr 1
		.amdhsa_user_sgpr_dispatch_id 0
		.amdhsa_user_sgpr_flat_scratch_init 0
		.amdhsa_user_sgpr_private_segment_size 0
		.amdhsa_wavefront_size32 1
		.amdhsa_uses_dynamic_stack 0
		.amdhsa_system_sgpr_private_segment_wavefront_offset 0
		.amdhsa_system_sgpr_workgroup_id_x 1
		.amdhsa_system_sgpr_workgroup_id_y 1
		.amdhsa_system_sgpr_workgroup_id_z 1
		.amdhsa_system_sgpr_workgroup_info 0
		.amdhsa_system_vgpr_workitem_id 1
		.amdhsa_next_free_vgpr 94
		.amdhsa_next_free_sgpr 38
		.amdhsa_reserve_vcc 1
		.amdhsa_reserve_flat_scratch 0
		.amdhsa_float_round_mode_32 0
		.amdhsa_float_round_mode_16_64 0
		.amdhsa_float_denorm_mode_32 3
		.amdhsa_float_denorm_mode_16_64 3
		.amdhsa_dx10_clamp 1
		.amdhsa_ieee_mode 1
		.amdhsa_fp16_overflow 0
		.amdhsa_workgroup_processor_mode 1
		.amdhsa_memory_ordered 1
		.amdhsa_forward_progress 1
		.amdhsa_shared_vgpr_count 0
		.amdhsa_exception_fp_ieee_invalid_op 0
		.amdhsa_exception_fp_denorm_src 0
		.amdhsa_exception_fp_ieee_div_zero 0
		.amdhsa_exception_fp_ieee_overflow 0
		.amdhsa_exception_fp_ieee_underflow 0
		.amdhsa_exception_fp_ieee_inexact 0
		.amdhsa_exception_int_div_zero 0
	.end_amdhsa_kernel
	.section	.text._ZN12_GLOBAL__N_127rocblas_gemm_batched_kernelIiLi16ELi16ELi64ELi64ELi4ELi64ELi4ELi4ELi64ELc78ELc67EKPKaKPKiKPiEEvlllT_PT11_llSB_llS9_PT12_llPT13_lli,"axG",@progbits,_ZN12_GLOBAL__N_127rocblas_gemm_batched_kernelIiLi16ELi16ELi64ELi64ELi4ELi64ELi4ELi4ELi64ELc78ELc67EKPKaKPKiKPiEEvlllT_PT11_llSB_llS9_PT12_llPT13_lli,comdat
.Lfunc_end202:
	.size	_ZN12_GLOBAL__N_127rocblas_gemm_batched_kernelIiLi16ELi16ELi64ELi64ELi4ELi64ELi4ELi4ELi64ELc78ELc67EKPKaKPKiKPiEEvlllT_PT11_llSB_llS9_PT12_llPT13_lli, .Lfunc_end202-_ZN12_GLOBAL__N_127rocblas_gemm_batched_kernelIiLi16ELi16ELi64ELi64ELi4ELi64ELi4ELi4ELi64ELc78ELc67EKPKaKPKiKPiEEvlllT_PT11_llSB_llS9_PT12_llPT13_lli
                                        ; -- End function
	.set _ZN12_GLOBAL__N_127rocblas_gemm_batched_kernelIiLi16ELi16ELi64ELi64ELi4ELi64ELi4ELi4ELi64ELc78ELc67EKPKaKPKiKPiEEvlllT_PT11_llSB_llS9_PT12_llPT13_lli.num_vgpr, 94
	.set _ZN12_GLOBAL__N_127rocblas_gemm_batched_kernelIiLi16ELi16ELi64ELi64ELi4ELi64ELi4ELi4ELi64ELc78ELc67EKPKaKPKiKPiEEvlllT_PT11_llSB_llS9_PT12_llPT13_lli.num_agpr, 0
	.set _ZN12_GLOBAL__N_127rocblas_gemm_batched_kernelIiLi16ELi16ELi64ELi64ELi4ELi64ELi4ELi4ELi64ELc78ELc67EKPKaKPKiKPiEEvlllT_PT11_llSB_llS9_PT12_llPT13_lli.numbered_sgpr, 38
	.set _ZN12_GLOBAL__N_127rocblas_gemm_batched_kernelIiLi16ELi16ELi64ELi64ELi4ELi64ELi4ELi4ELi64ELc78ELc67EKPKaKPKiKPiEEvlllT_PT11_llSB_llS9_PT12_llPT13_lli.num_named_barrier, 0
	.set _ZN12_GLOBAL__N_127rocblas_gemm_batched_kernelIiLi16ELi16ELi64ELi64ELi4ELi64ELi4ELi4ELi64ELc78ELc67EKPKaKPKiKPiEEvlllT_PT11_llSB_llS9_PT12_llPT13_lli.private_seg_size, 0
	.set _ZN12_GLOBAL__N_127rocblas_gemm_batched_kernelIiLi16ELi16ELi64ELi64ELi4ELi64ELi4ELi4ELi64ELc78ELc67EKPKaKPKiKPiEEvlllT_PT11_llSB_llS9_PT12_llPT13_lli.uses_vcc, 1
	.set _ZN12_GLOBAL__N_127rocblas_gemm_batched_kernelIiLi16ELi16ELi64ELi64ELi4ELi64ELi4ELi4ELi64ELc78ELc67EKPKaKPKiKPiEEvlllT_PT11_llSB_llS9_PT12_llPT13_lli.uses_flat_scratch, 0
	.set _ZN12_GLOBAL__N_127rocblas_gemm_batched_kernelIiLi16ELi16ELi64ELi64ELi4ELi64ELi4ELi4ELi64ELc78ELc67EKPKaKPKiKPiEEvlllT_PT11_llSB_llS9_PT12_llPT13_lli.has_dyn_sized_stack, 0
	.set _ZN12_GLOBAL__N_127rocblas_gemm_batched_kernelIiLi16ELi16ELi64ELi64ELi4ELi64ELi4ELi4ELi64ELc78ELc67EKPKaKPKiKPiEEvlllT_PT11_llSB_llS9_PT12_llPT13_lli.has_recursion, 0
	.set _ZN12_GLOBAL__N_127rocblas_gemm_batched_kernelIiLi16ELi16ELi64ELi64ELi4ELi64ELi4ELi4ELi64ELc78ELc67EKPKaKPKiKPiEEvlllT_PT11_llSB_llS9_PT12_llPT13_lli.has_indirect_call, 0
	.section	.AMDGPU.csdata,"",@progbits
; Kernel info:
; codeLenInByte = 2804
; TotalNumSgprs: 40
; NumVgprs: 94
; ScratchSize: 0
; MemoryBound: 0
; FloatMode: 240
; IeeeMode: 1
; LDSByteSize: 2048 bytes/workgroup (compile time only)
; SGPRBlocks: 0
; VGPRBlocks: 11
; NumSGPRsForWavesPerEU: 40
; NumVGPRsForWavesPerEU: 94
; Occupancy: 10
; WaveLimiterHint : 1
; COMPUTE_PGM_RSRC2:SCRATCH_EN: 0
; COMPUTE_PGM_RSRC2:USER_SGPR: 6
; COMPUTE_PGM_RSRC2:TRAP_HANDLER: 0
; COMPUTE_PGM_RSRC2:TGID_X_EN: 1
; COMPUTE_PGM_RSRC2:TGID_Y_EN: 1
; COMPUTE_PGM_RSRC2:TGID_Z_EN: 1
; COMPUTE_PGM_RSRC2:TIDIG_COMP_CNT: 1
	.section	.text._ZN12_GLOBAL__N_127rocblas_gemm_batched_kernelIiLi16ELi16ELi64ELi64ELi4ELi64ELi4ELi4ELi64ELc84ELc67EKPKaKPKiKPiEEvlllT_PT11_llSB_llS9_PT12_llPT13_lli,"axG",@progbits,_ZN12_GLOBAL__N_127rocblas_gemm_batched_kernelIiLi16ELi16ELi64ELi64ELi4ELi64ELi4ELi4ELi64ELc84ELc67EKPKaKPKiKPiEEvlllT_PT11_llSB_llS9_PT12_llPT13_lli,comdat
	.globl	_ZN12_GLOBAL__N_127rocblas_gemm_batched_kernelIiLi16ELi16ELi64ELi64ELi4ELi64ELi4ELi4ELi64ELc84ELc67EKPKaKPKiKPiEEvlllT_PT11_llSB_llS9_PT12_llPT13_lli ; -- Begin function _ZN12_GLOBAL__N_127rocblas_gemm_batched_kernelIiLi16ELi16ELi64ELi64ELi4ELi64ELi4ELi4ELi64ELc84ELc67EKPKaKPKiKPiEEvlllT_PT11_llSB_llS9_PT12_llPT13_lli
	.p2align	8
	.type	_ZN12_GLOBAL__N_127rocblas_gemm_batched_kernelIiLi16ELi16ELi64ELi64ELi4ELi64ELi4ELi4ELi64ELc84ELc67EKPKaKPKiKPiEEvlllT_PT11_llSB_llS9_PT12_llPT13_lli,@function
_ZN12_GLOBAL__N_127rocblas_gemm_batched_kernelIiLi16ELi16ELi64ELi64ELi4ELi64ELi4ELi4ELi64ELc84ELc67EKPKaKPKiKPiEEvlllT_PT11_llSB_llS9_PT12_llPT13_lli: ; @_ZN12_GLOBAL__N_127rocblas_gemm_batched_kernelIiLi16ELi16ELi64ELi64ELi4ELi64ELi4ELi4ELi64ELc84ELc67EKPKaKPKiKPiEEvlllT_PT11_llSB_llS9_PT12_llPT13_lli
; %bb.0:
	s_clause 0x1
	s_load_dwordx8 s[12:19], s[4:5], 0x58
	s_load_dwordx2 s[28:29], s[4:5], 0x10
	s_mov_b32 s9, 0
	s_mov_b32 s0, s7
	s_lshl_b64 s[34:35], s[8:9], 3
	s_load_dwordx4 s[8:11], s[4:5], 0x78
	v_mov_b32_e32 v4, 0
	v_mov_b32_e32 v16, 0
	;; [unrolled: 1-line block ×14, first 2 shown]
	s_waitcnt lgkmcnt(0)
	s_add_u32 s2, s12, s34
	s_addc_u32 s3, s13, s35
	s_add_u32 s18, s18, s34
	s_addc_u32 s19, s19, s35
	s_load_dwordx2 s[12:13], s[2:3], 0x0
	s_load_dwordx2 s[18:19], s[18:19], 0x0
	v_cmp_lt_i64_e64 s20, s[28:29], 1
	v_mov_b32_e32 v9, 0
	v_mov_b32_e32 v8, 0
	s_ashr_i32 s7, s6, 31
	s_ashr_i32 s1, s0, 31
	s_lshl_b64 s[6:7], s[6:7], 6
	s_and_b32 vcc_lo, exec_lo, s20
	s_lshl_b64 s[30:31], s[0:1], 6
	s_cbranch_vccnz .LBB203_3
; %bb.1:
	s_clause 0x1
	s_load_dwordx8 s[20:27], s[4:5], 0x20
	s_load_dwordx4 s[0:3], s[4:5], 0x40
	v_lshlrev_b32_e32 v4, 4, v1
	v_and_b32_e32 v9, 3, v0
	v_mov_b32_e32 v8, 0
	v_lshlrev_b32_e32 v5, 2, v0
	v_mov_b32_e32 v18, 0
	v_add_nc_u32_e32 v2, v4, v0
	v_lshlrev_b32_e32 v3, 2, v9
	v_add_nc_u32_e32 v17, 0x400, v4
	v_mov_b32_e32 v19, 0
	v_mov_b32_e32 v20, 0
	v_lshrrev_b32_e32 v7, 2, v2
	v_and_b32_e32 v6, 63, v2
	v_lshrrev_b32_e32 v10, 6, v2
	v_mov_b32_e32 v21, 0
	v_mov_b32_e32 v16, 0
	v_lshl_or_b32 v12, v7, 4, v3
	v_lshlrev_b32_e32 v11, 2, v6
	s_waitcnt lgkmcnt(0)
	s_add_u32 s20, s20, s34
	v_add_co_u32 v2, s2, s2, v7
	s_addc_u32 s21, s21, s35
	v_add_co_ci_u32_e64 v3, null, s3, 0, s2
	s_add_u32 s2, s26, s34
	s_addc_u32 s3, s27, s35
	v_add_co_u32 v13, s26, s6, v6
	v_add_co_ci_u32_e64 v14, null, s7, 0, s26
	s_load_dwordx2 s[26:27], s[2:3], 0x0
	s_load_dwordx2 s[20:21], s[20:21], 0x0
	v_add_co_u32 v6, s2, s24, v10
	v_mad_u64_u32 v[2:3], null, s0, v9, v[2:3]
	v_add_co_ci_u32_e64 v7, null, s25, 0, s2
	v_mul_lo_u32 v14, s22, v14
	v_mul_lo_u32 v15, s23, v13
	s_lshl_b64 s[2:3], s[0:1], 2
	v_mad_u64_u32 v[6:7], null, s22, v13, v[6:7]
	v_mad_u64_u32 v[3:4], null, s1, v9, v[3:4]
	v_lshl_or_b32 v22, v10, 8, v11
	v_add_nc_u32_e32 v23, 0x400, v12
	v_mov_b32_e32 v9, 0
	v_mov_b32_e32 v10, 0
	v_add3_u32 v4, v15, v7, v14
	s_waitcnt lgkmcnt(0)
	s_add_u32 s0, s26, s30
	s_addc_u32 s1, s27, s31
	v_add_co_u32 v2, vcc_lo, s0, v2
	v_add_co_ci_u32_e64 v3, null, s1, v3, vcc_lo
	v_add_co_u32 v24, vcc_lo, s20, v6
	v_add_co_ci_u32_e64 v25, null, s21, v4, vcc_lo
	v_mov_b32_e32 v6, 0
	v_mov_b32_e32 v7, 0
	v_mov_b32_e32 v11, 0
	v_mov_b32_e32 v12, 0
	v_mov_b32_e32 v13, 0
	v_mov_b32_e32 v14, 0
	v_mov_b32_e32 v15, 0
	v_mov_b32_e32 v4, 0
	s_mov_b64 s[20:21], 0
.LBB203_2:                              ; =>This Inner Loop Header: Depth=1
	v_add_co_u32 v26, vcc_lo, v24, s20
	v_add_co_ci_u32_e64 v27, null, s21, v25, vcc_lo
	s_add_u32 s20, s20, 4
	s_addc_u32 s21, s21, 0
	v_cmp_lt_i64_e64 s0, s[20:21], s[28:29]
	flat_load_sbyte v26, v[26:27]
	s_and_b32 vcc_lo, exec_lo, s0
	s_waitcnt vmcnt(0) lgkmcnt(0)
	ds_write_b32 v22, v26
	flat_load_sbyte v26, v[2:3]
	v_add_co_u32 v2, s0, v2, s2
	v_add_co_ci_u32_e64 v3, null, s3, v3, s0
	s_waitcnt vmcnt(0) lgkmcnt(0)
	ds_write_b32 v23, v26
	s_waitcnt lgkmcnt(0)
	s_barrier
	buffer_gl0_inv
	ds_read_b128 v[26:29], v17
	ds_read2_b32 v[42:43], v5 offset1:16
	ds_read2_b32 v[44:45], v5 offset0:32 offset1:48
	ds_read2_b32 v[46:47], v5 offset0:64 offset1:80
	ds_read2_b32 v[48:49], v5 offset0:96 offset1:112
	ds_read2_b32 v[50:51], v5 offset0:128 offset1:144
	ds_read2_b32 v[52:53], v5 offset0:160 offset1:176
	ds_read2_b32 v[54:55], v5 offset0:192 offset1:208
	ds_read2_b32 v[56:57], v5 offset0:224 offset1:240
	ds_read_b128 v[30:33], v17 offset:256
	ds_read_b128 v[34:37], v17 offset:512
	;; [unrolled: 1-line block ×3, first 2 shown]
	s_waitcnt lgkmcnt(0)
	s_barrier
	buffer_gl0_inv
	v_mul_lo_u32 v58, v26, v42
	v_mul_lo_u32 v59, v26, v43
	;; [unrolled: 1-line block ×64, first 2 shown]
	v_add3_u32 v4, v4, v58, v61
	v_add3_u32 v16, v16, v59, v62
	;; [unrolled: 1-line block ×32, first 2 shown]
	s_cbranch_vccnz .LBB203_2
.LBB203_3:
	s_clause 0x1
	s_load_dword s1, s[4:5], 0x18
	s_load_dword s0, s[4:5], 0x50
	v_add_co_u32 v22, s2, s30, v1
	v_add_co_ci_u32_e64 v23, null, s31, 0, s2
	v_add_co_u32 v24, s2, s6, v0
	v_add_co_ci_u32_e64 v25, null, s7, 0, s2
	s_lshl_b64 s[2:3], s[10:11], 2
	s_waitcnt lgkmcnt(0)
	v_mul_lo_u32 v17, v4, s1
	v_mul_lo_u32 v16, v16, s1
	;; [unrolled: 1-line block ×18, first 2 shown]
	v_lshlrev_b64 v[8:9], 2, v[24:25]
	s_add_u32 s1, s18, s2
	s_addc_u32 s2, s19, s3
	s_cmp_eq_u32 s0, 0
	s_mov_b32 s3, 0
	s_cbranch_scc1 .LBB203_7
; %bb.4:
	v_mul_lo_u32 v23, v23, s14
	v_mul_lo_u32 v24, v22, s15
	v_mad_u64_u32 v[20:21], null, v22, s14, 0
	s_lshl_b64 s[4:5], s[16:17], 2
	s_add_u32 s4, s12, s4
	s_addc_u32 s5, s13, s5
	s_lshl_b64 s[6:7], s[8:9], 6
	v_add3_u32 v21, v21, v24, v23
	v_mad_u64_u32 v[23:24], null, v22, s8, 0
	v_lshlrev_b64 v[20:21], 2, v[20:21]
	v_add3_u32 v24, v24, v19, v18
	v_add_co_u32 v28, vcc_lo, s4, v20
	v_add_co_ci_u32_e64 v29, null, s5, v21, vcc_lo
	v_lshlrev_b64 v[23:24], 2, v[23:24]
	v_add_co_u32 v20, vcc_lo, v28, v8
	v_add_co_ci_u32_e64 v21, null, v29, v9, vcc_lo
	s_lshl_b64 s[4:5], s[14:15], 6
	v_add_co_u32 v30, vcc_lo, s1, v23
	flat_load_dword v25, v[20:21]
	v_add_co_ci_u32_e64 v31, null, s2, v24, vcc_lo
	s_waitcnt vmcnt(0) lgkmcnt(0)
	v_mad_u64_u32 v[23:24], null, v25, s0, v[17:18]
	v_add_co_u32 v24, vcc_lo, v30, v8
	v_add_co_ci_u32_e64 v25, null, v31, v9, vcc_lo
	v_add_co_u32 v28, vcc_lo, v28, s4
	v_add_co_ci_u32_e64 v29, null, s5, v29, vcc_lo
	flat_store_dword v[24:25], v23
	flat_load_dword v23, v[20:21] offset:64
	s_waitcnt vmcnt(0) lgkmcnt(0)
	v_mad_u64_u32 v[26:27], null, v23, s0, v[16:17]
	flat_store_dword v[24:25], v26 offset:64
	flat_load_dword v23, v[20:21] offset:128
	s_waitcnt vmcnt(0) lgkmcnt(0)
	v_mad_u64_u32 v[26:27], null, v23, s0, v[15:16]
	flat_store_dword v[24:25], v26 offset:128
	flat_load_dword v20, v[20:21] offset:192
	v_add_co_u32 v26, vcc_lo, v28, v8
	v_add_co_ci_u32_e64 v27, null, v29, v9, vcc_lo
	v_add_co_u32 v30, vcc_lo, v30, s6
	v_add_co_ci_u32_e64 v31, null, s7, v31, vcc_lo
	v_add_co_u32 v23, vcc_lo, v30, v8
	s_waitcnt vmcnt(0) lgkmcnt(0)
	v_mad_u64_u32 v[20:21], null, v20, s0, v[14:15]
	flat_store_dword v[24:25], v20 offset:192
	flat_load_dword v20, v[26:27]
	v_add_co_ci_u32_e64 v24, null, v31, v9, vcc_lo
	s_waitcnt vmcnt(0) lgkmcnt(0)
	v_mad_u64_u32 v[20:21], null, v20, s0, v[13:14]
	flat_store_dword v[23:24], v20
	flat_load_dword v20, v[26:27] offset:64
	s_waitcnt vmcnt(0) lgkmcnt(0)
	v_mad_u64_u32 v[20:21], null, v20, s0, v[12:13]
	flat_store_dword v[23:24], v20 offset:64
	flat_load_dword v20, v[26:27] offset:128
	s_waitcnt vmcnt(0) lgkmcnt(0)
	v_mad_u64_u32 v[20:21], null, v20, s0, v[11:12]
	flat_store_dword v[23:24], v20 offset:128
	flat_load_dword v20, v[26:27] offset:192
	v_add_co_u32 v27, vcc_lo, v28, s4
	v_add_co_ci_u32_e64 v28, null, s5, v29, vcc_lo
	v_add_co_u32 v25, vcc_lo, v27, v8
	v_add_co_ci_u32_e64 v26, null, v28, v9, vcc_lo
	;; [unrolled: 2-line block ×3, first 2 shown]
	s_waitcnt vmcnt(0) lgkmcnt(0)
	v_mad_u64_u32 v[20:21], null, v20, s0, v[10:11]
	flat_store_dword v[23:24], v20 offset:192
	flat_load_dword v20, v[25:26]
	v_add_co_u32 v23, vcc_lo, v29, v8
	v_add_co_ci_u32_e64 v24, null, v30, v9, vcc_lo
	s_waitcnt vmcnt(0) lgkmcnt(0)
	v_mad_u64_u32 v[20:21], null, v20, s0, v[7:8]
	flat_store_dword v[23:24], v20
	flat_load_dword v20, v[25:26] offset:64
	s_waitcnt vmcnt(0) lgkmcnt(0)
	v_mad_u64_u32 v[20:21], null, v20, s0, v[6:7]
	flat_store_dword v[23:24], v20 offset:64
	flat_load_dword v20, v[25:26] offset:128
	s_waitcnt vmcnt(0) lgkmcnt(0)
	v_mad_u64_u32 v[20:21], null, v20, s0, v[5:6]
	flat_store_dword v[23:24], v20 offset:128
	flat_load_dword v20, v[25:26] offset:192
	v_add_co_u32 v25, vcc_lo, v27, s4
	v_add_co_ci_u32_e64 v26, null, s5, v28, vcc_lo
	v_add_co_u32 v25, vcc_lo, v25, v8
	v_add_co_ci_u32_e64 v26, null, v26, v9, vcc_lo
	s_waitcnt vmcnt(0) lgkmcnt(0)
	v_mad_u64_u32 v[20:21], null, v20, s0, v[4:5]
	flat_store_dword v[23:24], v20 offset:192
	flat_load_dword v20, v[25:26]
	v_add_co_u32 v23, vcc_lo, v29, s6
	v_add_co_ci_u32_e64 v24, null, s7, v30, vcc_lo
	v_add_co_u32 v23, vcc_lo, v23, v8
	v_add_co_ci_u32_e64 v24, null, v24, v9, vcc_lo
	s_waitcnt vmcnt(0) lgkmcnt(0)
	v_mad_u64_u32 v[20:21], null, v20, s0, v[3:4]
	flat_store_dword v[23:24], v20
	flat_load_dword v20, v[25:26] offset:64
	s_waitcnt vmcnt(0) lgkmcnt(0)
	v_mad_u64_u32 v[20:21], null, v20, s0, v[2:3]
	flat_store_dword v[23:24], v20 offset:64
	flat_load_dword v20, v[25:26] offset:128
	s_waitcnt vmcnt(0) lgkmcnt(0)
	v_mad_u64_u32 v[20:21], null, v20, s0, v[1:2]
	flat_store_dword v[23:24], v20 offset:128
	flat_load_dword v20, v[25:26] offset:192
	s_waitcnt vmcnt(0) lgkmcnt(0)
	v_mad_u64_u32 v[20:21], null, v20, s0, v[0:1]
	flat_store_dword v[23:24], v20 offset:192
	s_andn2_b32 vcc_lo, exec_lo, s3
	s_cbranch_vccnz .LBB203_6
.LBB203_5:
	v_mad_u64_u32 v[20:21], null, v22, s8, 0
	v_add3_u32 v21, v21, v19, v18
	v_lshlrev_b64 v[18:19], 2, v[20:21]
	v_add_co_u32 v20, vcc_lo, s1, v18
	v_add_co_ci_u32_e64 v21, null, s2, v19, vcc_lo
	s_lshl_b64 s[0:1], s[8:9], 6
	v_add_co_u32 v18, vcc_lo, v20, v8
	v_add_co_ci_u32_e64 v19, null, v21, v9, vcc_lo
	v_add_co_u32 v20, vcc_lo, v20, s0
	v_add_co_ci_u32_e64 v21, null, s1, v21, vcc_lo
	flat_store_dword v[18:19], v17
	flat_store_dword v[18:19], v16 offset:64
	flat_store_dword v[18:19], v15 offset:128
	;; [unrolled: 1-line block ×3, first 2 shown]
	v_add_co_u32 v14, vcc_lo, v20, v8
	v_add_co_ci_u32_e64 v15, null, v21, v9, vcc_lo
	v_add_co_u32 v16, vcc_lo, v20, s0
	v_add_co_ci_u32_e64 v17, null, s1, v21, vcc_lo
	flat_store_dword v[14:15], v13
	flat_store_dword v[14:15], v12 offset:64
	flat_store_dword v[14:15], v11 offset:128
	;; [unrolled: 1-line block ×3, first 2 shown]
	v_add_co_u32 v12, vcc_lo, v16, s0
	v_add_co_ci_u32_e64 v13, null, s1, v17, vcc_lo
	v_add_co_u32 v10, vcc_lo, v16, v8
	v_add_co_ci_u32_e64 v11, null, v17, v9, vcc_lo
	;; [unrolled: 2-line block ×3, first 2 shown]
	flat_store_dword v[10:11], v7
	flat_store_dword v[10:11], v6 offset:64
	flat_store_dword v[10:11], v5 offset:128
	;; [unrolled: 1-line block ×3, first 2 shown]
	flat_store_dword v[8:9], v3
	flat_store_dword v[8:9], v2 offset:64
	flat_store_dword v[8:9], v1 offset:128
	;; [unrolled: 1-line block ×3, first 2 shown]
.LBB203_6:
	s_endpgm
.LBB203_7:
	s_branch .LBB203_5
	.section	.rodata,"a",@progbits
	.p2align	6, 0x0
	.amdhsa_kernel _ZN12_GLOBAL__N_127rocblas_gemm_batched_kernelIiLi16ELi16ELi64ELi64ELi4ELi64ELi4ELi4ELi64ELc84ELc67EKPKaKPKiKPiEEvlllT_PT11_llSB_llS9_PT12_llPT13_lli
		.amdhsa_group_segment_fixed_size 2048
		.amdhsa_private_segment_fixed_size 0
		.amdhsa_kernarg_size 140
		.amdhsa_user_sgpr_count 6
		.amdhsa_user_sgpr_private_segment_buffer 1
		.amdhsa_user_sgpr_dispatch_ptr 0
		.amdhsa_user_sgpr_queue_ptr 0
		.amdhsa_user_sgpr_kernarg_segment_ptr 1
		.amdhsa_user_sgpr_dispatch_id 0
		.amdhsa_user_sgpr_flat_scratch_init 0
		.amdhsa_user_sgpr_private_segment_size 0
		.amdhsa_wavefront_size32 1
		.amdhsa_uses_dynamic_stack 0
		.amdhsa_system_sgpr_private_segment_wavefront_offset 0
		.amdhsa_system_sgpr_workgroup_id_x 1
		.amdhsa_system_sgpr_workgroup_id_y 1
		.amdhsa_system_sgpr_workgroup_id_z 1
		.amdhsa_system_sgpr_workgroup_info 0
		.amdhsa_system_vgpr_workitem_id 1
		.amdhsa_next_free_vgpr 94
		.amdhsa_next_free_sgpr 36
		.amdhsa_reserve_vcc 1
		.amdhsa_reserve_flat_scratch 0
		.amdhsa_float_round_mode_32 0
		.amdhsa_float_round_mode_16_64 0
		.amdhsa_float_denorm_mode_32 3
		.amdhsa_float_denorm_mode_16_64 3
		.amdhsa_dx10_clamp 1
		.amdhsa_ieee_mode 1
		.amdhsa_fp16_overflow 0
		.amdhsa_workgroup_processor_mode 1
		.amdhsa_memory_ordered 1
		.amdhsa_forward_progress 1
		.amdhsa_shared_vgpr_count 0
		.amdhsa_exception_fp_ieee_invalid_op 0
		.amdhsa_exception_fp_denorm_src 0
		.amdhsa_exception_fp_ieee_div_zero 0
		.amdhsa_exception_fp_ieee_overflow 0
		.amdhsa_exception_fp_ieee_underflow 0
		.amdhsa_exception_fp_ieee_inexact 0
		.amdhsa_exception_int_div_zero 0
	.end_amdhsa_kernel
	.section	.text._ZN12_GLOBAL__N_127rocblas_gemm_batched_kernelIiLi16ELi16ELi64ELi64ELi4ELi64ELi4ELi4ELi64ELc84ELc67EKPKaKPKiKPiEEvlllT_PT11_llSB_llS9_PT12_llPT13_lli,"axG",@progbits,_ZN12_GLOBAL__N_127rocblas_gemm_batched_kernelIiLi16ELi16ELi64ELi64ELi4ELi64ELi4ELi4ELi64ELc84ELc67EKPKaKPKiKPiEEvlllT_PT11_llSB_llS9_PT12_llPT13_lli,comdat
.Lfunc_end203:
	.size	_ZN12_GLOBAL__N_127rocblas_gemm_batched_kernelIiLi16ELi16ELi64ELi64ELi4ELi64ELi4ELi4ELi64ELc84ELc67EKPKaKPKiKPiEEvlllT_PT11_llSB_llS9_PT12_llPT13_lli, .Lfunc_end203-_ZN12_GLOBAL__N_127rocblas_gemm_batched_kernelIiLi16ELi16ELi64ELi64ELi4ELi64ELi4ELi4ELi64ELc84ELc67EKPKaKPKiKPiEEvlllT_PT11_llSB_llS9_PT12_llPT13_lli
                                        ; -- End function
	.set _ZN12_GLOBAL__N_127rocblas_gemm_batched_kernelIiLi16ELi16ELi64ELi64ELi4ELi64ELi4ELi4ELi64ELc84ELc67EKPKaKPKiKPiEEvlllT_PT11_llSB_llS9_PT12_llPT13_lli.num_vgpr, 94
	.set _ZN12_GLOBAL__N_127rocblas_gemm_batched_kernelIiLi16ELi16ELi64ELi64ELi4ELi64ELi4ELi4ELi64ELc84ELc67EKPKaKPKiKPiEEvlllT_PT11_llSB_llS9_PT12_llPT13_lli.num_agpr, 0
	.set _ZN12_GLOBAL__N_127rocblas_gemm_batched_kernelIiLi16ELi16ELi64ELi64ELi4ELi64ELi4ELi4ELi64ELc84ELc67EKPKaKPKiKPiEEvlllT_PT11_llSB_llS9_PT12_llPT13_lli.numbered_sgpr, 36
	.set _ZN12_GLOBAL__N_127rocblas_gemm_batched_kernelIiLi16ELi16ELi64ELi64ELi4ELi64ELi4ELi4ELi64ELc84ELc67EKPKaKPKiKPiEEvlllT_PT11_llSB_llS9_PT12_llPT13_lli.num_named_barrier, 0
	.set _ZN12_GLOBAL__N_127rocblas_gemm_batched_kernelIiLi16ELi16ELi64ELi64ELi4ELi64ELi4ELi4ELi64ELc84ELc67EKPKaKPKiKPiEEvlllT_PT11_llSB_llS9_PT12_llPT13_lli.private_seg_size, 0
	.set _ZN12_GLOBAL__N_127rocblas_gemm_batched_kernelIiLi16ELi16ELi64ELi64ELi4ELi64ELi4ELi4ELi64ELc84ELc67EKPKaKPKiKPiEEvlllT_PT11_llSB_llS9_PT12_llPT13_lli.uses_vcc, 1
	.set _ZN12_GLOBAL__N_127rocblas_gemm_batched_kernelIiLi16ELi16ELi64ELi64ELi4ELi64ELi4ELi4ELi64ELc84ELc67EKPKaKPKiKPiEEvlllT_PT11_llSB_llS9_PT12_llPT13_lli.uses_flat_scratch, 0
	.set _ZN12_GLOBAL__N_127rocblas_gemm_batched_kernelIiLi16ELi16ELi64ELi64ELi4ELi64ELi4ELi4ELi64ELc84ELc67EKPKaKPKiKPiEEvlllT_PT11_llSB_llS9_PT12_llPT13_lli.has_dyn_sized_stack, 0
	.set _ZN12_GLOBAL__N_127rocblas_gemm_batched_kernelIiLi16ELi16ELi64ELi64ELi4ELi64ELi4ELi4ELi64ELc84ELc67EKPKaKPKiKPiEEvlllT_PT11_llSB_llS9_PT12_llPT13_lli.has_recursion, 0
	.set _ZN12_GLOBAL__N_127rocblas_gemm_batched_kernelIiLi16ELi16ELi64ELi64ELi4ELi64ELi4ELi4ELi64ELc84ELc67EKPKaKPKiKPiEEvlllT_PT11_llSB_llS9_PT12_llPT13_lli.has_indirect_call, 0
	.section	.AMDGPU.csdata,"",@progbits
; Kernel info:
; codeLenInByte = 2820
; TotalNumSgprs: 38
; NumVgprs: 94
; ScratchSize: 0
; MemoryBound: 0
; FloatMode: 240
; IeeeMode: 1
; LDSByteSize: 2048 bytes/workgroup (compile time only)
; SGPRBlocks: 0
; VGPRBlocks: 11
; NumSGPRsForWavesPerEU: 38
; NumVGPRsForWavesPerEU: 94
; Occupancy: 10
; WaveLimiterHint : 1
; COMPUTE_PGM_RSRC2:SCRATCH_EN: 0
; COMPUTE_PGM_RSRC2:USER_SGPR: 6
; COMPUTE_PGM_RSRC2:TRAP_HANDLER: 0
; COMPUTE_PGM_RSRC2:TGID_X_EN: 1
; COMPUTE_PGM_RSRC2:TGID_Y_EN: 1
; COMPUTE_PGM_RSRC2:TGID_Z_EN: 1
; COMPUTE_PGM_RSRC2:TIDIG_COMP_CNT: 1
	.section	.text._ZN12_GLOBAL__N_127rocblas_gemm_batched_kernelIiLi16ELi16ELi32ELi32ELi8ELi32ELi8ELi8ELi32ELc78ELc78EKPKaKPKiKPiEEvlllT_PT11_llSB_llS9_PT12_llPT13_lli,"axG",@progbits,_ZN12_GLOBAL__N_127rocblas_gemm_batched_kernelIiLi16ELi16ELi32ELi32ELi8ELi32ELi8ELi8ELi32ELc78ELc78EKPKaKPKiKPiEEvlllT_PT11_llSB_llS9_PT12_llPT13_lli,comdat
	.globl	_ZN12_GLOBAL__N_127rocblas_gemm_batched_kernelIiLi16ELi16ELi32ELi32ELi8ELi32ELi8ELi8ELi32ELc78ELc78EKPKaKPKiKPiEEvlllT_PT11_llSB_llS9_PT12_llPT13_lli ; -- Begin function _ZN12_GLOBAL__N_127rocblas_gemm_batched_kernelIiLi16ELi16ELi32ELi32ELi8ELi32ELi8ELi8ELi32ELc78ELc78EKPKaKPKiKPiEEvlllT_PT11_llSB_llS9_PT12_llPT13_lli
	.p2align	8
	.type	_ZN12_GLOBAL__N_127rocblas_gemm_batched_kernelIiLi16ELi16ELi32ELi32ELi8ELi32ELi8ELi8ELi32ELc78ELc78EKPKaKPKiKPiEEvlllT_PT11_llSB_llS9_PT12_llPT13_lli,@function
_ZN12_GLOBAL__N_127rocblas_gemm_batched_kernelIiLi16ELi16ELi32ELi32ELi8ELi32ELi8ELi8ELi32ELc78ELc78EKPKaKPKiKPiEEvlllT_PT11_llSB_llS9_PT12_llPT13_lli: ; @_ZN12_GLOBAL__N_127rocblas_gemm_batched_kernelIiLi16ELi16ELi32ELi32ELi8ELi32ELi8ELi8ELi32ELc78ELc78EKPKaKPKiKPiEEvlllT_PT11_llSB_llS9_PT12_llPT13_lli
; %bb.0:
	s_clause 0x1
	s_load_dwordx8 s[12:19], s[4:5], 0x58
	s_load_dwordx2 s[28:29], s[4:5], 0x10
	s_mov_b32 s9, 0
	s_load_dwordx4 s[0:3], s[4:5], 0x78
	s_lshl_b64 s[34:35], s[8:9], 3
	s_mov_b32 s10, s7
	v_mov_b32_e32 v6, 0
	v_mov_b32_e32 v8, 0
	;; [unrolled: 1-line block ×4, first 2 shown]
	s_waitcnt lgkmcnt(0)
	s_add_u32 s8, s12, s34
	s_addc_u32 s9, s13, s35
	s_add_u32 s18, s18, s34
	s_addc_u32 s19, s19, s35
	s_load_dwordx2 s[12:13], s[8:9], 0x0
	s_load_dwordx2 s[18:19], s[18:19], 0x0
	v_cmp_lt_i64_e64 s8, s[28:29], 1
	s_ashr_i32 s7, s6, 31
	s_ashr_i32 s11, s10, 31
	s_lshl_b64 s[6:7], s[6:7], 5
	s_lshl_b64 s[30:31], s[10:11], 5
	s_and_b32 vcc_lo, exec_lo, s8
	s_cbranch_vccnz .LBB204_3
; %bb.1:
	s_clause 0x1
	s_load_dwordx8 s[20:27], s[4:5], 0x20
	s_load_dwordx4 s[8:11], s[4:5], 0x40
	v_lshl_add_u32 v2, v1, 4, v0
	v_and_b32_e32 v12, 7, v0
	v_mov_b32_e32 v4, 0
	v_lshlrev_b32_e32 v5, 2, v0
	v_lshrrev_b32_e32 v8, 3, v2
	v_lshrrev_b32_e32 v14, 5, v2
	v_lshlrev_b32_e32 v9, 2, v12
	v_and_b32_e32 v13, 31, v2
	v_add_co_u32 v6, s33, v8, s30
	v_add_co_ci_u32_e64 v3, null, 0, s31, s33
	v_lshl_or_b32 v8, v8, 5, v9
	v_lshlrev_b32_e32 v10, 2, v13
	v_lshl_add_u32 v9, v1, 5, 0x400
	s_waitcnt lgkmcnt(0)
	s_add_u32 s36, s20, s34
	s_addc_u32 s37, s21, s35
	s_add_u32 s26, s26, s34
	s_addc_u32 s27, s27, s35
	s_lshl_b64 s[20:21], s[22:23], 3
	v_mul_lo_u32 v15, s8, v3
	v_mul_lo_u32 v16, s9, v6
	s_add_u32 s24, s6, s24
	v_mad_u64_u32 v[6:7], null, s8, v6, s[10:11]
	s_load_dwordx2 s[8:9], s[26:27], 0x0
	s_addc_u32 s25, s7, s25
	s_load_dwordx2 s[10:11], s[36:37], 0x0
	v_mad_u64_u32 v[2:3], null, s22, v14, s[24:25]
	v_add_nc_u32_e32 v11, 0x400, v8
	v_add3_u32 v15, v16, v7, v15
	v_lshl_or_b32 v10, v14, 7, v10
	v_mad_u64_u32 v[7:8], null, s23, v14, v[3:4]
	v_add_co_u32 v3, vcc_lo, v6, v12
	v_add_co_ci_u32_e64 v6, null, 0, v15, vcc_lo
	v_add_co_u32 v2, vcc_lo, v2, v13
	v_add_co_ci_u32_e64 v7, null, 0, v7, vcc_lo
	s_waitcnt lgkmcnt(0)
	v_add_co_u32 v12, vcc_lo, s8, v3
	v_add_co_ci_u32_e64 v13, null, s9, v6, vcc_lo
	v_add_co_u32 v2, vcc_lo, s10, v2
	v_add_co_ci_u32_e64 v3, null, s11, v7, vcc_lo
	v_mov_b32_e32 v7, 0
	v_mov_b32_e32 v8, 0
	;; [unrolled: 1-line block ×3, first 2 shown]
	s_mov_b64 s[8:9], 0
.LBB204_2:                              ; =>This Inner Loop Header: Depth=1
	flat_load_sbyte v16, v[2:3]
	v_add_co_u32 v14, vcc_lo, v12, s8
	v_add_co_ci_u32_e64 v15, null, s9, v13, vcc_lo
	s_add_u32 s8, s8, 8
	s_addc_u32 s9, s9, 0
	v_add_co_u32 v2, vcc_lo, v2, s20
	v_cmp_lt_i64_e64 s10, s[8:9], s[28:29]
	v_add_co_ci_u32_e64 v3, null, s21, v3, vcc_lo
	s_and_b32 vcc_lo, exec_lo, s10
	s_waitcnt vmcnt(0) lgkmcnt(0)
	ds_write_b32 v10, v16
	flat_load_sbyte v14, v[14:15]
	s_waitcnt vmcnt(0) lgkmcnt(0)
	ds_write_b32 v11, v14
	s_waitcnt lgkmcnt(0)
	s_barrier
	buffer_gl0_inv
	ds_read_b128 v[14:17], v9
	ds_read2_b32 v[30:31], v5 offset1:16
	ds_read_b128 v[18:21], v9 offset:512
	ds_read2_b32 v[32:33], v5 offset0:32 offset1:48
	ds_read2_b32 v[34:35], v5 offset0:64 offset1:80
	;; [unrolled: 1-line block ×3, first 2 shown]
	ds_read_b128 v[22:25], v9 offset:16
	ds_read2_b32 v[38:39], v5 offset0:128 offset1:144
	ds_read_b128 v[26:29], v9 offset:528
	ds_read2_b32 v[40:41], v5 offset0:160 offset1:176
	ds_read2_b32 v[42:43], v5 offset0:192 offset1:208
	;; [unrolled: 1-line block ×3, first 2 shown]
	s_waitcnt lgkmcnt(0)
	s_barrier
	buffer_gl0_inv
	v_mul_lo_u32 v46, v14, v30
	v_mul_lo_u32 v14, v14, v31
	;; [unrolled: 1-line block ×16, first 2 shown]
	v_add3_u32 v6, v6, v46, v31
	v_add3_u32 v8, v8, v14, v15
	;; [unrolled: 1-line block ×4, first 2 shown]
	v_mul_lo_u32 v37, v22, v38
	v_mul_lo_u32 v22, v22, v39
	;; [unrolled: 1-line block ×8, first 2 shown]
	v_add3_u32 v6, v6, v33, v35
	v_add3_u32 v8, v8, v16, v17
	;; [unrolled: 1-line block ×4, first 2 shown]
	v_mul_lo_u32 v41, v24, v42
	v_mul_lo_u32 v24, v24, v43
	;; [unrolled: 1-line block ×8, first 2 shown]
	v_add3_u32 v6, v6, v37, v39
	v_add3_u32 v8, v8, v22, v23
	;; [unrolled: 1-line block ×8, first 2 shown]
	s_cbranch_vccnz .LBB204_2
.LBB204_3:
	s_clause 0x1
	s_load_dword s8, s[4:5], 0x18
	s_load_dword s4, s[4:5], 0x50
	v_add_co_u32 v9, s5, s30, v1
	v_add_co_ci_u32_e64 v11, null, s31, 0, s5
	v_add_co_u32 v12, s5, s6, v0
	v_add_co_ci_u32_e64 v13, null, s7, 0, s5
	v_mul_lo_u32 v10, v11, s0
	s_lshl_b64 s[2:3], s[2:3], 2
	s_mov_b32 s5, 0
	s_waitcnt lgkmcnt(0)
	s_add_u32 s2, s18, s2
	s_addc_u32 s3, s19, s3
	v_mul_lo_u32 v3, v6, s8
	v_mul_lo_u32 v2, v8, s8
	;; [unrolled: 1-line block ×5, first 2 shown]
	v_lshlrev_b64 v[4:5], 2, v[12:13]
	s_cmp_eq_u32 s4, 0
	s_cbranch_scc1 .LBB204_7
; %bb.4:
	v_mul_lo_u32 v11, v11, s14
	v_mul_lo_u32 v12, v9, s15
	v_mad_u64_u32 v[7:8], null, v9, s14, 0
	s_lshl_b64 s[6:7], s[16:17], 2
	s_add_u32 s6, s12, s6
	s_addc_u32 s7, s13, s7
	v_add3_u32 v8, v8, v12, v11
	v_mad_u64_u32 v[11:12], null, v9, s0, 0
	v_lshlrev_b64 v[7:8], 2, v[7:8]
	v_add3_u32 v12, v12, v6, v10
	v_add_co_u32 v14, vcc_lo, s6, v7
	v_add_co_ci_u32_e64 v15, null, s7, v8, vcc_lo
	v_lshlrev_b64 v[11:12], 2, v[11:12]
	v_add_co_u32 v7, vcc_lo, v14, v4
	v_add_co_ci_u32_e64 v8, null, v15, v5, vcc_lo
	s_lshl_b64 s[6:7], s[14:15], 6
	v_add_co_u32 v16, vcc_lo, s2, v11
	flat_load_dword v13, v[7:8]
	v_add_co_ci_u32_e64 v17, null, s3, v12, vcc_lo
	s_waitcnt vmcnt(0) lgkmcnt(0)
	v_mad_u64_u32 v[11:12], null, v13, s4, v[3:4]
	v_add_co_u32 v12, vcc_lo, v16, v4
	v_add_co_ci_u32_e64 v13, null, v17, v5, vcc_lo
	flat_store_dword v[12:13], v11
	flat_load_dword v7, v[7:8] offset:64
	v_add_co_u32 v11, vcc_lo, v14, s6
	v_add_co_ci_u32_e64 v15, null, s7, v15, vcc_lo
	s_lshl_b64 s[6:7], s[0:1], 6
	v_add_co_u32 v14, vcc_lo, v11, v4
	v_add_co_ci_u32_e64 v15, null, v15, v5, vcc_lo
	v_add_co_u32 v11, vcc_lo, v16, s6
	s_waitcnt vmcnt(0) lgkmcnt(0)
	v_mad_u64_u32 v[7:8], null, v7, s4, v[2:3]
	flat_store_dword v[12:13], v7 offset:64
	flat_load_dword v7, v[14:15]
	v_add_co_ci_u32_e64 v12, null, s7, v17, vcc_lo
	v_add_co_u32 v11, vcc_lo, v11, v4
	v_add_co_ci_u32_e64 v12, null, v12, v5, vcc_lo
	s_waitcnt vmcnt(0) lgkmcnt(0)
	v_mad_u64_u32 v[7:8], null, v7, s4, v[1:2]
	flat_store_dword v[11:12], v7
	flat_load_dword v7, v[14:15] offset:64
	s_waitcnt vmcnt(0) lgkmcnt(0)
	v_mad_u64_u32 v[7:8], null, v7, s4, v[0:1]
	flat_store_dword v[11:12], v7 offset:64
	s_andn2_b32 vcc_lo, exec_lo, s5
	s_cbranch_vccnz .LBB204_6
.LBB204_5:
	v_mad_u64_u32 v[7:8], null, v9, s0, 0
	s_lshl_b64 s[0:1], s[0:1], 6
	v_add3_u32 v8, v8, v6, v10
	v_lshlrev_b64 v[6:7], 2, v[7:8]
	v_add_co_u32 v6, vcc_lo, s2, v6
	v_add_co_ci_u32_e64 v7, null, s3, v7, vcc_lo
	v_add_co_u32 v8, vcc_lo, v6, s0
	v_add_co_ci_u32_e64 v9, null, s1, v7, vcc_lo
	;; [unrolled: 2-line block ×4, first 2 shown]
	flat_store_dword v[6:7], v3
	flat_store_dword v[6:7], v2 offset:64
	flat_store_dword v[4:5], v1
	flat_store_dword v[4:5], v0 offset:64
.LBB204_6:
	s_endpgm
.LBB204_7:
	s_branch .LBB204_5
	.section	.rodata,"a",@progbits
	.p2align	6, 0x0
	.amdhsa_kernel _ZN12_GLOBAL__N_127rocblas_gemm_batched_kernelIiLi16ELi16ELi32ELi32ELi8ELi32ELi8ELi8ELi32ELc78ELc78EKPKaKPKiKPiEEvlllT_PT11_llSB_llS9_PT12_llPT13_lli
		.amdhsa_group_segment_fixed_size 2048
		.amdhsa_private_segment_fixed_size 0
		.amdhsa_kernarg_size 140
		.amdhsa_user_sgpr_count 6
		.amdhsa_user_sgpr_private_segment_buffer 1
		.amdhsa_user_sgpr_dispatch_ptr 0
		.amdhsa_user_sgpr_queue_ptr 0
		.amdhsa_user_sgpr_kernarg_segment_ptr 1
		.amdhsa_user_sgpr_dispatch_id 0
		.amdhsa_user_sgpr_flat_scratch_init 0
		.amdhsa_user_sgpr_private_segment_size 0
		.amdhsa_wavefront_size32 1
		.amdhsa_uses_dynamic_stack 0
		.amdhsa_system_sgpr_private_segment_wavefront_offset 0
		.amdhsa_system_sgpr_workgroup_id_x 1
		.amdhsa_system_sgpr_workgroup_id_y 1
		.amdhsa_system_sgpr_workgroup_id_z 1
		.amdhsa_system_sgpr_workgroup_info 0
		.amdhsa_system_vgpr_workitem_id 1
		.amdhsa_next_free_vgpr 47
		.amdhsa_next_free_sgpr 38
		.amdhsa_reserve_vcc 1
		.amdhsa_reserve_flat_scratch 0
		.amdhsa_float_round_mode_32 0
		.amdhsa_float_round_mode_16_64 0
		.amdhsa_float_denorm_mode_32 3
		.amdhsa_float_denorm_mode_16_64 3
		.amdhsa_dx10_clamp 1
		.amdhsa_ieee_mode 1
		.amdhsa_fp16_overflow 0
		.amdhsa_workgroup_processor_mode 1
		.amdhsa_memory_ordered 1
		.amdhsa_forward_progress 1
		.amdhsa_shared_vgpr_count 0
		.amdhsa_exception_fp_ieee_invalid_op 0
		.amdhsa_exception_fp_denorm_src 0
		.amdhsa_exception_fp_ieee_div_zero 0
		.amdhsa_exception_fp_ieee_overflow 0
		.amdhsa_exception_fp_ieee_underflow 0
		.amdhsa_exception_fp_ieee_inexact 0
		.amdhsa_exception_int_div_zero 0
	.end_amdhsa_kernel
	.section	.text._ZN12_GLOBAL__N_127rocblas_gemm_batched_kernelIiLi16ELi16ELi32ELi32ELi8ELi32ELi8ELi8ELi32ELc78ELc78EKPKaKPKiKPiEEvlllT_PT11_llSB_llS9_PT12_llPT13_lli,"axG",@progbits,_ZN12_GLOBAL__N_127rocblas_gemm_batched_kernelIiLi16ELi16ELi32ELi32ELi8ELi32ELi8ELi8ELi32ELc78ELc78EKPKaKPKiKPiEEvlllT_PT11_llSB_llS9_PT12_llPT13_lli,comdat
.Lfunc_end204:
	.size	_ZN12_GLOBAL__N_127rocblas_gemm_batched_kernelIiLi16ELi16ELi32ELi32ELi8ELi32ELi8ELi8ELi32ELc78ELc78EKPKaKPKiKPiEEvlllT_PT11_llSB_llS9_PT12_llPT13_lli, .Lfunc_end204-_ZN12_GLOBAL__N_127rocblas_gemm_batched_kernelIiLi16ELi16ELi32ELi32ELi8ELi32ELi8ELi8ELi32ELc78ELc78EKPKaKPKiKPiEEvlllT_PT11_llSB_llS9_PT12_llPT13_lli
                                        ; -- End function
	.set _ZN12_GLOBAL__N_127rocblas_gemm_batched_kernelIiLi16ELi16ELi32ELi32ELi8ELi32ELi8ELi8ELi32ELc78ELc78EKPKaKPKiKPiEEvlllT_PT11_llSB_llS9_PT12_llPT13_lli.num_vgpr, 47
	.set _ZN12_GLOBAL__N_127rocblas_gemm_batched_kernelIiLi16ELi16ELi32ELi32ELi8ELi32ELi8ELi8ELi32ELc78ELc78EKPKaKPKiKPiEEvlllT_PT11_llSB_llS9_PT12_llPT13_lli.num_agpr, 0
	.set _ZN12_GLOBAL__N_127rocblas_gemm_batched_kernelIiLi16ELi16ELi32ELi32ELi8ELi32ELi8ELi8ELi32ELc78ELc78EKPKaKPKiKPiEEvlllT_PT11_llSB_llS9_PT12_llPT13_lli.numbered_sgpr, 38
	.set _ZN12_GLOBAL__N_127rocblas_gemm_batched_kernelIiLi16ELi16ELi32ELi32ELi8ELi32ELi8ELi8ELi32ELc78ELc78EKPKaKPKiKPiEEvlllT_PT11_llSB_llS9_PT12_llPT13_lli.num_named_barrier, 0
	.set _ZN12_GLOBAL__N_127rocblas_gemm_batched_kernelIiLi16ELi16ELi32ELi32ELi8ELi32ELi8ELi8ELi32ELc78ELc78EKPKaKPKiKPiEEvlllT_PT11_llSB_llS9_PT12_llPT13_lli.private_seg_size, 0
	.set _ZN12_GLOBAL__N_127rocblas_gemm_batched_kernelIiLi16ELi16ELi32ELi32ELi8ELi32ELi8ELi8ELi32ELc78ELc78EKPKaKPKiKPiEEvlllT_PT11_llSB_llS9_PT12_llPT13_lli.uses_vcc, 1
	.set _ZN12_GLOBAL__N_127rocblas_gemm_batched_kernelIiLi16ELi16ELi32ELi32ELi8ELi32ELi8ELi8ELi32ELc78ELc78EKPKaKPKiKPiEEvlllT_PT11_llSB_llS9_PT12_llPT13_lli.uses_flat_scratch, 0
	.set _ZN12_GLOBAL__N_127rocblas_gemm_batched_kernelIiLi16ELi16ELi32ELi32ELi8ELi32ELi8ELi8ELi32ELc78ELc78EKPKaKPKiKPiEEvlllT_PT11_llSB_llS9_PT12_llPT13_lli.has_dyn_sized_stack, 0
	.set _ZN12_GLOBAL__N_127rocblas_gemm_batched_kernelIiLi16ELi16ELi32ELi32ELi8ELi32ELi8ELi8ELi32ELc78ELc78EKPKaKPKiKPiEEvlllT_PT11_llSB_llS9_PT12_llPT13_lli.has_recursion, 0
	.set _ZN12_GLOBAL__N_127rocblas_gemm_batched_kernelIiLi16ELi16ELi32ELi32ELi8ELi32ELi8ELi8ELi32ELc78ELc78EKPKaKPKiKPiEEvlllT_PT11_llSB_llS9_PT12_llPT13_lli.has_indirect_call, 0
	.section	.AMDGPU.csdata,"",@progbits
; Kernel info:
; codeLenInByte = 1624
; TotalNumSgprs: 40
; NumVgprs: 47
; ScratchSize: 0
; MemoryBound: 0
; FloatMode: 240
; IeeeMode: 1
; LDSByteSize: 2048 bytes/workgroup (compile time only)
; SGPRBlocks: 0
; VGPRBlocks: 5
; NumSGPRsForWavesPerEU: 40
; NumVGPRsForWavesPerEU: 47
; Occupancy: 16
; WaveLimiterHint : 1
; COMPUTE_PGM_RSRC2:SCRATCH_EN: 0
; COMPUTE_PGM_RSRC2:USER_SGPR: 6
; COMPUTE_PGM_RSRC2:TRAP_HANDLER: 0
; COMPUTE_PGM_RSRC2:TGID_X_EN: 1
; COMPUTE_PGM_RSRC2:TGID_Y_EN: 1
; COMPUTE_PGM_RSRC2:TGID_Z_EN: 1
; COMPUTE_PGM_RSRC2:TIDIG_COMP_CNT: 1
	.section	.text._ZN12_GLOBAL__N_127rocblas_gemm_batched_kernelIiLi16ELi16ELi32ELi32ELi8ELi32ELi8ELi8ELi32ELc84ELc78EKPKaKPKiKPiEEvlllT_PT11_llSB_llS9_PT12_llPT13_lli,"axG",@progbits,_ZN12_GLOBAL__N_127rocblas_gemm_batched_kernelIiLi16ELi16ELi32ELi32ELi8ELi32ELi8ELi8ELi32ELc84ELc78EKPKaKPKiKPiEEvlllT_PT11_llSB_llS9_PT12_llPT13_lli,comdat
	.globl	_ZN12_GLOBAL__N_127rocblas_gemm_batched_kernelIiLi16ELi16ELi32ELi32ELi8ELi32ELi8ELi8ELi32ELc84ELc78EKPKaKPKiKPiEEvlllT_PT11_llSB_llS9_PT12_llPT13_lli ; -- Begin function _ZN12_GLOBAL__N_127rocblas_gemm_batched_kernelIiLi16ELi16ELi32ELi32ELi8ELi32ELi8ELi8ELi32ELc84ELc78EKPKaKPKiKPiEEvlllT_PT11_llSB_llS9_PT12_llPT13_lli
	.p2align	8
	.type	_ZN12_GLOBAL__N_127rocblas_gemm_batched_kernelIiLi16ELi16ELi32ELi32ELi8ELi32ELi8ELi8ELi32ELc84ELc78EKPKaKPKiKPiEEvlllT_PT11_llSB_llS9_PT12_llPT13_lli,@function
_ZN12_GLOBAL__N_127rocblas_gemm_batched_kernelIiLi16ELi16ELi32ELi32ELi8ELi32ELi8ELi8ELi32ELc84ELc78EKPKaKPKiKPiEEvlllT_PT11_llSB_llS9_PT12_llPT13_lli: ; @_ZN12_GLOBAL__N_127rocblas_gemm_batched_kernelIiLi16ELi16ELi32ELi32ELi8ELi32ELi8ELi8ELi32ELc84ELc78EKPKaKPKiKPiEEvlllT_PT11_llSB_llS9_PT12_llPT13_lli
; %bb.0:
	s_clause 0x1
	s_load_dwordx8 s[12:19], s[4:5], 0x58
	s_load_dwordx2 s[28:29], s[4:5], 0x10
	s_mov_b32 s9, 0
	s_load_dwordx4 s[0:3], s[4:5], 0x78
	s_lshl_b64 s[30:31], s[8:9], 3
	s_mov_b32 s20, s7
	v_mov_b32_e32 v2, 0
	v_mov_b32_e32 v6, 0
	;; [unrolled: 1-line block ×4, first 2 shown]
	s_waitcnt lgkmcnt(0)
	s_add_u32 s8, s12, s30
	s_addc_u32 s9, s13, s31
	s_add_u32 s10, s18, s30
	s_addc_u32 s11, s19, s31
	s_load_dwordx2 s[8:9], s[8:9], 0x0
	s_load_dwordx2 s[10:11], s[10:11], 0x0
	v_cmp_lt_i64_e64 s12, s[28:29], 1
	s_ashr_i32 s7, s6, 31
	s_ashr_i32 s21, s20, 31
	s_lshl_b64 s[6:7], s[6:7], 5
	s_and_b32 vcc_lo, exec_lo, s12
	s_lshl_b64 s[12:13], s[20:21], 5
	s_cbranch_vccnz .LBB205_3
; %bb.1:
	s_clause 0x1
	s_load_dwordx8 s[20:27], s[4:5], 0x20
	s_load_dwordx4 s[36:39], s[4:5], 0x40
	v_lshl_add_u32 v2, v1, 4, v0
	v_and_b32_e32 v10, 7, v0
	v_mov_b32_e32 v4, 0
	v_lshrrev_b32_e32 v3, 3, v2
	v_and_b32_e32 v7, 31, v2
	v_lshrrev_b32_e32 v2, 5, v2
	v_lshlrev_b32_e32 v5, 2, v10
	v_add_co_u32 v6, s18, v3, s12
	v_add_co_ci_u32_e64 v8, null, 0, s13, s18
	v_lshl_or_b32 v12, v3, 5, v5
	v_lshlrev_b32_e32 v11, 2, v7
	s_waitcnt lgkmcnt(0)
	s_add_u32 s18, s20, s30
	s_addc_u32 s19, s21, s31
	s_add_u32 s20, s26, s30
	s_addc_u32 s21, s27, s31
	s_load_dwordx2 s[18:19], s[18:19], 0x0
	s_load_dwordx2 s[20:21], s[20:21], 0x0
	v_mul_lo_u32 v14, s36, v8
	v_add_co_u32 v8, s24, s24, v2
	v_mul_lo_u32 v15, s37, v6
	v_mad_u64_u32 v[5:6], null, s36, v6, s[38:39]
	v_add_co_ci_u32_e64 v9, null, s25, 0, s24
	v_add_co_u32 v16, s24, s6, v7
	v_add_co_ci_u32_e64 v17, null, s7, 0, s24
	v_lshl_or_b32 v3, v2, 7, v11
	v_add_nc_u32_e32 v7, 0x400, v12
	v_mad_u64_u32 v[12:13], null, s22, v16, v[8:9]
	v_mul_lo_u32 v2, s22, v17
	v_mul_lo_u32 v11, s23, v16
	v_add3_u32 v6, v15, v6, v14
	v_add_co_u32 v5, vcc_lo, v5, v10
	v_lshlrev_b32_e32 v8, 2, v0
	v_lshl_add_u32 v9, v1, 5, 0x400
	v_add_co_ci_u32_e64 v6, null, 0, v6, vcc_lo
	v_add3_u32 v2, v11, v13, v2
	s_waitcnt lgkmcnt(0)
	v_add_co_u32 v10, vcc_lo, s20, v5
	v_add_co_ci_u32_e64 v11, null, s21, v6, vcc_lo
	v_add_co_u32 v12, vcc_lo, s18, v12
	v_add_co_ci_u32_e64 v13, null, s19, v2, vcc_lo
	v_mov_b32_e32 v5, 0
	v_mov_b32_e32 v6, 0
	;; [unrolled: 1-line block ×3, first 2 shown]
	s_mov_b64 s[18:19], 0
.LBB205_2:                              ; =>This Inner Loop Header: Depth=1
	v_add_co_u32 v14, vcc_lo, v12, s18
	v_add_co_ci_u32_e64 v15, null, s19, v13, vcc_lo
	flat_load_sbyte v16, v[14:15]
	v_add_co_u32 v14, vcc_lo, v10, s18
	v_add_co_ci_u32_e64 v15, null, s19, v11, vcc_lo
	s_add_u32 s18, s18, 8
	s_addc_u32 s19, s19, 0
	v_cmp_lt_i64_e64 s20, s[18:19], s[28:29]
	s_and_b32 vcc_lo, exec_lo, s20
	s_waitcnt vmcnt(0) lgkmcnt(0)
	ds_write_b32 v3, v16
	flat_load_sbyte v14, v[14:15]
	s_waitcnt vmcnt(0) lgkmcnt(0)
	ds_write_b32 v7, v14
	s_waitcnt lgkmcnt(0)
	s_barrier
	buffer_gl0_inv
	ds_read_b128 v[14:17], v9
	ds_read2_b32 v[30:31], v8 offset1:16
	ds_read_b128 v[18:21], v9 offset:512
	ds_read2_b32 v[32:33], v8 offset0:32 offset1:48
	ds_read2_b32 v[34:35], v8 offset0:64 offset1:80
	;; [unrolled: 1-line block ×3, first 2 shown]
	ds_read_b128 v[22:25], v9 offset:16
	ds_read2_b32 v[38:39], v8 offset0:128 offset1:144
	ds_read_b128 v[26:29], v9 offset:528
	ds_read2_b32 v[40:41], v8 offset0:160 offset1:176
	ds_read2_b32 v[42:43], v8 offset0:192 offset1:208
	;; [unrolled: 1-line block ×3, first 2 shown]
	s_waitcnt lgkmcnt(0)
	s_barrier
	buffer_gl0_inv
	v_mul_lo_u32 v46, v14, v30
	v_mul_lo_u32 v14, v14, v31
	;; [unrolled: 1-line block ×16, first 2 shown]
	v_add3_u32 v2, v2, v46, v31
	v_add3_u32 v6, v6, v14, v15
	;; [unrolled: 1-line block ×4, first 2 shown]
	v_mul_lo_u32 v37, v22, v38
	v_mul_lo_u32 v22, v22, v39
	;; [unrolled: 1-line block ×8, first 2 shown]
	v_add3_u32 v2, v2, v33, v35
	v_add3_u32 v6, v6, v16, v17
	;; [unrolled: 1-line block ×4, first 2 shown]
	v_mul_lo_u32 v41, v24, v42
	v_mul_lo_u32 v24, v24, v43
	;; [unrolled: 1-line block ×8, first 2 shown]
	v_add3_u32 v2, v2, v37, v39
	v_add3_u32 v6, v6, v22, v23
	;; [unrolled: 1-line block ×8, first 2 shown]
	s_cbranch_vccnz .LBB205_2
.LBB205_3:
	s_clause 0x1
	s_load_dword s18, s[4:5], 0x18
	s_load_dword s4, s[4:5], 0x50
	v_add_co_u32 v7, s5, s12, v1
	v_add_co_ci_u32_e64 v9, null, s13, 0, s5
	v_add_co_u32 v10, s5, s6, v0
	v_add_co_ci_u32_e64 v11, null, s7, 0, s5
	v_mul_lo_u32 v8, v9, s0
	s_lshl_b64 s[2:3], s[2:3], 2
	s_mov_b32 s5, 0
	s_waitcnt lgkmcnt(0)
	s_add_u32 s2, s10, s2
	s_addc_u32 s3, s11, s3
	v_mul_lo_u32 v3, v2, s18
	v_mul_lo_u32 v2, v6, s18
	v_mul_lo_u32 v1, v5, s18
	v_mul_lo_u32 v0, v4, s18
	v_mul_lo_u32 v6, v7, s1
	v_lshlrev_b64 v[4:5], 2, v[10:11]
	s_cmp_eq_u32 s4, 0
	s_cbranch_scc1 .LBB205_7
; %bb.4:
	v_mul_lo_u32 v11, v9, s14
	v_mul_lo_u32 v12, v7, s15
	v_mad_u64_u32 v[9:10], null, v7, s14, 0
	s_lshl_b64 s[6:7], s[16:17], 2
	s_add_u32 s6, s8, s6
	s_addc_u32 s7, s9, s7
	v_add3_u32 v10, v10, v12, v11
	v_mad_u64_u32 v[11:12], null, v7, s0, 0
	v_lshlrev_b64 v[9:10], 2, v[9:10]
	v_add3_u32 v12, v12, v6, v8
	v_add_co_u32 v14, vcc_lo, s6, v9
	v_add_co_ci_u32_e64 v15, null, s7, v10, vcc_lo
	v_lshlrev_b64 v[11:12], 2, v[11:12]
	v_add_co_u32 v9, vcc_lo, v14, v4
	v_add_co_ci_u32_e64 v10, null, v15, v5, vcc_lo
	s_lshl_b64 s[6:7], s[14:15], 6
	v_add_co_u32 v16, vcc_lo, s2, v11
	flat_load_dword v13, v[9:10]
	v_add_co_ci_u32_e64 v17, null, s3, v12, vcc_lo
	s_waitcnt vmcnt(0) lgkmcnt(0)
	v_mad_u64_u32 v[11:12], null, v13, s4, v[3:4]
	v_add_co_u32 v12, vcc_lo, v16, v4
	v_add_co_ci_u32_e64 v13, null, v17, v5, vcc_lo
	flat_store_dword v[12:13], v11
	flat_load_dword v9, v[9:10] offset:64
	v_add_co_u32 v11, vcc_lo, v14, s6
	v_add_co_ci_u32_e64 v14, null, s7, v15, vcc_lo
	s_lshl_b64 s[6:7], s[0:1], 6
	s_waitcnt vmcnt(0) lgkmcnt(0)
	v_mad_u64_u32 v[9:10], null, v9, s4, v[2:3]
	v_add_co_u32 v10, vcc_lo, v11, v4
	v_add_co_ci_u32_e64 v11, null, v14, v5, vcc_lo
	v_add_co_u32 v14, vcc_lo, v16, s6
	flat_store_dword v[12:13], v9 offset:64
	flat_load_dword v9, v[10:11]
	v_add_co_ci_u32_e64 v15, null, s7, v17, vcc_lo
	s_waitcnt vmcnt(0) lgkmcnt(0)
	v_mad_u64_u32 v[12:13], null, v9, s4, v[1:2]
	v_add_co_u32 v13, vcc_lo, v14, v4
	v_add_co_ci_u32_e64 v14, null, v15, v5, vcc_lo
	flat_store_dword v[13:14], v12
	flat_load_dword v9, v[10:11] offset:64
	s_waitcnt vmcnt(0) lgkmcnt(0)
	v_mad_u64_u32 v[9:10], null, v9, s4, v[0:1]
	flat_store_dword v[13:14], v9 offset:64
	s_andn2_b32 vcc_lo, exec_lo, s5
	s_cbranch_vccnz .LBB205_6
.LBB205_5:
	v_mad_u64_u32 v[9:10], null, v7, s0, 0
	s_lshl_b64 s[0:1], s[0:1], 6
	v_add3_u32 v10, v10, v6, v8
	v_lshlrev_b64 v[6:7], 2, v[9:10]
	v_add_co_u32 v6, vcc_lo, s2, v6
	v_add_co_ci_u32_e64 v7, null, s3, v7, vcc_lo
	v_add_co_u32 v8, vcc_lo, v6, s0
	v_add_co_ci_u32_e64 v9, null, s1, v7, vcc_lo
	;; [unrolled: 2-line block ×4, first 2 shown]
	flat_store_dword v[6:7], v3
	flat_store_dword v[6:7], v2 offset:64
	flat_store_dword v[4:5], v1
	flat_store_dword v[4:5], v0 offset:64
.LBB205_6:
	s_endpgm
.LBB205_7:
	s_branch .LBB205_5
	.section	.rodata,"a",@progbits
	.p2align	6, 0x0
	.amdhsa_kernel _ZN12_GLOBAL__N_127rocblas_gemm_batched_kernelIiLi16ELi16ELi32ELi32ELi8ELi32ELi8ELi8ELi32ELc84ELc78EKPKaKPKiKPiEEvlllT_PT11_llSB_llS9_PT12_llPT13_lli
		.amdhsa_group_segment_fixed_size 2048
		.amdhsa_private_segment_fixed_size 0
		.amdhsa_kernarg_size 140
		.amdhsa_user_sgpr_count 6
		.amdhsa_user_sgpr_private_segment_buffer 1
		.amdhsa_user_sgpr_dispatch_ptr 0
		.amdhsa_user_sgpr_queue_ptr 0
		.amdhsa_user_sgpr_kernarg_segment_ptr 1
		.amdhsa_user_sgpr_dispatch_id 0
		.amdhsa_user_sgpr_flat_scratch_init 0
		.amdhsa_user_sgpr_private_segment_size 0
		.amdhsa_wavefront_size32 1
		.amdhsa_uses_dynamic_stack 0
		.amdhsa_system_sgpr_private_segment_wavefront_offset 0
		.amdhsa_system_sgpr_workgroup_id_x 1
		.amdhsa_system_sgpr_workgroup_id_y 1
		.amdhsa_system_sgpr_workgroup_id_z 1
		.amdhsa_system_sgpr_workgroup_info 0
		.amdhsa_system_vgpr_workitem_id 1
		.amdhsa_next_free_vgpr 47
		.amdhsa_next_free_sgpr 40
		.amdhsa_reserve_vcc 1
		.amdhsa_reserve_flat_scratch 0
		.amdhsa_float_round_mode_32 0
		.amdhsa_float_round_mode_16_64 0
		.amdhsa_float_denorm_mode_32 3
		.amdhsa_float_denorm_mode_16_64 3
		.amdhsa_dx10_clamp 1
		.amdhsa_ieee_mode 1
		.amdhsa_fp16_overflow 0
		.amdhsa_workgroup_processor_mode 1
		.amdhsa_memory_ordered 1
		.amdhsa_forward_progress 1
		.amdhsa_shared_vgpr_count 0
		.amdhsa_exception_fp_ieee_invalid_op 0
		.amdhsa_exception_fp_denorm_src 0
		.amdhsa_exception_fp_ieee_div_zero 0
		.amdhsa_exception_fp_ieee_overflow 0
		.amdhsa_exception_fp_ieee_underflow 0
		.amdhsa_exception_fp_ieee_inexact 0
		.amdhsa_exception_int_div_zero 0
	.end_amdhsa_kernel
	.section	.text._ZN12_GLOBAL__N_127rocblas_gemm_batched_kernelIiLi16ELi16ELi32ELi32ELi8ELi32ELi8ELi8ELi32ELc84ELc78EKPKaKPKiKPiEEvlllT_PT11_llSB_llS9_PT12_llPT13_lli,"axG",@progbits,_ZN12_GLOBAL__N_127rocblas_gemm_batched_kernelIiLi16ELi16ELi32ELi32ELi8ELi32ELi8ELi8ELi32ELc84ELc78EKPKaKPKiKPiEEvlllT_PT11_llSB_llS9_PT12_llPT13_lli,comdat
.Lfunc_end205:
	.size	_ZN12_GLOBAL__N_127rocblas_gemm_batched_kernelIiLi16ELi16ELi32ELi32ELi8ELi32ELi8ELi8ELi32ELc84ELc78EKPKaKPKiKPiEEvlllT_PT11_llSB_llS9_PT12_llPT13_lli, .Lfunc_end205-_ZN12_GLOBAL__N_127rocblas_gemm_batched_kernelIiLi16ELi16ELi32ELi32ELi8ELi32ELi8ELi8ELi32ELc84ELc78EKPKaKPKiKPiEEvlllT_PT11_llSB_llS9_PT12_llPT13_lli
                                        ; -- End function
	.set _ZN12_GLOBAL__N_127rocblas_gemm_batched_kernelIiLi16ELi16ELi32ELi32ELi8ELi32ELi8ELi8ELi32ELc84ELc78EKPKaKPKiKPiEEvlllT_PT11_llSB_llS9_PT12_llPT13_lli.num_vgpr, 47
	.set _ZN12_GLOBAL__N_127rocblas_gemm_batched_kernelIiLi16ELi16ELi32ELi32ELi8ELi32ELi8ELi8ELi32ELc84ELc78EKPKaKPKiKPiEEvlllT_PT11_llSB_llS9_PT12_llPT13_lli.num_agpr, 0
	.set _ZN12_GLOBAL__N_127rocblas_gemm_batched_kernelIiLi16ELi16ELi32ELi32ELi8ELi32ELi8ELi8ELi32ELc84ELc78EKPKaKPKiKPiEEvlllT_PT11_llSB_llS9_PT12_llPT13_lli.numbered_sgpr, 40
	.set _ZN12_GLOBAL__N_127rocblas_gemm_batched_kernelIiLi16ELi16ELi32ELi32ELi8ELi32ELi8ELi8ELi32ELc84ELc78EKPKaKPKiKPiEEvlllT_PT11_llSB_llS9_PT12_llPT13_lli.num_named_barrier, 0
	.set _ZN12_GLOBAL__N_127rocblas_gemm_batched_kernelIiLi16ELi16ELi32ELi32ELi8ELi32ELi8ELi8ELi32ELc84ELc78EKPKaKPKiKPiEEvlllT_PT11_llSB_llS9_PT12_llPT13_lli.private_seg_size, 0
	.set _ZN12_GLOBAL__N_127rocblas_gemm_batched_kernelIiLi16ELi16ELi32ELi32ELi8ELi32ELi8ELi8ELi32ELc84ELc78EKPKaKPKiKPiEEvlllT_PT11_llSB_llS9_PT12_llPT13_lli.uses_vcc, 1
	.set _ZN12_GLOBAL__N_127rocblas_gemm_batched_kernelIiLi16ELi16ELi32ELi32ELi8ELi32ELi8ELi8ELi32ELc84ELc78EKPKaKPKiKPiEEvlllT_PT11_llSB_llS9_PT12_llPT13_lli.uses_flat_scratch, 0
	.set _ZN12_GLOBAL__N_127rocblas_gemm_batched_kernelIiLi16ELi16ELi32ELi32ELi8ELi32ELi8ELi8ELi32ELc84ELc78EKPKaKPKiKPiEEvlllT_PT11_llSB_llS9_PT12_llPT13_lli.has_dyn_sized_stack, 0
	.set _ZN12_GLOBAL__N_127rocblas_gemm_batched_kernelIiLi16ELi16ELi32ELi32ELi8ELi32ELi8ELi8ELi32ELc84ELc78EKPKaKPKiKPiEEvlllT_PT11_llSB_llS9_PT12_llPT13_lli.has_recursion, 0
	.set _ZN12_GLOBAL__N_127rocblas_gemm_batched_kernelIiLi16ELi16ELi32ELi32ELi8ELi32ELi8ELi8ELi32ELc84ELc78EKPKaKPKiKPiEEvlllT_PT11_llSB_llS9_PT12_llPT13_lli.has_indirect_call, 0
	.section	.AMDGPU.csdata,"",@progbits
; Kernel info:
; codeLenInByte = 1644
; TotalNumSgprs: 42
; NumVgprs: 47
; ScratchSize: 0
; MemoryBound: 0
; FloatMode: 240
; IeeeMode: 1
; LDSByteSize: 2048 bytes/workgroup (compile time only)
; SGPRBlocks: 0
; VGPRBlocks: 5
; NumSGPRsForWavesPerEU: 42
; NumVGPRsForWavesPerEU: 47
; Occupancy: 16
; WaveLimiterHint : 1
; COMPUTE_PGM_RSRC2:SCRATCH_EN: 0
; COMPUTE_PGM_RSRC2:USER_SGPR: 6
; COMPUTE_PGM_RSRC2:TRAP_HANDLER: 0
; COMPUTE_PGM_RSRC2:TGID_X_EN: 1
; COMPUTE_PGM_RSRC2:TGID_Y_EN: 1
; COMPUTE_PGM_RSRC2:TGID_Z_EN: 1
; COMPUTE_PGM_RSRC2:TIDIG_COMP_CNT: 1
	.section	.text._ZN12_GLOBAL__N_127rocblas_gemm_batched_kernelIiLi16ELi16ELi32ELi32ELi8ELi32ELi8ELi8ELi32ELc78ELc84EKPKaKPKiKPiEEvlllT_PT11_llSB_llS9_PT12_llPT13_lli,"axG",@progbits,_ZN12_GLOBAL__N_127rocblas_gemm_batched_kernelIiLi16ELi16ELi32ELi32ELi8ELi32ELi8ELi8ELi32ELc78ELc84EKPKaKPKiKPiEEvlllT_PT11_llSB_llS9_PT12_llPT13_lli,comdat
	.globl	_ZN12_GLOBAL__N_127rocblas_gemm_batched_kernelIiLi16ELi16ELi32ELi32ELi8ELi32ELi8ELi8ELi32ELc78ELc84EKPKaKPKiKPiEEvlllT_PT11_llSB_llS9_PT12_llPT13_lli ; -- Begin function _ZN12_GLOBAL__N_127rocblas_gemm_batched_kernelIiLi16ELi16ELi32ELi32ELi8ELi32ELi8ELi8ELi32ELc78ELc84EKPKaKPKiKPiEEvlllT_PT11_llSB_llS9_PT12_llPT13_lli
	.p2align	8
	.type	_ZN12_GLOBAL__N_127rocblas_gemm_batched_kernelIiLi16ELi16ELi32ELi32ELi8ELi32ELi8ELi8ELi32ELc78ELc84EKPKaKPKiKPiEEvlllT_PT11_llSB_llS9_PT12_llPT13_lli,@function
_ZN12_GLOBAL__N_127rocblas_gemm_batched_kernelIiLi16ELi16ELi32ELi32ELi8ELi32ELi8ELi8ELi32ELc78ELc84EKPKaKPKiKPiEEvlllT_PT11_llSB_llS9_PT12_llPT13_lli: ; @_ZN12_GLOBAL__N_127rocblas_gemm_batched_kernelIiLi16ELi16ELi32ELi32ELi8ELi32ELi8ELi8ELi32ELc78ELc84EKPKaKPKiKPiEEvlllT_PT11_llSB_llS9_PT12_llPT13_lli
; %bb.0:
	s_clause 0x1
	s_load_dwordx8 s[12:19], s[4:5], 0x58
	s_load_dwordx2 s[28:29], s[4:5], 0x10
	s_mov_b32 s9, 0
	s_mov_b32 s0, s7
	s_lshl_b64 s[34:35], s[8:9], 3
	s_load_dwordx4 s[8:11], s[4:5], 0x78
	v_mov_b32_e32 v11, 0
	v_mov_b32_e32 v10, 0
	;; [unrolled: 1-line block ×4, first 2 shown]
	s_waitcnt lgkmcnt(0)
	s_add_u32 s2, s12, s34
	s_addc_u32 s3, s13, s35
	s_add_u32 s18, s18, s34
	s_addc_u32 s19, s19, s35
	s_load_dwordx2 s[12:13], s[2:3], 0x0
	s_load_dwordx2 s[18:19], s[18:19], 0x0
	v_cmp_lt_i64_e64 s2, s[28:29], 1
	s_ashr_i32 s7, s6, 31
	s_ashr_i32 s1, s0, 31
	s_lshl_b64 s[6:7], s[6:7], 5
	s_lshl_b64 s[30:31], s[0:1], 5
	s_and_b32 vcc_lo, exec_lo, s2
	s_cbranch_vccnz .LBB206_3
; %bb.1:
	s_clause 0x1
	s_load_dwordx8 s[20:27], s[4:5], 0x20
	s_load_dwordx4 s[0:3], s[4:5], 0x40
	v_lshl_add_u32 v10, v1, 4, v0
	v_and_b32_e32 v14, 7, v0
	v_mov_b32_e32 v6, 0
	v_lshlrev_b32_e32 v7, 2, v0
	v_lshl_add_u32 v8, v1, 5, 0x400
	v_lshrrev_b32_e32 v11, 3, v10
	v_lshrrev_b32_e32 v13, 5, v10
	v_and_b32_e32 v16, 31, v10
	v_lshlrev_b32_e32 v12, 2, v14
	v_mov_b32_e32 v9, 0
	v_mov_b32_e32 v10, 0
	v_lshlrev_b32_e32 v15, 2, v16
	v_lshl_or_b32 v17, v11, 5, v12
	s_waitcnt lgkmcnt(0)
	s_add_u32 s36, s20, s34
	s_addc_u32 s37, s21, s35
	s_add_u32 s20, s26, s34
	s_addc_u32 s21, s27, s35
	v_add_co_u32 v2, s2, s2, v11
	s_load_dwordx2 s[26:27], s[20:21], 0x0
	v_add_co_ci_u32_e64 v3, null, s3, 0, s2
	s_lshl_b64 s[2:3], s[22:23], 3
	s_lshl_b64 s[20:21], s[0:1], 3
	v_mad_u64_u32 v[2:3], null, s0, v14, v[2:3]
	s_waitcnt lgkmcnt(0)
	s_add_u32 s26, s26, s30
	s_addc_u32 s27, s27, s31
	s_add_u32 s24, s6, s24
	s_addc_u32 s25, s7, s25
	v_mad_u64_u32 v[4:5], null, s22, v13, s[24:25]
	s_load_dwordx2 s[24:25], s[36:37], 0x0
	v_mad_u64_u32 v[11:12], null, s23, v13, v[5:6]
	v_lshl_or_b32 v12, v13, 7, v15
	v_mad_u64_u32 v[14:15], null, s1, v14, v[3:4]
	v_add_co_u32 v4, vcc_lo, v4, v16
	v_add_nc_u32_e32 v13, 0x400, v17
	v_add_co_ci_u32_e64 v5, null, 0, v11, vcc_lo
	v_add_co_u32 v2, vcc_lo, s26, v2
	v_add_co_ci_u32_e64 v3, null, s27, v14, vcc_lo
	s_waitcnt lgkmcnt(0)
	v_add_co_u32 v4, vcc_lo, s24, v4
	v_add_co_ci_u32_e64 v5, null, s25, v5, vcc_lo
	v_mov_b32_e32 v11, 0
	s_mov_b64 s[22:23], 0
.LBB206_2:                              ; =>This Inner Loop Header: Depth=1
	flat_load_sbyte v14, v[4:5]
	s_add_u32 s22, s22, 8
	s_addc_u32 s23, s23, 0
	v_add_co_u32 v4, vcc_lo, v4, s2
	v_cmp_lt_i64_e64 s0, s[22:23], s[28:29]
	v_add_co_ci_u32_e64 v5, null, s3, v5, vcc_lo
	s_and_b32 vcc_lo, exec_lo, s0
	s_waitcnt vmcnt(0) lgkmcnt(0)
	ds_write_b32 v12, v14
	flat_load_sbyte v14, v[2:3]
	v_add_co_u32 v2, s0, v2, s20
	v_add_co_ci_u32_e64 v3, null, s21, v3, s0
	s_waitcnt vmcnt(0) lgkmcnt(0)
	ds_write_b32 v13, v14
	s_waitcnt lgkmcnt(0)
	s_barrier
	buffer_gl0_inv
	ds_read_b128 v[14:17], v8
	ds_read2_b32 v[30:31], v7 offset1:16
	ds_read_b128 v[18:21], v8 offset:512
	ds_read2_b32 v[32:33], v7 offset0:32 offset1:48
	ds_read2_b32 v[34:35], v7 offset0:64 offset1:80
	;; [unrolled: 1-line block ×3, first 2 shown]
	ds_read_b128 v[22:25], v8 offset:16
	ds_read2_b32 v[38:39], v7 offset0:128 offset1:144
	ds_read_b128 v[26:29], v8 offset:528
	ds_read2_b32 v[40:41], v7 offset0:160 offset1:176
	ds_read2_b32 v[42:43], v7 offset0:192 offset1:208
	;; [unrolled: 1-line block ×3, first 2 shown]
	s_waitcnt lgkmcnt(0)
	s_barrier
	buffer_gl0_inv
	v_mul_lo_u32 v46, v14, v30
	v_mul_lo_u32 v14, v14, v31
	;; [unrolled: 1-line block ×16, first 2 shown]
	v_add3_u32 v11, v11, v46, v31
	v_add3_u32 v10, v10, v14, v15
	;; [unrolled: 1-line block ×4, first 2 shown]
	v_mul_lo_u32 v37, v22, v38
	v_mul_lo_u32 v22, v22, v39
	;; [unrolled: 1-line block ×8, first 2 shown]
	v_add3_u32 v11, v11, v33, v35
	v_add3_u32 v10, v10, v16, v17
	;; [unrolled: 1-line block ×4, first 2 shown]
	v_mul_lo_u32 v41, v24, v42
	v_mul_lo_u32 v24, v24, v43
	;; [unrolled: 1-line block ×8, first 2 shown]
	v_add3_u32 v11, v11, v37, v39
	v_add3_u32 v10, v10, v22, v23
	;; [unrolled: 1-line block ×8, first 2 shown]
	s_cbranch_vccnz .LBB206_2
.LBB206_3:
	s_clause 0x1
	s_load_dword s1, s[4:5], 0x18
	s_load_dword s0, s[4:5], 0x50
	v_add_co_u32 v7, s2, s30, v1
	v_add_co_ci_u32_e64 v12, null, s31, 0, s2
	v_add_co_u32 v4, s2, s6, v0
	v_add_co_ci_u32_e64 v5, null, s7, 0, s2
	v_mul_lo_u32 v8, v12, s8
	s_lshl_b64 s[2:3], s[10:11], 2
	v_lshlrev_b64 v[4:5], 2, v[4:5]
	s_waitcnt lgkmcnt(0)
	v_mul_lo_u32 v3, v11, s1
	v_mul_lo_u32 v2, v10, s1
	;; [unrolled: 1-line block ×5, first 2 shown]
	s_add_u32 s1, s18, s2
	s_addc_u32 s2, s19, s3
	s_cmp_eq_u32 s0, 0
	s_mov_b32 s3, 0
	s_cbranch_scc1 .LBB206_7
; %bb.4:
	v_mul_lo_u32 v11, v12, s14
	v_mul_lo_u32 v12, v7, s15
	v_mad_u64_u32 v[9:10], null, v7, s14, 0
	s_lshl_b64 s[4:5], s[16:17], 2
	s_add_u32 s4, s12, s4
	s_addc_u32 s5, s13, s5
	v_add3_u32 v10, v10, v12, v11
	v_mad_u64_u32 v[11:12], null, v7, s8, 0
	v_lshlrev_b64 v[9:10], 2, v[9:10]
	v_add3_u32 v12, v12, v6, v8
	v_add_co_u32 v14, vcc_lo, s4, v9
	v_add_co_ci_u32_e64 v15, null, s5, v10, vcc_lo
	v_lshlrev_b64 v[11:12], 2, v[11:12]
	v_add_co_u32 v9, vcc_lo, v14, v4
	v_add_co_ci_u32_e64 v10, null, v15, v5, vcc_lo
	s_lshl_b64 s[4:5], s[14:15], 6
	v_add_co_u32 v16, vcc_lo, s1, v11
	flat_load_dword v13, v[9:10]
	v_add_co_ci_u32_e64 v17, null, s2, v12, vcc_lo
	s_waitcnt vmcnt(0) lgkmcnt(0)
	v_mad_u64_u32 v[11:12], null, v13, s0, v[3:4]
	v_add_co_u32 v12, vcc_lo, v16, v4
	v_add_co_ci_u32_e64 v13, null, v17, v5, vcc_lo
	flat_store_dword v[12:13], v11
	flat_load_dword v9, v[9:10] offset:64
	v_add_co_u32 v11, vcc_lo, v14, s4
	v_add_co_ci_u32_e64 v14, null, s5, v15, vcc_lo
	s_lshl_b64 s[4:5], s[8:9], 6
	s_waitcnt vmcnt(0) lgkmcnt(0)
	v_mad_u64_u32 v[9:10], null, v9, s0, v[2:3]
	v_add_co_u32 v10, vcc_lo, v11, v4
	v_add_co_ci_u32_e64 v11, null, v14, v5, vcc_lo
	v_add_co_u32 v14, vcc_lo, v16, s4
	flat_store_dword v[12:13], v9 offset:64
	flat_load_dword v9, v[10:11]
	v_add_co_ci_u32_e64 v15, null, s5, v17, vcc_lo
	s_waitcnt vmcnt(0) lgkmcnt(0)
	v_mad_u64_u32 v[12:13], null, v9, s0, v[1:2]
	v_add_co_u32 v13, vcc_lo, v14, v4
	v_add_co_ci_u32_e64 v14, null, v15, v5, vcc_lo
	flat_store_dword v[13:14], v12
	flat_load_dword v9, v[10:11] offset:64
	s_waitcnt vmcnt(0) lgkmcnt(0)
	v_mad_u64_u32 v[9:10], null, v9, s0, v[0:1]
	flat_store_dword v[13:14], v9 offset:64
	s_andn2_b32 vcc_lo, exec_lo, s3
	s_cbranch_vccnz .LBB206_6
.LBB206_5:
	v_mad_u64_u32 v[9:10], null, v7, s8, 0
	v_add3_u32 v10, v10, v6, v8
	v_lshlrev_b64 v[6:7], 2, v[9:10]
	v_add_co_u32 v6, vcc_lo, s1, v6
	v_add_co_ci_u32_e64 v7, null, s2, v7, vcc_lo
	s_lshl_b64 s[0:1], s[8:9], 6
	v_add_co_u32 v8, vcc_lo, v6, s0
	v_add_co_ci_u32_e64 v9, null, s1, v7, vcc_lo
	v_add_co_u32 v6, vcc_lo, v6, v4
	v_add_co_ci_u32_e64 v7, null, v7, v5, vcc_lo
	;; [unrolled: 2-line block ×3, first 2 shown]
	flat_store_dword v[6:7], v3
	flat_store_dword v[6:7], v2 offset:64
	flat_store_dword v[4:5], v1
	flat_store_dword v[4:5], v0 offset:64
.LBB206_6:
	s_endpgm
.LBB206_7:
	s_branch .LBB206_5
	.section	.rodata,"a",@progbits
	.p2align	6, 0x0
	.amdhsa_kernel _ZN12_GLOBAL__N_127rocblas_gemm_batched_kernelIiLi16ELi16ELi32ELi32ELi8ELi32ELi8ELi8ELi32ELc78ELc84EKPKaKPKiKPiEEvlllT_PT11_llSB_llS9_PT12_llPT13_lli
		.amdhsa_group_segment_fixed_size 2048
		.amdhsa_private_segment_fixed_size 0
		.amdhsa_kernarg_size 140
		.amdhsa_user_sgpr_count 6
		.amdhsa_user_sgpr_private_segment_buffer 1
		.amdhsa_user_sgpr_dispatch_ptr 0
		.amdhsa_user_sgpr_queue_ptr 0
		.amdhsa_user_sgpr_kernarg_segment_ptr 1
		.amdhsa_user_sgpr_dispatch_id 0
		.amdhsa_user_sgpr_flat_scratch_init 0
		.amdhsa_user_sgpr_private_segment_size 0
		.amdhsa_wavefront_size32 1
		.amdhsa_uses_dynamic_stack 0
		.amdhsa_system_sgpr_private_segment_wavefront_offset 0
		.amdhsa_system_sgpr_workgroup_id_x 1
		.amdhsa_system_sgpr_workgroup_id_y 1
		.amdhsa_system_sgpr_workgroup_id_z 1
		.amdhsa_system_sgpr_workgroup_info 0
		.amdhsa_system_vgpr_workitem_id 1
		.amdhsa_next_free_vgpr 47
		.amdhsa_next_free_sgpr 38
		.amdhsa_reserve_vcc 1
		.amdhsa_reserve_flat_scratch 0
		.amdhsa_float_round_mode_32 0
		.amdhsa_float_round_mode_16_64 0
		.amdhsa_float_denorm_mode_32 3
		.amdhsa_float_denorm_mode_16_64 3
		.amdhsa_dx10_clamp 1
		.amdhsa_ieee_mode 1
		.amdhsa_fp16_overflow 0
		.amdhsa_workgroup_processor_mode 1
		.amdhsa_memory_ordered 1
		.amdhsa_forward_progress 1
		.amdhsa_shared_vgpr_count 0
		.amdhsa_exception_fp_ieee_invalid_op 0
		.amdhsa_exception_fp_denorm_src 0
		.amdhsa_exception_fp_ieee_div_zero 0
		.amdhsa_exception_fp_ieee_overflow 0
		.amdhsa_exception_fp_ieee_underflow 0
		.amdhsa_exception_fp_ieee_inexact 0
		.amdhsa_exception_int_div_zero 0
	.end_amdhsa_kernel
	.section	.text._ZN12_GLOBAL__N_127rocblas_gemm_batched_kernelIiLi16ELi16ELi32ELi32ELi8ELi32ELi8ELi8ELi32ELc78ELc84EKPKaKPKiKPiEEvlllT_PT11_llSB_llS9_PT12_llPT13_lli,"axG",@progbits,_ZN12_GLOBAL__N_127rocblas_gemm_batched_kernelIiLi16ELi16ELi32ELi32ELi8ELi32ELi8ELi8ELi32ELc78ELc84EKPKaKPKiKPiEEvlllT_PT11_llSB_llS9_PT12_llPT13_lli,comdat
.Lfunc_end206:
	.size	_ZN12_GLOBAL__N_127rocblas_gemm_batched_kernelIiLi16ELi16ELi32ELi32ELi8ELi32ELi8ELi8ELi32ELc78ELc84EKPKaKPKiKPiEEvlllT_PT11_llSB_llS9_PT12_llPT13_lli, .Lfunc_end206-_ZN12_GLOBAL__N_127rocblas_gemm_batched_kernelIiLi16ELi16ELi32ELi32ELi8ELi32ELi8ELi8ELi32ELc78ELc84EKPKaKPKiKPiEEvlllT_PT11_llSB_llS9_PT12_llPT13_lli
                                        ; -- End function
	.set _ZN12_GLOBAL__N_127rocblas_gemm_batched_kernelIiLi16ELi16ELi32ELi32ELi8ELi32ELi8ELi8ELi32ELc78ELc84EKPKaKPKiKPiEEvlllT_PT11_llSB_llS9_PT12_llPT13_lli.num_vgpr, 47
	.set _ZN12_GLOBAL__N_127rocblas_gemm_batched_kernelIiLi16ELi16ELi32ELi32ELi8ELi32ELi8ELi8ELi32ELc78ELc84EKPKaKPKiKPiEEvlllT_PT11_llSB_llS9_PT12_llPT13_lli.num_agpr, 0
	.set _ZN12_GLOBAL__N_127rocblas_gemm_batched_kernelIiLi16ELi16ELi32ELi32ELi8ELi32ELi8ELi8ELi32ELc78ELc84EKPKaKPKiKPiEEvlllT_PT11_llSB_llS9_PT12_llPT13_lli.numbered_sgpr, 38
	.set _ZN12_GLOBAL__N_127rocblas_gemm_batched_kernelIiLi16ELi16ELi32ELi32ELi8ELi32ELi8ELi8ELi32ELc78ELc84EKPKaKPKiKPiEEvlllT_PT11_llSB_llS9_PT12_llPT13_lli.num_named_barrier, 0
	.set _ZN12_GLOBAL__N_127rocblas_gemm_batched_kernelIiLi16ELi16ELi32ELi32ELi8ELi32ELi8ELi8ELi32ELc78ELc84EKPKaKPKiKPiEEvlllT_PT11_llSB_llS9_PT12_llPT13_lli.private_seg_size, 0
	.set _ZN12_GLOBAL__N_127rocblas_gemm_batched_kernelIiLi16ELi16ELi32ELi32ELi8ELi32ELi8ELi8ELi32ELc78ELc84EKPKaKPKiKPiEEvlllT_PT11_llSB_llS9_PT12_llPT13_lli.uses_vcc, 1
	.set _ZN12_GLOBAL__N_127rocblas_gemm_batched_kernelIiLi16ELi16ELi32ELi32ELi8ELi32ELi8ELi8ELi32ELc78ELc84EKPKaKPKiKPiEEvlllT_PT11_llSB_llS9_PT12_llPT13_lli.uses_flat_scratch, 0
	.set _ZN12_GLOBAL__N_127rocblas_gemm_batched_kernelIiLi16ELi16ELi32ELi32ELi8ELi32ELi8ELi8ELi32ELc78ELc84EKPKaKPKiKPiEEvlllT_PT11_llSB_llS9_PT12_llPT13_lli.has_dyn_sized_stack, 0
	.set _ZN12_GLOBAL__N_127rocblas_gemm_batched_kernelIiLi16ELi16ELi32ELi32ELi8ELi32ELi8ELi8ELi32ELc78ELc84EKPKaKPKiKPiEEvlllT_PT11_llSB_llS9_PT12_llPT13_lli.has_recursion, 0
	.set _ZN12_GLOBAL__N_127rocblas_gemm_batched_kernelIiLi16ELi16ELi32ELi32ELi8ELi32ELi8ELi8ELi32ELc78ELc84EKPKaKPKiKPiEEvlllT_PT11_llSB_llS9_PT12_llPT13_lli.has_indirect_call, 0
	.section	.AMDGPU.csdata,"",@progbits
; Kernel info:
; codeLenInByte = 1608
; TotalNumSgprs: 40
; NumVgprs: 47
; ScratchSize: 0
; MemoryBound: 0
; FloatMode: 240
; IeeeMode: 1
; LDSByteSize: 2048 bytes/workgroup (compile time only)
; SGPRBlocks: 0
; VGPRBlocks: 5
; NumSGPRsForWavesPerEU: 40
; NumVGPRsForWavesPerEU: 47
; Occupancy: 16
; WaveLimiterHint : 1
; COMPUTE_PGM_RSRC2:SCRATCH_EN: 0
; COMPUTE_PGM_RSRC2:USER_SGPR: 6
; COMPUTE_PGM_RSRC2:TRAP_HANDLER: 0
; COMPUTE_PGM_RSRC2:TGID_X_EN: 1
; COMPUTE_PGM_RSRC2:TGID_Y_EN: 1
; COMPUTE_PGM_RSRC2:TGID_Z_EN: 1
; COMPUTE_PGM_RSRC2:TIDIG_COMP_CNT: 1
	.section	.text._ZN12_GLOBAL__N_127rocblas_gemm_batched_kernelIiLi16ELi16ELi32ELi32ELi8ELi32ELi8ELi8ELi32ELc84ELc84EKPKaKPKiKPiEEvlllT_PT11_llSB_llS9_PT12_llPT13_lli,"axG",@progbits,_ZN12_GLOBAL__N_127rocblas_gemm_batched_kernelIiLi16ELi16ELi32ELi32ELi8ELi32ELi8ELi8ELi32ELc84ELc84EKPKaKPKiKPiEEvlllT_PT11_llSB_llS9_PT12_llPT13_lli,comdat
	.globl	_ZN12_GLOBAL__N_127rocblas_gemm_batched_kernelIiLi16ELi16ELi32ELi32ELi8ELi32ELi8ELi8ELi32ELc84ELc84EKPKaKPKiKPiEEvlllT_PT11_llSB_llS9_PT12_llPT13_lli ; -- Begin function _ZN12_GLOBAL__N_127rocblas_gemm_batched_kernelIiLi16ELi16ELi32ELi32ELi8ELi32ELi8ELi8ELi32ELc84ELc84EKPKaKPKiKPiEEvlllT_PT11_llSB_llS9_PT12_llPT13_lli
	.p2align	8
	.type	_ZN12_GLOBAL__N_127rocblas_gemm_batched_kernelIiLi16ELi16ELi32ELi32ELi8ELi32ELi8ELi8ELi32ELc84ELc84EKPKaKPKiKPiEEvlllT_PT11_llSB_llS9_PT12_llPT13_lli,@function
_ZN12_GLOBAL__N_127rocblas_gemm_batched_kernelIiLi16ELi16ELi32ELi32ELi8ELi32ELi8ELi8ELi32ELc84ELc84EKPKaKPKiKPiEEvlllT_PT11_llSB_llS9_PT12_llPT13_lli: ; @_ZN12_GLOBAL__N_127rocblas_gemm_batched_kernelIiLi16ELi16ELi32ELi32ELi8ELi32ELi8ELi8ELi32ELc84ELc84EKPKaKPKiKPiEEvlllT_PT11_llSB_llS9_PT12_llPT13_lli
; %bb.0:
	s_clause 0x1
	s_load_dwordx8 s[12:19], s[4:5], 0x58
	s_load_dwordx2 s[28:29], s[4:5], 0x10
	s_mov_b32 s9, 0
	s_mov_b32 s0, s7
	s_lshl_b64 s[34:35], s[8:9], 3
	s_load_dwordx4 s[8:11], s[4:5], 0x78
	v_mov_b32_e32 v6, 0
	v_mov_b32_e32 v8, 0
	;; [unrolled: 1-line block ×4, first 2 shown]
	s_waitcnt lgkmcnt(0)
	s_add_u32 s2, s12, s34
	s_addc_u32 s3, s13, s35
	s_add_u32 s18, s18, s34
	s_addc_u32 s19, s19, s35
	s_load_dwordx2 s[12:13], s[2:3], 0x0
	s_load_dwordx2 s[18:19], s[18:19], 0x0
	v_cmp_lt_i64_e64 s2, s[28:29], 1
	s_ashr_i32 s7, s6, 31
	s_ashr_i32 s1, s0, 31
	s_lshl_b64 s[6:7], s[6:7], 5
	s_lshl_b64 s[30:31], s[0:1], 5
	s_and_b32 vcc_lo, exec_lo, s2
	s_cbranch_vccnz .LBB207_3
; %bb.1:
	s_clause 0x1
	s_load_dwordx8 s[20:27], s[4:5], 0x20
	s_load_dwordx4 s[0:3], s[4:5], 0x40
	v_lshl_add_u32 v2, v1, 4, v0
	v_and_b32_e32 v8, 7, v0
	v_mov_b32_e32 v4, 0
	v_lshlrev_b32_e32 v5, 2, v0
	v_lshrrev_b32_e32 v3, 3, v2
	v_lshlrev_b32_e32 v7, 2, v8
	v_and_b32_e32 v6, 31, v2
	v_lshrrev_b32_e32 v10, 5, v2
	v_lshl_or_b32 v12, v3, 5, v7
	v_lshlrev_b32_e32 v11, 2, v6
	s_waitcnt lgkmcnt(0)
	s_add_u32 s20, s20, s34
	v_add_co_u32 v2, s2, s2, v3
	s_addc_u32 s21, s21, s35
	v_add_co_ci_u32_e64 v3, null, s3, 0, s2
	s_add_u32 s2, s26, s34
	s_addc_u32 s3, s27, s35
	v_add_co_u32 v9, s26, s6, v6
	v_add_co_ci_u32_e64 v13, null, s7, 0, s26
	s_load_dwordx2 s[26:27], s[2:3], 0x0
	s_load_dwordx2 s[20:21], s[20:21], 0x0
	v_add_co_u32 v6, s2, s24, v10
	v_mad_u64_u32 v[2:3], null, s0, v8, v[2:3]
	v_add_co_ci_u32_e64 v7, null, s25, 0, s2
	v_mul_lo_u32 v14, s22, v13
	v_mul_lo_u32 v15, s23, v9
	v_lshl_or_b32 v10, v10, 7, v11
	v_mad_u64_u32 v[6:7], null, s22, v9, v[6:7]
	v_add_nc_u32_e32 v11, 0x400, v12
	v_mad_u64_u32 v[12:13], null, s1, v8, v[3:4]
	s_lshl_b64 s[2:3], s[0:1], 3
	v_lshl_add_u32 v9, v1, 5, 0x400
	v_mov_b32_e32 v8, 0
	v_add3_u32 v7, v15, v7, v14
	s_waitcnt lgkmcnt(0)
	s_add_u32 s0, s26, s30
	s_addc_u32 s1, s27, s31
	v_add_co_u32 v2, vcc_lo, s0, v2
	v_add_co_ci_u32_e64 v3, null, s1, v12, vcc_lo
	v_add_co_u32 v12, vcc_lo, s20, v6
	v_add_co_ci_u32_e64 v13, null, s21, v7, vcc_lo
	v_mov_b32_e32 v7, 0
	v_mov_b32_e32 v6, 0
	s_mov_b64 s[20:21], 0
.LBB207_2:                              ; =>This Inner Loop Header: Depth=1
	v_add_co_u32 v14, vcc_lo, v12, s20
	v_add_co_ci_u32_e64 v15, null, s21, v13, vcc_lo
	s_add_u32 s20, s20, 8
	s_addc_u32 s21, s21, 0
	v_cmp_lt_i64_e64 s0, s[20:21], s[28:29]
	flat_load_sbyte v14, v[14:15]
	s_and_b32 vcc_lo, exec_lo, s0
	s_waitcnt vmcnt(0) lgkmcnt(0)
	ds_write_b32 v10, v14
	flat_load_sbyte v14, v[2:3]
	v_add_co_u32 v2, s0, v2, s2
	v_add_co_ci_u32_e64 v3, null, s3, v3, s0
	s_waitcnt vmcnt(0) lgkmcnt(0)
	ds_write_b32 v11, v14
	s_waitcnt lgkmcnt(0)
	s_barrier
	buffer_gl0_inv
	ds_read_b128 v[14:17], v9
	ds_read2_b32 v[30:31], v5 offset1:16
	ds_read_b128 v[18:21], v9 offset:512
	ds_read2_b32 v[32:33], v5 offset0:32 offset1:48
	ds_read2_b32 v[34:35], v5 offset0:64 offset1:80
	;; [unrolled: 1-line block ×3, first 2 shown]
	ds_read_b128 v[22:25], v9 offset:16
	ds_read2_b32 v[38:39], v5 offset0:128 offset1:144
	ds_read_b128 v[26:29], v9 offset:528
	ds_read2_b32 v[40:41], v5 offset0:160 offset1:176
	ds_read2_b32 v[42:43], v5 offset0:192 offset1:208
	;; [unrolled: 1-line block ×3, first 2 shown]
	s_waitcnt lgkmcnt(0)
	s_barrier
	buffer_gl0_inv
	v_mul_lo_u32 v46, v14, v30
	v_mul_lo_u32 v14, v14, v31
	;; [unrolled: 1-line block ×16, first 2 shown]
	v_add3_u32 v6, v6, v46, v31
	v_add3_u32 v8, v8, v14, v15
	;; [unrolled: 1-line block ×4, first 2 shown]
	v_mul_lo_u32 v37, v22, v38
	v_mul_lo_u32 v22, v22, v39
	;; [unrolled: 1-line block ×8, first 2 shown]
	v_add3_u32 v6, v6, v33, v35
	v_add3_u32 v8, v8, v16, v17
	;; [unrolled: 1-line block ×4, first 2 shown]
	v_mul_lo_u32 v41, v24, v42
	v_mul_lo_u32 v24, v24, v43
	;; [unrolled: 1-line block ×8, first 2 shown]
	v_add3_u32 v6, v6, v37, v39
	v_add3_u32 v8, v8, v22, v23
	;; [unrolled: 1-line block ×8, first 2 shown]
	s_cbranch_vccnz .LBB207_2
.LBB207_3:
	s_clause 0x1
	s_load_dword s1, s[4:5], 0x18
	s_load_dword s0, s[4:5], 0x50
	v_add_co_u32 v9, s2, s30, v1
	v_add_co_ci_u32_e64 v11, null, s31, 0, s2
	v_add_co_u32 v12, s2, s6, v0
	v_add_co_ci_u32_e64 v13, null, s7, 0, s2
	v_mul_lo_u32 v10, v11, s8
	s_lshl_b64 s[2:3], s[10:11], 2
	s_waitcnt lgkmcnt(0)
	v_mul_lo_u32 v3, v6, s1
	v_mul_lo_u32 v2, v8, s1
	;; [unrolled: 1-line block ×5, first 2 shown]
	v_lshlrev_b64 v[4:5], 2, v[12:13]
	s_add_u32 s1, s18, s2
	s_addc_u32 s2, s19, s3
	s_cmp_eq_u32 s0, 0
	s_mov_b32 s3, 0
	s_cbranch_scc1 .LBB207_7
; %bb.4:
	v_mul_lo_u32 v11, v11, s14
	v_mul_lo_u32 v12, v9, s15
	v_mad_u64_u32 v[7:8], null, v9, s14, 0
	s_lshl_b64 s[4:5], s[16:17], 2
	s_add_u32 s4, s12, s4
	s_addc_u32 s5, s13, s5
	v_add3_u32 v8, v8, v12, v11
	v_mad_u64_u32 v[11:12], null, v9, s8, 0
	v_lshlrev_b64 v[7:8], 2, v[7:8]
	v_add3_u32 v12, v12, v6, v10
	v_add_co_u32 v14, vcc_lo, s4, v7
	v_add_co_ci_u32_e64 v15, null, s5, v8, vcc_lo
	v_lshlrev_b64 v[11:12], 2, v[11:12]
	v_add_co_u32 v7, vcc_lo, v14, v4
	v_add_co_ci_u32_e64 v8, null, v15, v5, vcc_lo
	s_lshl_b64 s[4:5], s[14:15], 6
	v_add_co_u32 v16, vcc_lo, s1, v11
	flat_load_dword v13, v[7:8]
	v_add_co_ci_u32_e64 v17, null, s2, v12, vcc_lo
	s_waitcnt vmcnt(0) lgkmcnt(0)
	v_mad_u64_u32 v[11:12], null, v13, s0, v[3:4]
	v_add_co_u32 v12, vcc_lo, v16, v4
	v_add_co_ci_u32_e64 v13, null, v17, v5, vcc_lo
	flat_store_dword v[12:13], v11
	flat_load_dword v7, v[7:8] offset:64
	v_add_co_u32 v11, vcc_lo, v14, s4
	v_add_co_ci_u32_e64 v15, null, s5, v15, vcc_lo
	s_lshl_b64 s[4:5], s[8:9], 6
	v_add_co_u32 v14, vcc_lo, v11, v4
	v_add_co_ci_u32_e64 v15, null, v15, v5, vcc_lo
	v_add_co_u32 v11, vcc_lo, v16, s4
	s_waitcnt vmcnt(0) lgkmcnt(0)
	v_mad_u64_u32 v[7:8], null, v7, s0, v[2:3]
	flat_store_dword v[12:13], v7 offset:64
	flat_load_dword v7, v[14:15]
	v_add_co_ci_u32_e64 v12, null, s5, v17, vcc_lo
	v_add_co_u32 v11, vcc_lo, v11, v4
	v_add_co_ci_u32_e64 v12, null, v12, v5, vcc_lo
	s_waitcnt vmcnt(0) lgkmcnt(0)
	v_mad_u64_u32 v[7:8], null, v7, s0, v[1:2]
	flat_store_dword v[11:12], v7
	flat_load_dword v7, v[14:15] offset:64
	s_waitcnt vmcnt(0) lgkmcnt(0)
	v_mad_u64_u32 v[7:8], null, v7, s0, v[0:1]
	flat_store_dword v[11:12], v7 offset:64
	s_andn2_b32 vcc_lo, exec_lo, s3
	s_cbranch_vccnz .LBB207_6
.LBB207_5:
	v_mad_u64_u32 v[7:8], null, v9, s8, 0
	v_add3_u32 v8, v8, v6, v10
	v_lshlrev_b64 v[6:7], 2, v[7:8]
	v_add_co_u32 v6, vcc_lo, s1, v6
	v_add_co_ci_u32_e64 v7, null, s2, v7, vcc_lo
	s_lshl_b64 s[0:1], s[8:9], 6
	v_add_co_u32 v8, vcc_lo, v6, s0
	v_add_co_ci_u32_e64 v9, null, s1, v7, vcc_lo
	v_add_co_u32 v6, vcc_lo, v6, v4
	v_add_co_ci_u32_e64 v7, null, v7, v5, vcc_lo
	;; [unrolled: 2-line block ×3, first 2 shown]
	flat_store_dword v[6:7], v3
	flat_store_dword v[6:7], v2 offset:64
	flat_store_dword v[4:5], v1
	flat_store_dword v[4:5], v0 offset:64
.LBB207_6:
	s_endpgm
.LBB207_7:
	s_branch .LBB207_5
	.section	.rodata,"a",@progbits
	.p2align	6, 0x0
	.amdhsa_kernel _ZN12_GLOBAL__N_127rocblas_gemm_batched_kernelIiLi16ELi16ELi32ELi32ELi8ELi32ELi8ELi8ELi32ELc84ELc84EKPKaKPKiKPiEEvlllT_PT11_llSB_llS9_PT12_llPT13_lli
		.amdhsa_group_segment_fixed_size 2048
		.amdhsa_private_segment_fixed_size 0
		.amdhsa_kernarg_size 140
		.amdhsa_user_sgpr_count 6
		.amdhsa_user_sgpr_private_segment_buffer 1
		.amdhsa_user_sgpr_dispatch_ptr 0
		.amdhsa_user_sgpr_queue_ptr 0
		.amdhsa_user_sgpr_kernarg_segment_ptr 1
		.amdhsa_user_sgpr_dispatch_id 0
		.amdhsa_user_sgpr_flat_scratch_init 0
		.amdhsa_user_sgpr_private_segment_size 0
		.amdhsa_wavefront_size32 1
		.amdhsa_uses_dynamic_stack 0
		.amdhsa_system_sgpr_private_segment_wavefront_offset 0
		.amdhsa_system_sgpr_workgroup_id_x 1
		.amdhsa_system_sgpr_workgroup_id_y 1
		.amdhsa_system_sgpr_workgroup_id_z 1
		.amdhsa_system_sgpr_workgroup_info 0
		.amdhsa_system_vgpr_workitem_id 1
		.amdhsa_next_free_vgpr 47
		.amdhsa_next_free_sgpr 36
		.amdhsa_reserve_vcc 1
		.amdhsa_reserve_flat_scratch 0
		.amdhsa_float_round_mode_32 0
		.amdhsa_float_round_mode_16_64 0
		.amdhsa_float_denorm_mode_32 3
		.amdhsa_float_denorm_mode_16_64 3
		.amdhsa_dx10_clamp 1
		.amdhsa_ieee_mode 1
		.amdhsa_fp16_overflow 0
		.amdhsa_workgroup_processor_mode 1
		.amdhsa_memory_ordered 1
		.amdhsa_forward_progress 1
		.amdhsa_shared_vgpr_count 0
		.amdhsa_exception_fp_ieee_invalid_op 0
		.amdhsa_exception_fp_denorm_src 0
		.amdhsa_exception_fp_ieee_div_zero 0
		.amdhsa_exception_fp_ieee_overflow 0
		.amdhsa_exception_fp_ieee_underflow 0
		.amdhsa_exception_fp_ieee_inexact 0
		.amdhsa_exception_int_div_zero 0
	.end_amdhsa_kernel
	.section	.text._ZN12_GLOBAL__N_127rocblas_gemm_batched_kernelIiLi16ELi16ELi32ELi32ELi8ELi32ELi8ELi8ELi32ELc84ELc84EKPKaKPKiKPiEEvlllT_PT11_llSB_llS9_PT12_llPT13_lli,"axG",@progbits,_ZN12_GLOBAL__N_127rocblas_gemm_batched_kernelIiLi16ELi16ELi32ELi32ELi8ELi32ELi8ELi8ELi32ELc84ELc84EKPKaKPKiKPiEEvlllT_PT11_llSB_llS9_PT12_llPT13_lli,comdat
.Lfunc_end207:
	.size	_ZN12_GLOBAL__N_127rocblas_gemm_batched_kernelIiLi16ELi16ELi32ELi32ELi8ELi32ELi8ELi8ELi32ELc84ELc84EKPKaKPKiKPiEEvlllT_PT11_llSB_llS9_PT12_llPT13_lli, .Lfunc_end207-_ZN12_GLOBAL__N_127rocblas_gemm_batched_kernelIiLi16ELi16ELi32ELi32ELi8ELi32ELi8ELi8ELi32ELc84ELc84EKPKaKPKiKPiEEvlllT_PT11_llSB_llS9_PT12_llPT13_lli
                                        ; -- End function
	.set _ZN12_GLOBAL__N_127rocblas_gemm_batched_kernelIiLi16ELi16ELi32ELi32ELi8ELi32ELi8ELi8ELi32ELc84ELc84EKPKaKPKiKPiEEvlllT_PT11_llSB_llS9_PT12_llPT13_lli.num_vgpr, 47
	.set _ZN12_GLOBAL__N_127rocblas_gemm_batched_kernelIiLi16ELi16ELi32ELi32ELi8ELi32ELi8ELi8ELi32ELc84ELc84EKPKaKPKiKPiEEvlllT_PT11_llSB_llS9_PT12_llPT13_lli.num_agpr, 0
	.set _ZN12_GLOBAL__N_127rocblas_gemm_batched_kernelIiLi16ELi16ELi32ELi32ELi8ELi32ELi8ELi8ELi32ELc84ELc84EKPKaKPKiKPiEEvlllT_PT11_llSB_llS9_PT12_llPT13_lli.numbered_sgpr, 36
	.set _ZN12_GLOBAL__N_127rocblas_gemm_batched_kernelIiLi16ELi16ELi32ELi32ELi8ELi32ELi8ELi8ELi32ELc84ELc84EKPKaKPKiKPiEEvlllT_PT11_llSB_llS9_PT12_llPT13_lli.num_named_barrier, 0
	.set _ZN12_GLOBAL__N_127rocblas_gemm_batched_kernelIiLi16ELi16ELi32ELi32ELi8ELi32ELi8ELi8ELi32ELc84ELc84EKPKaKPKiKPiEEvlllT_PT11_llSB_llS9_PT12_llPT13_lli.private_seg_size, 0
	.set _ZN12_GLOBAL__N_127rocblas_gemm_batched_kernelIiLi16ELi16ELi32ELi32ELi8ELi32ELi8ELi8ELi32ELc84ELc84EKPKaKPKiKPiEEvlllT_PT11_llSB_llS9_PT12_llPT13_lli.uses_vcc, 1
	.set _ZN12_GLOBAL__N_127rocblas_gemm_batched_kernelIiLi16ELi16ELi32ELi32ELi8ELi32ELi8ELi8ELi32ELc84ELc84EKPKaKPKiKPiEEvlllT_PT11_llSB_llS9_PT12_llPT13_lli.uses_flat_scratch, 0
	.set _ZN12_GLOBAL__N_127rocblas_gemm_batched_kernelIiLi16ELi16ELi32ELi32ELi8ELi32ELi8ELi8ELi32ELc84ELc84EKPKaKPKiKPiEEvlllT_PT11_llSB_llS9_PT12_llPT13_lli.has_dyn_sized_stack, 0
	.set _ZN12_GLOBAL__N_127rocblas_gemm_batched_kernelIiLi16ELi16ELi32ELi32ELi8ELi32ELi8ELi8ELi32ELc84ELc84EKPKaKPKiKPiEEvlllT_PT11_llSB_llS9_PT12_llPT13_lli.has_recursion, 0
	.set _ZN12_GLOBAL__N_127rocblas_gemm_batched_kernelIiLi16ELi16ELi32ELi32ELi8ELi32ELi8ELi8ELi32ELc84ELc84EKPKaKPKiKPiEEvlllT_PT11_llSB_llS9_PT12_llPT13_lli.has_indirect_call, 0
	.section	.AMDGPU.csdata,"",@progbits
; Kernel info:
; codeLenInByte = 1624
; TotalNumSgprs: 38
; NumVgprs: 47
; ScratchSize: 0
; MemoryBound: 0
; FloatMode: 240
; IeeeMode: 1
; LDSByteSize: 2048 bytes/workgroup (compile time only)
; SGPRBlocks: 0
; VGPRBlocks: 5
; NumSGPRsForWavesPerEU: 38
; NumVGPRsForWavesPerEU: 47
; Occupancy: 16
; WaveLimiterHint : 1
; COMPUTE_PGM_RSRC2:SCRATCH_EN: 0
; COMPUTE_PGM_RSRC2:USER_SGPR: 6
; COMPUTE_PGM_RSRC2:TRAP_HANDLER: 0
; COMPUTE_PGM_RSRC2:TGID_X_EN: 1
; COMPUTE_PGM_RSRC2:TGID_Y_EN: 1
; COMPUTE_PGM_RSRC2:TGID_Z_EN: 1
; COMPUTE_PGM_RSRC2:TIDIG_COMP_CNT: 1
	.section	.text._ZN12_GLOBAL__N_127rocblas_gemm_batched_kernelIiLi16ELi16ELi32ELi32ELi8ELi32ELi8ELi8ELi32ELc67ELc67EKPKaKPKiKPiEEvlllT_PT11_llSB_llS9_PT12_llPT13_lli,"axG",@progbits,_ZN12_GLOBAL__N_127rocblas_gemm_batched_kernelIiLi16ELi16ELi32ELi32ELi8ELi32ELi8ELi8ELi32ELc67ELc67EKPKaKPKiKPiEEvlllT_PT11_llSB_llS9_PT12_llPT13_lli,comdat
	.globl	_ZN12_GLOBAL__N_127rocblas_gemm_batched_kernelIiLi16ELi16ELi32ELi32ELi8ELi32ELi8ELi8ELi32ELc67ELc67EKPKaKPKiKPiEEvlllT_PT11_llSB_llS9_PT12_llPT13_lli ; -- Begin function _ZN12_GLOBAL__N_127rocblas_gemm_batched_kernelIiLi16ELi16ELi32ELi32ELi8ELi32ELi8ELi8ELi32ELc67ELc67EKPKaKPKiKPiEEvlllT_PT11_llSB_llS9_PT12_llPT13_lli
	.p2align	8
	.type	_ZN12_GLOBAL__N_127rocblas_gemm_batched_kernelIiLi16ELi16ELi32ELi32ELi8ELi32ELi8ELi8ELi32ELc67ELc67EKPKaKPKiKPiEEvlllT_PT11_llSB_llS9_PT12_llPT13_lli,@function
_ZN12_GLOBAL__N_127rocblas_gemm_batched_kernelIiLi16ELi16ELi32ELi32ELi8ELi32ELi8ELi8ELi32ELc67ELc67EKPKaKPKiKPiEEvlllT_PT11_llSB_llS9_PT12_llPT13_lli: ; @_ZN12_GLOBAL__N_127rocblas_gemm_batched_kernelIiLi16ELi16ELi32ELi32ELi8ELi32ELi8ELi8ELi32ELc67ELc67EKPKaKPKiKPiEEvlllT_PT11_llSB_llS9_PT12_llPT13_lli
; %bb.0:
	s_clause 0x1
	s_load_dwordx8 s[12:19], s[4:5], 0x58
	s_load_dwordx2 s[28:29], s[4:5], 0x10
	s_mov_b32 s9, 0
	s_mov_b32 s0, s7
	s_lshl_b64 s[34:35], s[8:9], 3
	s_load_dwordx4 s[8:11], s[4:5], 0x78
	v_mov_b32_e32 v6, 0
	v_mov_b32_e32 v8, 0
	;; [unrolled: 1-line block ×4, first 2 shown]
	s_waitcnt lgkmcnt(0)
	s_add_u32 s2, s12, s34
	s_addc_u32 s3, s13, s35
	s_add_u32 s18, s18, s34
	s_addc_u32 s19, s19, s35
	s_load_dwordx2 s[12:13], s[2:3], 0x0
	s_load_dwordx2 s[18:19], s[18:19], 0x0
	v_cmp_lt_i64_e64 s2, s[28:29], 1
	s_ashr_i32 s7, s6, 31
	s_ashr_i32 s1, s0, 31
	s_lshl_b64 s[6:7], s[6:7], 5
	s_lshl_b64 s[30:31], s[0:1], 5
	s_and_b32 vcc_lo, exec_lo, s2
	s_cbranch_vccnz .LBB208_3
; %bb.1:
	s_clause 0x1
	s_load_dwordx8 s[20:27], s[4:5], 0x20
	s_load_dwordx4 s[0:3], s[4:5], 0x40
	v_lshl_add_u32 v2, v1, 4, v0
	v_and_b32_e32 v8, 7, v0
	v_mov_b32_e32 v4, 0
	v_lshlrev_b32_e32 v5, 2, v0
	v_lshrrev_b32_e32 v3, 3, v2
	v_lshlrev_b32_e32 v7, 2, v8
	v_and_b32_e32 v6, 31, v2
	v_lshrrev_b32_e32 v10, 5, v2
	v_lshl_or_b32 v12, v3, 5, v7
	v_lshlrev_b32_e32 v11, 2, v6
	s_waitcnt lgkmcnt(0)
	s_add_u32 s20, s20, s34
	v_add_co_u32 v2, s2, s2, v3
	s_addc_u32 s21, s21, s35
	v_add_co_ci_u32_e64 v3, null, s3, 0, s2
	s_add_u32 s2, s26, s34
	s_addc_u32 s3, s27, s35
	v_add_co_u32 v9, s26, s6, v6
	v_add_co_ci_u32_e64 v13, null, s7, 0, s26
	s_load_dwordx2 s[26:27], s[2:3], 0x0
	s_load_dwordx2 s[20:21], s[20:21], 0x0
	v_add_co_u32 v6, s2, s24, v10
	v_mad_u64_u32 v[2:3], null, s0, v8, v[2:3]
	v_add_co_ci_u32_e64 v7, null, s25, 0, s2
	v_mul_lo_u32 v14, s22, v13
	v_mul_lo_u32 v15, s23, v9
	v_lshl_or_b32 v10, v10, 7, v11
	v_mad_u64_u32 v[6:7], null, s22, v9, v[6:7]
	v_add_nc_u32_e32 v11, 0x400, v12
	v_mad_u64_u32 v[12:13], null, s1, v8, v[3:4]
	s_lshl_b64 s[2:3], s[0:1], 3
	v_lshl_add_u32 v9, v1, 5, 0x400
	v_mov_b32_e32 v8, 0
	v_add3_u32 v7, v15, v7, v14
	s_waitcnt lgkmcnt(0)
	s_add_u32 s0, s26, s30
	s_addc_u32 s1, s27, s31
	v_add_co_u32 v2, vcc_lo, s0, v2
	v_add_co_ci_u32_e64 v3, null, s1, v12, vcc_lo
	v_add_co_u32 v12, vcc_lo, s20, v6
	v_add_co_ci_u32_e64 v13, null, s21, v7, vcc_lo
	v_mov_b32_e32 v7, 0
	v_mov_b32_e32 v6, 0
	s_mov_b64 s[20:21], 0
.LBB208_2:                              ; =>This Inner Loop Header: Depth=1
	v_add_co_u32 v14, vcc_lo, v12, s20
	v_add_co_ci_u32_e64 v15, null, s21, v13, vcc_lo
	s_add_u32 s20, s20, 8
	s_addc_u32 s21, s21, 0
	v_cmp_lt_i64_e64 s0, s[20:21], s[28:29]
	flat_load_sbyte v14, v[14:15]
	s_and_b32 vcc_lo, exec_lo, s0
	s_waitcnt vmcnt(0) lgkmcnt(0)
	ds_write_b32 v10, v14
	flat_load_sbyte v14, v[2:3]
	v_add_co_u32 v2, s0, v2, s2
	v_add_co_ci_u32_e64 v3, null, s3, v3, s0
	s_waitcnt vmcnt(0) lgkmcnt(0)
	ds_write_b32 v11, v14
	s_waitcnt lgkmcnt(0)
	s_barrier
	buffer_gl0_inv
	ds_read_b128 v[14:17], v9
	ds_read2_b32 v[30:31], v5 offset1:16
	ds_read_b128 v[18:21], v9 offset:512
	ds_read2_b32 v[32:33], v5 offset0:32 offset1:48
	ds_read2_b32 v[34:35], v5 offset0:64 offset1:80
	;; [unrolled: 1-line block ×3, first 2 shown]
	ds_read_b128 v[22:25], v9 offset:16
	ds_read2_b32 v[38:39], v5 offset0:128 offset1:144
	ds_read_b128 v[26:29], v9 offset:528
	ds_read2_b32 v[40:41], v5 offset0:160 offset1:176
	ds_read2_b32 v[42:43], v5 offset0:192 offset1:208
	;; [unrolled: 1-line block ×3, first 2 shown]
	s_waitcnt lgkmcnt(0)
	s_barrier
	buffer_gl0_inv
	v_mul_lo_u32 v46, v14, v30
	v_mul_lo_u32 v14, v14, v31
	v_mul_lo_u32 v30, v18, v30
	v_mul_lo_u32 v18, v18, v31
	v_mul_lo_u32 v31, v15, v32
	v_mul_lo_u32 v15, v15, v33
	v_mul_lo_u32 v32, v19, v32
	v_mul_lo_u32 v19, v19, v33
	v_mul_lo_u32 v33, v16, v34
	v_mul_lo_u32 v16, v16, v35
	v_mul_lo_u32 v34, v20, v34
	v_mul_lo_u32 v20, v20, v35
	v_mul_lo_u32 v35, v17, v36
	v_mul_lo_u32 v17, v17, v37
	v_mul_lo_u32 v36, v21, v36
	v_mul_lo_u32 v21, v21, v37
	v_add3_u32 v6, v6, v46, v31
	v_add3_u32 v8, v8, v14, v15
	;; [unrolled: 1-line block ×4, first 2 shown]
	v_mul_lo_u32 v37, v22, v38
	v_mul_lo_u32 v22, v22, v39
	;; [unrolled: 1-line block ×8, first 2 shown]
	v_add3_u32 v6, v6, v33, v35
	v_add3_u32 v8, v8, v16, v17
	;; [unrolled: 1-line block ×4, first 2 shown]
	v_mul_lo_u32 v41, v24, v42
	v_mul_lo_u32 v24, v24, v43
	;; [unrolled: 1-line block ×8, first 2 shown]
	v_add3_u32 v6, v6, v37, v39
	v_add3_u32 v8, v8, v22, v23
	;; [unrolled: 1-line block ×8, first 2 shown]
	s_cbranch_vccnz .LBB208_2
.LBB208_3:
	s_clause 0x1
	s_load_dword s1, s[4:5], 0x18
	s_load_dword s0, s[4:5], 0x50
	v_add_co_u32 v9, s2, s30, v1
	v_add_co_ci_u32_e64 v11, null, s31, 0, s2
	v_add_co_u32 v12, s2, s6, v0
	v_add_co_ci_u32_e64 v13, null, s7, 0, s2
	v_mul_lo_u32 v10, v11, s8
	s_lshl_b64 s[2:3], s[10:11], 2
	s_waitcnt lgkmcnt(0)
	v_mul_lo_u32 v3, v6, s1
	v_mul_lo_u32 v2, v8, s1
	;; [unrolled: 1-line block ×5, first 2 shown]
	v_lshlrev_b64 v[4:5], 2, v[12:13]
	s_add_u32 s1, s18, s2
	s_addc_u32 s2, s19, s3
	s_cmp_eq_u32 s0, 0
	s_mov_b32 s3, 0
	s_cbranch_scc1 .LBB208_7
; %bb.4:
	v_mul_lo_u32 v11, v11, s14
	v_mul_lo_u32 v12, v9, s15
	v_mad_u64_u32 v[7:8], null, v9, s14, 0
	s_lshl_b64 s[4:5], s[16:17], 2
	s_add_u32 s4, s12, s4
	s_addc_u32 s5, s13, s5
	v_add3_u32 v8, v8, v12, v11
	v_mad_u64_u32 v[11:12], null, v9, s8, 0
	v_lshlrev_b64 v[7:8], 2, v[7:8]
	v_add3_u32 v12, v12, v6, v10
	v_add_co_u32 v14, vcc_lo, s4, v7
	v_add_co_ci_u32_e64 v15, null, s5, v8, vcc_lo
	v_lshlrev_b64 v[11:12], 2, v[11:12]
	v_add_co_u32 v7, vcc_lo, v14, v4
	v_add_co_ci_u32_e64 v8, null, v15, v5, vcc_lo
	s_lshl_b64 s[4:5], s[14:15], 6
	v_add_co_u32 v16, vcc_lo, s1, v11
	flat_load_dword v13, v[7:8]
	v_add_co_ci_u32_e64 v17, null, s2, v12, vcc_lo
	s_waitcnt vmcnt(0) lgkmcnt(0)
	v_mad_u64_u32 v[11:12], null, v13, s0, v[3:4]
	v_add_co_u32 v12, vcc_lo, v16, v4
	v_add_co_ci_u32_e64 v13, null, v17, v5, vcc_lo
	flat_store_dword v[12:13], v11
	flat_load_dword v7, v[7:8] offset:64
	v_add_co_u32 v11, vcc_lo, v14, s4
	v_add_co_ci_u32_e64 v15, null, s5, v15, vcc_lo
	s_lshl_b64 s[4:5], s[8:9], 6
	v_add_co_u32 v14, vcc_lo, v11, v4
	v_add_co_ci_u32_e64 v15, null, v15, v5, vcc_lo
	v_add_co_u32 v11, vcc_lo, v16, s4
	s_waitcnt vmcnt(0) lgkmcnt(0)
	v_mad_u64_u32 v[7:8], null, v7, s0, v[2:3]
	flat_store_dword v[12:13], v7 offset:64
	flat_load_dword v7, v[14:15]
	v_add_co_ci_u32_e64 v12, null, s5, v17, vcc_lo
	v_add_co_u32 v11, vcc_lo, v11, v4
	v_add_co_ci_u32_e64 v12, null, v12, v5, vcc_lo
	s_waitcnt vmcnt(0) lgkmcnt(0)
	v_mad_u64_u32 v[7:8], null, v7, s0, v[1:2]
	flat_store_dword v[11:12], v7
	flat_load_dword v7, v[14:15] offset:64
	s_waitcnt vmcnt(0) lgkmcnt(0)
	v_mad_u64_u32 v[7:8], null, v7, s0, v[0:1]
	flat_store_dword v[11:12], v7 offset:64
	s_andn2_b32 vcc_lo, exec_lo, s3
	s_cbranch_vccnz .LBB208_6
.LBB208_5:
	v_mad_u64_u32 v[7:8], null, v9, s8, 0
	v_add3_u32 v8, v8, v6, v10
	v_lshlrev_b64 v[6:7], 2, v[7:8]
	v_add_co_u32 v6, vcc_lo, s1, v6
	v_add_co_ci_u32_e64 v7, null, s2, v7, vcc_lo
	s_lshl_b64 s[0:1], s[8:9], 6
	v_add_co_u32 v8, vcc_lo, v6, s0
	v_add_co_ci_u32_e64 v9, null, s1, v7, vcc_lo
	v_add_co_u32 v6, vcc_lo, v6, v4
	v_add_co_ci_u32_e64 v7, null, v7, v5, vcc_lo
	;; [unrolled: 2-line block ×3, first 2 shown]
	flat_store_dword v[6:7], v3
	flat_store_dword v[6:7], v2 offset:64
	flat_store_dword v[4:5], v1
	flat_store_dword v[4:5], v0 offset:64
.LBB208_6:
	s_endpgm
.LBB208_7:
	s_branch .LBB208_5
	.section	.rodata,"a",@progbits
	.p2align	6, 0x0
	.amdhsa_kernel _ZN12_GLOBAL__N_127rocblas_gemm_batched_kernelIiLi16ELi16ELi32ELi32ELi8ELi32ELi8ELi8ELi32ELc67ELc67EKPKaKPKiKPiEEvlllT_PT11_llSB_llS9_PT12_llPT13_lli
		.amdhsa_group_segment_fixed_size 2048
		.amdhsa_private_segment_fixed_size 0
		.amdhsa_kernarg_size 140
		.amdhsa_user_sgpr_count 6
		.amdhsa_user_sgpr_private_segment_buffer 1
		.amdhsa_user_sgpr_dispatch_ptr 0
		.amdhsa_user_sgpr_queue_ptr 0
		.amdhsa_user_sgpr_kernarg_segment_ptr 1
		.amdhsa_user_sgpr_dispatch_id 0
		.amdhsa_user_sgpr_flat_scratch_init 0
		.amdhsa_user_sgpr_private_segment_size 0
		.amdhsa_wavefront_size32 1
		.amdhsa_uses_dynamic_stack 0
		.amdhsa_system_sgpr_private_segment_wavefront_offset 0
		.amdhsa_system_sgpr_workgroup_id_x 1
		.amdhsa_system_sgpr_workgroup_id_y 1
		.amdhsa_system_sgpr_workgroup_id_z 1
		.amdhsa_system_sgpr_workgroup_info 0
		.amdhsa_system_vgpr_workitem_id 1
		.amdhsa_next_free_vgpr 47
		.amdhsa_next_free_sgpr 36
		.amdhsa_reserve_vcc 1
		.amdhsa_reserve_flat_scratch 0
		.amdhsa_float_round_mode_32 0
		.amdhsa_float_round_mode_16_64 0
		.amdhsa_float_denorm_mode_32 3
		.amdhsa_float_denorm_mode_16_64 3
		.amdhsa_dx10_clamp 1
		.amdhsa_ieee_mode 1
		.amdhsa_fp16_overflow 0
		.amdhsa_workgroup_processor_mode 1
		.amdhsa_memory_ordered 1
		.amdhsa_forward_progress 1
		.amdhsa_shared_vgpr_count 0
		.amdhsa_exception_fp_ieee_invalid_op 0
		.amdhsa_exception_fp_denorm_src 0
		.amdhsa_exception_fp_ieee_div_zero 0
		.amdhsa_exception_fp_ieee_overflow 0
		.amdhsa_exception_fp_ieee_underflow 0
		.amdhsa_exception_fp_ieee_inexact 0
		.amdhsa_exception_int_div_zero 0
	.end_amdhsa_kernel
	.section	.text._ZN12_GLOBAL__N_127rocblas_gemm_batched_kernelIiLi16ELi16ELi32ELi32ELi8ELi32ELi8ELi8ELi32ELc67ELc67EKPKaKPKiKPiEEvlllT_PT11_llSB_llS9_PT12_llPT13_lli,"axG",@progbits,_ZN12_GLOBAL__N_127rocblas_gemm_batched_kernelIiLi16ELi16ELi32ELi32ELi8ELi32ELi8ELi8ELi32ELc67ELc67EKPKaKPKiKPiEEvlllT_PT11_llSB_llS9_PT12_llPT13_lli,comdat
.Lfunc_end208:
	.size	_ZN12_GLOBAL__N_127rocblas_gemm_batched_kernelIiLi16ELi16ELi32ELi32ELi8ELi32ELi8ELi8ELi32ELc67ELc67EKPKaKPKiKPiEEvlllT_PT11_llSB_llS9_PT12_llPT13_lli, .Lfunc_end208-_ZN12_GLOBAL__N_127rocblas_gemm_batched_kernelIiLi16ELi16ELi32ELi32ELi8ELi32ELi8ELi8ELi32ELc67ELc67EKPKaKPKiKPiEEvlllT_PT11_llSB_llS9_PT12_llPT13_lli
                                        ; -- End function
	.set _ZN12_GLOBAL__N_127rocblas_gemm_batched_kernelIiLi16ELi16ELi32ELi32ELi8ELi32ELi8ELi8ELi32ELc67ELc67EKPKaKPKiKPiEEvlllT_PT11_llSB_llS9_PT12_llPT13_lli.num_vgpr, 47
	.set _ZN12_GLOBAL__N_127rocblas_gemm_batched_kernelIiLi16ELi16ELi32ELi32ELi8ELi32ELi8ELi8ELi32ELc67ELc67EKPKaKPKiKPiEEvlllT_PT11_llSB_llS9_PT12_llPT13_lli.num_agpr, 0
	.set _ZN12_GLOBAL__N_127rocblas_gemm_batched_kernelIiLi16ELi16ELi32ELi32ELi8ELi32ELi8ELi8ELi32ELc67ELc67EKPKaKPKiKPiEEvlllT_PT11_llSB_llS9_PT12_llPT13_lli.numbered_sgpr, 36
	.set _ZN12_GLOBAL__N_127rocblas_gemm_batched_kernelIiLi16ELi16ELi32ELi32ELi8ELi32ELi8ELi8ELi32ELc67ELc67EKPKaKPKiKPiEEvlllT_PT11_llSB_llS9_PT12_llPT13_lli.num_named_barrier, 0
	.set _ZN12_GLOBAL__N_127rocblas_gemm_batched_kernelIiLi16ELi16ELi32ELi32ELi8ELi32ELi8ELi8ELi32ELc67ELc67EKPKaKPKiKPiEEvlllT_PT11_llSB_llS9_PT12_llPT13_lli.private_seg_size, 0
	.set _ZN12_GLOBAL__N_127rocblas_gemm_batched_kernelIiLi16ELi16ELi32ELi32ELi8ELi32ELi8ELi8ELi32ELc67ELc67EKPKaKPKiKPiEEvlllT_PT11_llSB_llS9_PT12_llPT13_lli.uses_vcc, 1
	.set _ZN12_GLOBAL__N_127rocblas_gemm_batched_kernelIiLi16ELi16ELi32ELi32ELi8ELi32ELi8ELi8ELi32ELc67ELc67EKPKaKPKiKPiEEvlllT_PT11_llSB_llS9_PT12_llPT13_lli.uses_flat_scratch, 0
	.set _ZN12_GLOBAL__N_127rocblas_gemm_batched_kernelIiLi16ELi16ELi32ELi32ELi8ELi32ELi8ELi8ELi32ELc67ELc67EKPKaKPKiKPiEEvlllT_PT11_llSB_llS9_PT12_llPT13_lli.has_dyn_sized_stack, 0
	.set _ZN12_GLOBAL__N_127rocblas_gemm_batched_kernelIiLi16ELi16ELi32ELi32ELi8ELi32ELi8ELi8ELi32ELc67ELc67EKPKaKPKiKPiEEvlllT_PT11_llSB_llS9_PT12_llPT13_lli.has_recursion, 0
	.set _ZN12_GLOBAL__N_127rocblas_gemm_batched_kernelIiLi16ELi16ELi32ELi32ELi8ELi32ELi8ELi8ELi32ELc67ELc67EKPKaKPKiKPiEEvlllT_PT11_llSB_llS9_PT12_llPT13_lli.has_indirect_call, 0
	.section	.AMDGPU.csdata,"",@progbits
; Kernel info:
; codeLenInByte = 1624
; TotalNumSgprs: 38
; NumVgprs: 47
; ScratchSize: 0
; MemoryBound: 0
; FloatMode: 240
; IeeeMode: 1
; LDSByteSize: 2048 bytes/workgroup (compile time only)
; SGPRBlocks: 0
; VGPRBlocks: 5
; NumSGPRsForWavesPerEU: 38
; NumVGPRsForWavesPerEU: 47
; Occupancy: 16
; WaveLimiterHint : 1
; COMPUTE_PGM_RSRC2:SCRATCH_EN: 0
; COMPUTE_PGM_RSRC2:USER_SGPR: 6
; COMPUTE_PGM_RSRC2:TRAP_HANDLER: 0
; COMPUTE_PGM_RSRC2:TGID_X_EN: 1
; COMPUTE_PGM_RSRC2:TGID_Y_EN: 1
; COMPUTE_PGM_RSRC2:TGID_Z_EN: 1
; COMPUTE_PGM_RSRC2:TIDIG_COMP_CNT: 1
	.section	.text._ZN12_GLOBAL__N_127rocblas_gemm_batched_kernelIiLi16ELi16ELi32ELi32ELi8ELi32ELi8ELi8ELi32ELc67ELc78EKPKaKPKiKPiEEvlllT_PT11_llSB_llS9_PT12_llPT13_lli,"axG",@progbits,_ZN12_GLOBAL__N_127rocblas_gemm_batched_kernelIiLi16ELi16ELi32ELi32ELi8ELi32ELi8ELi8ELi32ELc67ELc78EKPKaKPKiKPiEEvlllT_PT11_llSB_llS9_PT12_llPT13_lli,comdat
	.globl	_ZN12_GLOBAL__N_127rocblas_gemm_batched_kernelIiLi16ELi16ELi32ELi32ELi8ELi32ELi8ELi8ELi32ELc67ELc78EKPKaKPKiKPiEEvlllT_PT11_llSB_llS9_PT12_llPT13_lli ; -- Begin function _ZN12_GLOBAL__N_127rocblas_gemm_batched_kernelIiLi16ELi16ELi32ELi32ELi8ELi32ELi8ELi8ELi32ELc67ELc78EKPKaKPKiKPiEEvlllT_PT11_llSB_llS9_PT12_llPT13_lli
	.p2align	8
	.type	_ZN12_GLOBAL__N_127rocblas_gemm_batched_kernelIiLi16ELi16ELi32ELi32ELi8ELi32ELi8ELi8ELi32ELc67ELc78EKPKaKPKiKPiEEvlllT_PT11_llSB_llS9_PT12_llPT13_lli,@function
_ZN12_GLOBAL__N_127rocblas_gemm_batched_kernelIiLi16ELi16ELi32ELi32ELi8ELi32ELi8ELi8ELi32ELc67ELc78EKPKaKPKiKPiEEvlllT_PT11_llSB_llS9_PT12_llPT13_lli: ; @_ZN12_GLOBAL__N_127rocblas_gemm_batched_kernelIiLi16ELi16ELi32ELi32ELi8ELi32ELi8ELi8ELi32ELc67ELc78EKPKaKPKiKPiEEvlllT_PT11_llSB_llS9_PT12_llPT13_lli
; %bb.0:
	s_clause 0x1
	s_load_dwordx8 s[12:19], s[4:5], 0x58
	s_load_dwordx2 s[28:29], s[4:5], 0x10
	s_mov_b32 s9, 0
	s_load_dwordx4 s[0:3], s[4:5], 0x78
	s_lshl_b64 s[30:31], s[8:9], 3
	s_mov_b32 s20, s7
	v_mov_b32_e32 v2, 0
	v_mov_b32_e32 v6, 0
	;; [unrolled: 1-line block ×4, first 2 shown]
	s_waitcnt lgkmcnt(0)
	s_add_u32 s8, s12, s30
	s_addc_u32 s9, s13, s31
	s_add_u32 s10, s18, s30
	s_addc_u32 s11, s19, s31
	s_load_dwordx2 s[8:9], s[8:9], 0x0
	s_load_dwordx2 s[10:11], s[10:11], 0x0
	v_cmp_lt_i64_e64 s12, s[28:29], 1
	s_ashr_i32 s7, s6, 31
	s_ashr_i32 s21, s20, 31
	s_lshl_b64 s[6:7], s[6:7], 5
	s_and_b32 vcc_lo, exec_lo, s12
	s_lshl_b64 s[12:13], s[20:21], 5
	s_cbranch_vccnz .LBB209_3
; %bb.1:
	s_clause 0x1
	s_load_dwordx8 s[20:27], s[4:5], 0x20
	s_load_dwordx4 s[36:39], s[4:5], 0x40
	v_lshl_add_u32 v2, v1, 4, v0
	v_and_b32_e32 v10, 7, v0
	v_mov_b32_e32 v4, 0
	v_lshrrev_b32_e32 v3, 3, v2
	v_and_b32_e32 v7, 31, v2
	v_lshrrev_b32_e32 v2, 5, v2
	v_lshlrev_b32_e32 v5, 2, v10
	v_add_co_u32 v6, s18, v3, s12
	v_add_co_ci_u32_e64 v8, null, 0, s13, s18
	v_lshl_or_b32 v12, v3, 5, v5
	v_lshlrev_b32_e32 v11, 2, v7
	s_waitcnt lgkmcnt(0)
	s_add_u32 s18, s20, s30
	s_addc_u32 s19, s21, s31
	s_add_u32 s20, s26, s30
	s_addc_u32 s21, s27, s31
	s_load_dwordx2 s[18:19], s[18:19], 0x0
	s_load_dwordx2 s[20:21], s[20:21], 0x0
	v_mul_lo_u32 v14, s36, v8
	v_add_co_u32 v8, s24, s24, v2
	v_mul_lo_u32 v15, s37, v6
	v_mad_u64_u32 v[5:6], null, s36, v6, s[38:39]
	v_add_co_ci_u32_e64 v9, null, s25, 0, s24
	v_add_co_u32 v16, s24, s6, v7
	v_add_co_ci_u32_e64 v17, null, s7, 0, s24
	v_lshl_or_b32 v3, v2, 7, v11
	v_add_nc_u32_e32 v7, 0x400, v12
	v_mad_u64_u32 v[12:13], null, s22, v16, v[8:9]
	v_mul_lo_u32 v2, s22, v17
	v_mul_lo_u32 v11, s23, v16
	v_add3_u32 v6, v15, v6, v14
	v_add_co_u32 v5, vcc_lo, v5, v10
	v_lshlrev_b32_e32 v8, 2, v0
	v_lshl_add_u32 v9, v1, 5, 0x400
	v_add_co_ci_u32_e64 v6, null, 0, v6, vcc_lo
	v_add3_u32 v2, v11, v13, v2
	s_waitcnt lgkmcnt(0)
	v_add_co_u32 v10, vcc_lo, s20, v5
	v_add_co_ci_u32_e64 v11, null, s21, v6, vcc_lo
	v_add_co_u32 v12, vcc_lo, s18, v12
	v_add_co_ci_u32_e64 v13, null, s19, v2, vcc_lo
	v_mov_b32_e32 v5, 0
	v_mov_b32_e32 v6, 0
	;; [unrolled: 1-line block ×3, first 2 shown]
	s_mov_b64 s[18:19], 0
.LBB209_2:                              ; =>This Inner Loop Header: Depth=1
	v_add_co_u32 v14, vcc_lo, v12, s18
	v_add_co_ci_u32_e64 v15, null, s19, v13, vcc_lo
	flat_load_sbyte v16, v[14:15]
	v_add_co_u32 v14, vcc_lo, v10, s18
	v_add_co_ci_u32_e64 v15, null, s19, v11, vcc_lo
	s_add_u32 s18, s18, 8
	s_addc_u32 s19, s19, 0
	v_cmp_lt_i64_e64 s20, s[18:19], s[28:29]
	s_and_b32 vcc_lo, exec_lo, s20
	s_waitcnt vmcnt(0) lgkmcnt(0)
	ds_write_b32 v3, v16
	flat_load_sbyte v14, v[14:15]
	s_waitcnt vmcnt(0) lgkmcnt(0)
	ds_write_b32 v7, v14
	s_waitcnt lgkmcnt(0)
	s_barrier
	buffer_gl0_inv
	ds_read_b128 v[14:17], v9
	ds_read2_b32 v[30:31], v8 offset1:16
	ds_read_b128 v[18:21], v9 offset:512
	ds_read2_b32 v[32:33], v8 offset0:32 offset1:48
	ds_read2_b32 v[34:35], v8 offset0:64 offset1:80
	ds_read2_b32 v[36:37], v8 offset0:96 offset1:112
	ds_read_b128 v[22:25], v9 offset:16
	ds_read2_b32 v[38:39], v8 offset0:128 offset1:144
	ds_read_b128 v[26:29], v9 offset:528
	ds_read2_b32 v[40:41], v8 offset0:160 offset1:176
	ds_read2_b32 v[42:43], v8 offset0:192 offset1:208
	;; [unrolled: 1-line block ×3, first 2 shown]
	s_waitcnt lgkmcnt(0)
	s_barrier
	buffer_gl0_inv
	v_mul_lo_u32 v46, v14, v30
	v_mul_lo_u32 v14, v14, v31
	;; [unrolled: 1-line block ×16, first 2 shown]
	v_add3_u32 v2, v2, v46, v31
	v_add3_u32 v6, v6, v14, v15
	;; [unrolled: 1-line block ×4, first 2 shown]
	v_mul_lo_u32 v37, v22, v38
	v_mul_lo_u32 v22, v22, v39
	;; [unrolled: 1-line block ×8, first 2 shown]
	v_add3_u32 v2, v2, v33, v35
	v_add3_u32 v6, v6, v16, v17
	;; [unrolled: 1-line block ×4, first 2 shown]
	v_mul_lo_u32 v41, v24, v42
	v_mul_lo_u32 v24, v24, v43
	;; [unrolled: 1-line block ×8, first 2 shown]
	v_add3_u32 v2, v2, v37, v39
	v_add3_u32 v6, v6, v22, v23
	;; [unrolled: 1-line block ×8, first 2 shown]
	s_cbranch_vccnz .LBB209_2
.LBB209_3:
	s_clause 0x1
	s_load_dword s18, s[4:5], 0x18
	s_load_dword s4, s[4:5], 0x50
	v_add_co_u32 v7, s5, s12, v1
	v_add_co_ci_u32_e64 v9, null, s13, 0, s5
	v_add_co_u32 v10, s5, s6, v0
	v_add_co_ci_u32_e64 v11, null, s7, 0, s5
	v_mul_lo_u32 v8, v9, s0
	s_lshl_b64 s[2:3], s[2:3], 2
	s_mov_b32 s5, 0
	s_waitcnt lgkmcnt(0)
	s_add_u32 s2, s10, s2
	s_addc_u32 s3, s11, s3
	v_mul_lo_u32 v3, v2, s18
	v_mul_lo_u32 v2, v6, s18
	;; [unrolled: 1-line block ×5, first 2 shown]
	v_lshlrev_b64 v[4:5], 2, v[10:11]
	s_cmp_eq_u32 s4, 0
	s_cbranch_scc1 .LBB209_7
; %bb.4:
	v_mul_lo_u32 v11, v9, s14
	v_mul_lo_u32 v12, v7, s15
	v_mad_u64_u32 v[9:10], null, v7, s14, 0
	s_lshl_b64 s[6:7], s[16:17], 2
	s_add_u32 s6, s8, s6
	s_addc_u32 s7, s9, s7
	v_add3_u32 v10, v10, v12, v11
	v_mad_u64_u32 v[11:12], null, v7, s0, 0
	v_lshlrev_b64 v[9:10], 2, v[9:10]
	v_add3_u32 v12, v12, v6, v8
	v_add_co_u32 v14, vcc_lo, s6, v9
	v_add_co_ci_u32_e64 v15, null, s7, v10, vcc_lo
	v_lshlrev_b64 v[11:12], 2, v[11:12]
	v_add_co_u32 v9, vcc_lo, v14, v4
	v_add_co_ci_u32_e64 v10, null, v15, v5, vcc_lo
	s_lshl_b64 s[6:7], s[14:15], 6
	v_add_co_u32 v16, vcc_lo, s2, v11
	flat_load_dword v13, v[9:10]
	v_add_co_ci_u32_e64 v17, null, s3, v12, vcc_lo
	s_waitcnt vmcnt(0) lgkmcnt(0)
	v_mad_u64_u32 v[11:12], null, v13, s4, v[3:4]
	v_add_co_u32 v12, vcc_lo, v16, v4
	v_add_co_ci_u32_e64 v13, null, v17, v5, vcc_lo
	flat_store_dword v[12:13], v11
	flat_load_dword v9, v[9:10] offset:64
	v_add_co_u32 v11, vcc_lo, v14, s6
	v_add_co_ci_u32_e64 v14, null, s7, v15, vcc_lo
	s_lshl_b64 s[6:7], s[0:1], 6
	s_waitcnt vmcnt(0) lgkmcnt(0)
	v_mad_u64_u32 v[9:10], null, v9, s4, v[2:3]
	v_add_co_u32 v10, vcc_lo, v11, v4
	v_add_co_ci_u32_e64 v11, null, v14, v5, vcc_lo
	v_add_co_u32 v14, vcc_lo, v16, s6
	flat_store_dword v[12:13], v9 offset:64
	flat_load_dword v9, v[10:11]
	v_add_co_ci_u32_e64 v15, null, s7, v17, vcc_lo
	s_waitcnt vmcnt(0) lgkmcnt(0)
	v_mad_u64_u32 v[12:13], null, v9, s4, v[1:2]
	v_add_co_u32 v13, vcc_lo, v14, v4
	v_add_co_ci_u32_e64 v14, null, v15, v5, vcc_lo
	flat_store_dword v[13:14], v12
	flat_load_dword v9, v[10:11] offset:64
	s_waitcnt vmcnt(0) lgkmcnt(0)
	v_mad_u64_u32 v[9:10], null, v9, s4, v[0:1]
	flat_store_dword v[13:14], v9 offset:64
	s_andn2_b32 vcc_lo, exec_lo, s5
	s_cbranch_vccnz .LBB209_6
.LBB209_5:
	v_mad_u64_u32 v[9:10], null, v7, s0, 0
	s_lshl_b64 s[0:1], s[0:1], 6
	v_add3_u32 v10, v10, v6, v8
	v_lshlrev_b64 v[6:7], 2, v[9:10]
	v_add_co_u32 v6, vcc_lo, s2, v6
	v_add_co_ci_u32_e64 v7, null, s3, v7, vcc_lo
	v_add_co_u32 v8, vcc_lo, v6, s0
	v_add_co_ci_u32_e64 v9, null, s1, v7, vcc_lo
	v_add_co_u32 v6, vcc_lo, v6, v4
	v_add_co_ci_u32_e64 v7, null, v7, v5, vcc_lo
	v_add_co_u32 v4, vcc_lo, v8, v4
	v_add_co_ci_u32_e64 v5, null, v9, v5, vcc_lo
	flat_store_dword v[6:7], v3
	flat_store_dword v[6:7], v2 offset:64
	flat_store_dword v[4:5], v1
	flat_store_dword v[4:5], v0 offset:64
.LBB209_6:
	s_endpgm
.LBB209_7:
	s_branch .LBB209_5
	.section	.rodata,"a",@progbits
	.p2align	6, 0x0
	.amdhsa_kernel _ZN12_GLOBAL__N_127rocblas_gemm_batched_kernelIiLi16ELi16ELi32ELi32ELi8ELi32ELi8ELi8ELi32ELc67ELc78EKPKaKPKiKPiEEvlllT_PT11_llSB_llS9_PT12_llPT13_lli
		.amdhsa_group_segment_fixed_size 2048
		.amdhsa_private_segment_fixed_size 0
		.amdhsa_kernarg_size 140
		.amdhsa_user_sgpr_count 6
		.amdhsa_user_sgpr_private_segment_buffer 1
		.amdhsa_user_sgpr_dispatch_ptr 0
		.amdhsa_user_sgpr_queue_ptr 0
		.amdhsa_user_sgpr_kernarg_segment_ptr 1
		.amdhsa_user_sgpr_dispatch_id 0
		.amdhsa_user_sgpr_flat_scratch_init 0
		.amdhsa_user_sgpr_private_segment_size 0
		.amdhsa_wavefront_size32 1
		.amdhsa_uses_dynamic_stack 0
		.amdhsa_system_sgpr_private_segment_wavefront_offset 0
		.amdhsa_system_sgpr_workgroup_id_x 1
		.amdhsa_system_sgpr_workgroup_id_y 1
		.amdhsa_system_sgpr_workgroup_id_z 1
		.amdhsa_system_sgpr_workgroup_info 0
		.amdhsa_system_vgpr_workitem_id 1
		.amdhsa_next_free_vgpr 47
		.amdhsa_next_free_sgpr 40
		.amdhsa_reserve_vcc 1
		.amdhsa_reserve_flat_scratch 0
		.amdhsa_float_round_mode_32 0
		.amdhsa_float_round_mode_16_64 0
		.amdhsa_float_denorm_mode_32 3
		.amdhsa_float_denorm_mode_16_64 3
		.amdhsa_dx10_clamp 1
		.amdhsa_ieee_mode 1
		.amdhsa_fp16_overflow 0
		.amdhsa_workgroup_processor_mode 1
		.amdhsa_memory_ordered 1
		.amdhsa_forward_progress 1
		.amdhsa_shared_vgpr_count 0
		.amdhsa_exception_fp_ieee_invalid_op 0
		.amdhsa_exception_fp_denorm_src 0
		.amdhsa_exception_fp_ieee_div_zero 0
		.amdhsa_exception_fp_ieee_overflow 0
		.amdhsa_exception_fp_ieee_underflow 0
		.amdhsa_exception_fp_ieee_inexact 0
		.amdhsa_exception_int_div_zero 0
	.end_amdhsa_kernel
	.section	.text._ZN12_GLOBAL__N_127rocblas_gemm_batched_kernelIiLi16ELi16ELi32ELi32ELi8ELi32ELi8ELi8ELi32ELc67ELc78EKPKaKPKiKPiEEvlllT_PT11_llSB_llS9_PT12_llPT13_lli,"axG",@progbits,_ZN12_GLOBAL__N_127rocblas_gemm_batched_kernelIiLi16ELi16ELi32ELi32ELi8ELi32ELi8ELi8ELi32ELc67ELc78EKPKaKPKiKPiEEvlllT_PT11_llSB_llS9_PT12_llPT13_lli,comdat
.Lfunc_end209:
	.size	_ZN12_GLOBAL__N_127rocblas_gemm_batched_kernelIiLi16ELi16ELi32ELi32ELi8ELi32ELi8ELi8ELi32ELc67ELc78EKPKaKPKiKPiEEvlllT_PT11_llSB_llS9_PT12_llPT13_lli, .Lfunc_end209-_ZN12_GLOBAL__N_127rocblas_gemm_batched_kernelIiLi16ELi16ELi32ELi32ELi8ELi32ELi8ELi8ELi32ELc67ELc78EKPKaKPKiKPiEEvlllT_PT11_llSB_llS9_PT12_llPT13_lli
                                        ; -- End function
	.set _ZN12_GLOBAL__N_127rocblas_gemm_batched_kernelIiLi16ELi16ELi32ELi32ELi8ELi32ELi8ELi8ELi32ELc67ELc78EKPKaKPKiKPiEEvlllT_PT11_llSB_llS9_PT12_llPT13_lli.num_vgpr, 47
	.set _ZN12_GLOBAL__N_127rocblas_gemm_batched_kernelIiLi16ELi16ELi32ELi32ELi8ELi32ELi8ELi8ELi32ELc67ELc78EKPKaKPKiKPiEEvlllT_PT11_llSB_llS9_PT12_llPT13_lli.num_agpr, 0
	.set _ZN12_GLOBAL__N_127rocblas_gemm_batched_kernelIiLi16ELi16ELi32ELi32ELi8ELi32ELi8ELi8ELi32ELc67ELc78EKPKaKPKiKPiEEvlllT_PT11_llSB_llS9_PT12_llPT13_lli.numbered_sgpr, 40
	.set _ZN12_GLOBAL__N_127rocblas_gemm_batched_kernelIiLi16ELi16ELi32ELi32ELi8ELi32ELi8ELi8ELi32ELc67ELc78EKPKaKPKiKPiEEvlllT_PT11_llSB_llS9_PT12_llPT13_lli.num_named_barrier, 0
	.set _ZN12_GLOBAL__N_127rocblas_gemm_batched_kernelIiLi16ELi16ELi32ELi32ELi8ELi32ELi8ELi8ELi32ELc67ELc78EKPKaKPKiKPiEEvlllT_PT11_llSB_llS9_PT12_llPT13_lli.private_seg_size, 0
	.set _ZN12_GLOBAL__N_127rocblas_gemm_batched_kernelIiLi16ELi16ELi32ELi32ELi8ELi32ELi8ELi8ELi32ELc67ELc78EKPKaKPKiKPiEEvlllT_PT11_llSB_llS9_PT12_llPT13_lli.uses_vcc, 1
	.set _ZN12_GLOBAL__N_127rocblas_gemm_batched_kernelIiLi16ELi16ELi32ELi32ELi8ELi32ELi8ELi8ELi32ELc67ELc78EKPKaKPKiKPiEEvlllT_PT11_llSB_llS9_PT12_llPT13_lli.uses_flat_scratch, 0
	.set _ZN12_GLOBAL__N_127rocblas_gemm_batched_kernelIiLi16ELi16ELi32ELi32ELi8ELi32ELi8ELi8ELi32ELc67ELc78EKPKaKPKiKPiEEvlllT_PT11_llSB_llS9_PT12_llPT13_lli.has_dyn_sized_stack, 0
	.set _ZN12_GLOBAL__N_127rocblas_gemm_batched_kernelIiLi16ELi16ELi32ELi32ELi8ELi32ELi8ELi8ELi32ELc67ELc78EKPKaKPKiKPiEEvlllT_PT11_llSB_llS9_PT12_llPT13_lli.has_recursion, 0
	.set _ZN12_GLOBAL__N_127rocblas_gemm_batched_kernelIiLi16ELi16ELi32ELi32ELi8ELi32ELi8ELi8ELi32ELc67ELc78EKPKaKPKiKPiEEvlllT_PT11_llSB_llS9_PT12_llPT13_lli.has_indirect_call, 0
	.section	.AMDGPU.csdata,"",@progbits
; Kernel info:
; codeLenInByte = 1644
; TotalNumSgprs: 42
; NumVgprs: 47
; ScratchSize: 0
; MemoryBound: 0
; FloatMode: 240
; IeeeMode: 1
; LDSByteSize: 2048 bytes/workgroup (compile time only)
; SGPRBlocks: 0
; VGPRBlocks: 5
; NumSGPRsForWavesPerEU: 42
; NumVGPRsForWavesPerEU: 47
; Occupancy: 16
; WaveLimiterHint : 1
; COMPUTE_PGM_RSRC2:SCRATCH_EN: 0
; COMPUTE_PGM_RSRC2:USER_SGPR: 6
; COMPUTE_PGM_RSRC2:TRAP_HANDLER: 0
; COMPUTE_PGM_RSRC2:TGID_X_EN: 1
; COMPUTE_PGM_RSRC2:TGID_Y_EN: 1
; COMPUTE_PGM_RSRC2:TGID_Z_EN: 1
; COMPUTE_PGM_RSRC2:TIDIG_COMP_CNT: 1
	.section	.text._ZN12_GLOBAL__N_127rocblas_gemm_batched_kernelIiLi16ELi16ELi32ELi32ELi8ELi32ELi8ELi8ELi32ELc67ELc84EKPKaKPKiKPiEEvlllT_PT11_llSB_llS9_PT12_llPT13_lli,"axG",@progbits,_ZN12_GLOBAL__N_127rocblas_gemm_batched_kernelIiLi16ELi16ELi32ELi32ELi8ELi32ELi8ELi8ELi32ELc67ELc84EKPKaKPKiKPiEEvlllT_PT11_llSB_llS9_PT12_llPT13_lli,comdat
	.globl	_ZN12_GLOBAL__N_127rocblas_gemm_batched_kernelIiLi16ELi16ELi32ELi32ELi8ELi32ELi8ELi8ELi32ELc67ELc84EKPKaKPKiKPiEEvlllT_PT11_llSB_llS9_PT12_llPT13_lli ; -- Begin function _ZN12_GLOBAL__N_127rocblas_gemm_batched_kernelIiLi16ELi16ELi32ELi32ELi8ELi32ELi8ELi8ELi32ELc67ELc84EKPKaKPKiKPiEEvlllT_PT11_llSB_llS9_PT12_llPT13_lli
	.p2align	8
	.type	_ZN12_GLOBAL__N_127rocblas_gemm_batched_kernelIiLi16ELi16ELi32ELi32ELi8ELi32ELi8ELi8ELi32ELc67ELc84EKPKaKPKiKPiEEvlllT_PT11_llSB_llS9_PT12_llPT13_lli,@function
_ZN12_GLOBAL__N_127rocblas_gemm_batched_kernelIiLi16ELi16ELi32ELi32ELi8ELi32ELi8ELi8ELi32ELc67ELc84EKPKaKPKiKPiEEvlllT_PT11_llSB_llS9_PT12_llPT13_lli: ; @_ZN12_GLOBAL__N_127rocblas_gemm_batched_kernelIiLi16ELi16ELi32ELi32ELi8ELi32ELi8ELi8ELi32ELc67ELc84EKPKaKPKiKPiEEvlllT_PT11_llSB_llS9_PT12_llPT13_lli
; %bb.0:
	s_clause 0x1
	s_load_dwordx8 s[12:19], s[4:5], 0x58
	s_load_dwordx2 s[28:29], s[4:5], 0x10
	s_mov_b32 s9, 0
	s_mov_b32 s0, s7
	s_lshl_b64 s[34:35], s[8:9], 3
	s_load_dwordx4 s[8:11], s[4:5], 0x78
	v_mov_b32_e32 v6, 0
	v_mov_b32_e32 v8, 0
	;; [unrolled: 1-line block ×4, first 2 shown]
	s_waitcnt lgkmcnt(0)
	s_add_u32 s2, s12, s34
	s_addc_u32 s3, s13, s35
	s_add_u32 s18, s18, s34
	s_addc_u32 s19, s19, s35
	s_load_dwordx2 s[12:13], s[2:3], 0x0
	s_load_dwordx2 s[18:19], s[18:19], 0x0
	v_cmp_lt_i64_e64 s2, s[28:29], 1
	s_ashr_i32 s7, s6, 31
	s_ashr_i32 s1, s0, 31
	s_lshl_b64 s[6:7], s[6:7], 5
	s_lshl_b64 s[30:31], s[0:1], 5
	s_and_b32 vcc_lo, exec_lo, s2
	s_cbranch_vccnz .LBB210_3
; %bb.1:
	s_clause 0x1
	s_load_dwordx8 s[20:27], s[4:5], 0x20
	s_load_dwordx4 s[0:3], s[4:5], 0x40
	v_lshl_add_u32 v2, v1, 4, v0
	v_and_b32_e32 v8, 7, v0
	v_mov_b32_e32 v4, 0
	v_lshlrev_b32_e32 v5, 2, v0
	v_lshrrev_b32_e32 v3, 3, v2
	v_lshlrev_b32_e32 v7, 2, v8
	v_and_b32_e32 v6, 31, v2
	v_lshrrev_b32_e32 v10, 5, v2
	v_lshl_or_b32 v12, v3, 5, v7
	v_lshlrev_b32_e32 v11, 2, v6
	s_waitcnt lgkmcnt(0)
	s_add_u32 s20, s20, s34
	v_add_co_u32 v2, s2, s2, v3
	s_addc_u32 s21, s21, s35
	v_add_co_ci_u32_e64 v3, null, s3, 0, s2
	s_add_u32 s2, s26, s34
	s_addc_u32 s3, s27, s35
	v_add_co_u32 v9, s26, s6, v6
	v_add_co_ci_u32_e64 v13, null, s7, 0, s26
	s_load_dwordx2 s[26:27], s[2:3], 0x0
	s_load_dwordx2 s[20:21], s[20:21], 0x0
	v_add_co_u32 v6, s2, s24, v10
	v_mad_u64_u32 v[2:3], null, s0, v8, v[2:3]
	v_add_co_ci_u32_e64 v7, null, s25, 0, s2
	v_mul_lo_u32 v14, s22, v13
	v_mul_lo_u32 v15, s23, v9
	v_lshl_or_b32 v10, v10, 7, v11
	v_mad_u64_u32 v[6:7], null, s22, v9, v[6:7]
	v_add_nc_u32_e32 v11, 0x400, v12
	v_mad_u64_u32 v[12:13], null, s1, v8, v[3:4]
	s_lshl_b64 s[2:3], s[0:1], 3
	v_lshl_add_u32 v9, v1, 5, 0x400
	v_mov_b32_e32 v8, 0
	v_add3_u32 v7, v15, v7, v14
	s_waitcnt lgkmcnt(0)
	s_add_u32 s0, s26, s30
	s_addc_u32 s1, s27, s31
	v_add_co_u32 v2, vcc_lo, s0, v2
	v_add_co_ci_u32_e64 v3, null, s1, v12, vcc_lo
	v_add_co_u32 v12, vcc_lo, s20, v6
	v_add_co_ci_u32_e64 v13, null, s21, v7, vcc_lo
	v_mov_b32_e32 v7, 0
	v_mov_b32_e32 v6, 0
	s_mov_b64 s[20:21], 0
.LBB210_2:                              ; =>This Inner Loop Header: Depth=1
	v_add_co_u32 v14, vcc_lo, v12, s20
	v_add_co_ci_u32_e64 v15, null, s21, v13, vcc_lo
	s_add_u32 s20, s20, 8
	s_addc_u32 s21, s21, 0
	v_cmp_lt_i64_e64 s0, s[20:21], s[28:29]
	flat_load_sbyte v14, v[14:15]
	s_and_b32 vcc_lo, exec_lo, s0
	s_waitcnt vmcnt(0) lgkmcnt(0)
	ds_write_b32 v10, v14
	flat_load_sbyte v14, v[2:3]
	v_add_co_u32 v2, s0, v2, s2
	v_add_co_ci_u32_e64 v3, null, s3, v3, s0
	s_waitcnt vmcnt(0) lgkmcnt(0)
	ds_write_b32 v11, v14
	s_waitcnt lgkmcnt(0)
	s_barrier
	buffer_gl0_inv
	ds_read_b128 v[14:17], v9
	ds_read2_b32 v[30:31], v5 offset1:16
	ds_read_b128 v[18:21], v9 offset:512
	ds_read2_b32 v[32:33], v5 offset0:32 offset1:48
	ds_read2_b32 v[34:35], v5 offset0:64 offset1:80
	;; [unrolled: 1-line block ×3, first 2 shown]
	ds_read_b128 v[22:25], v9 offset:16
	ds_read2_b32 v[38:39], v5 offset0:128 offset1:144
	ds_read_b128 v[26:29], v9 offset:528
	ds_read2_b32 v[40:41], v5 offset0:160 offset1:176
	ds_read2_b32 v[42:43], v5 offset0:192 offset1:208
	;; [unrolled: 1-line block ×3, first 2 shown]
	s_waitcnt lgkmcnt(0)
	s_barrier
	buffer_gl0_inv
	v_mul_lo_u32 v46, v14, v30
	v_mul_lo_u32 v14, v14, v31
	;; [unrolled: 1-line block ×16, first 2 shown]
	v_add3_u32 v6, v6, v46, v31
	v_add3_u32 v8, v8, v14, v15
	;; [unrolled: 1-line block ×4, first 2 shown]
	v_mul_lo_u32 v37, v22, v38
	v_mul_lo_u32 v22, v22, v39
	;; [unrolled: 1-line block ×8, first 2 shown]
	v_add3_u32 v6, v6, v33, v35
	v_add3_u32 v8, v8, v16, v17
	;; [unrolled: 1-line block ×4, first 2 shown]
	v_mul_lo_u32 v41, v24, v42
	v_mul_lo_u32 v24, v24, v43
	;; [unrolled: 1-line block ×8, first 2 shown]
	v_add3_u32 v6, v6, v37, v39
	v_add3_u32 v8, v8, v22, v23
	;; [unrolled: 1-line block ×8, first 2 shown]
	s_cbranch_vccnz .LBB210_2
.LBB210_3:
	s_clause 0x1
	s_load_dword s1, s[4:5], 0x18
	s_load_dword s0, s[4:5], 0x50
	v_add_co_u32 v9, s2, s30, v1
	v_add_co_ci_u32_e64 v11, null, s31, 0, s2
	v_add_co_u32 v12, s2, s6, v0
	v_add_co_ci_u32_e64 v13, null, s7, 0, s2
	v_mul_lo_u32 v10, v11, s8
	s_lshl_b64 s[2:3], s[10:11], 2
	s_waitcnt lgkmcnt(0)
	v_mul_lo_u32 v3, v6, s1
	v_mul_lo_u32 v2, v8, s1
	;; [unrolled: 1-line block ×5, first 2 shown]
	v_lshlrev_b64 v[4:5], 2, v[12:13]
	s_add_u32 s1, s18, s2
	s_addc_u32 s2, s19, s3
	s_cmp_eq_u32 s0, 0
	s_mov_b32 s3, 0
	s_cbranch_scc1 .LBB210_7
; %bb.4:
	v_mul_lo_u32 v11, v11, s14
	v_mul_lo_u32 v12, v9, s15
	v_mad_u64_u32 v[7:8], null, v9, s14, 0
	s_lshl_b64 s[4:5], s[16:17], 2
	s_add_u32 s4, s12, s4
	s_addc_u32 s5, s13, s5
	v_add3_u32 v8, v8, v12, v11
	v_mad_u64_u32 v[11:12], null, v9, s8, 0
	v_lshlrev_b64 v[7:8], 2, v[7:8]
	v_add3_u32 v12, v12, v6, v10
	v_add_co_u32 v14, vcc_lo, s4, v7
	v_add_co_ci_u32_e64 v15, null, s5, v8, vcc_lo
	v_lshlrev_b64 v[11:12], 2, v[11:12]
	v_add_co_u32 v7, vcc_lo, v14, v4
	v_add_co_ci_u32_e64 v8, null, v15, v5, vcc_lo
	s_lshl_b64 s[4:5], s[14:15], 6
	v_add_co_u32 v16, vcc_lo, s1, v11
	flat_load_dword v13, v[7:8]
	v_add_co_ci_u32_e64 v17, null, s2, v12, vcc_lo
	s_waitcnt vmcnt(0) lgkmcnt(0)
	v_mad_u64_u32 v[11:12], null, v13, s0, v[3:4]
	v_add_co_u32 v12, vcc_lo, v16, v4
	v_add_co_ci_u32_e64 v13, null, v17, v5, vcc_lo
	flat_store_dword v[12:13], v11
	flat_load_dword v7, v[7:8] offset:64
	v_add_co_u32 v11, vcc_lo, v14, s4
	v_add_co_ci_u32_e64 v15, null, s5, v15, vcc_lo
	s_lshl_b64 s[4:5], s[8:9], 6
	v_add_co_u32 v14, vcc_lo, v11, v4
	v_add_co_ci_u32_e64 v15, null, v15, v5, vcc_lo
	v_add_co_u32 v11, vcc_lo, v16, s4
	s_waitcnt vmcnt(0) lgkmcnt(0)
	v_mad_u64_u32 v[7:8], null, v7, s0, v[2:3]
	flat_store_dword v[12:13], v7 offset:64
	flat_load_dword v7, v[14:15]
	v_add_co_ci_u32_e64 v12, null, s5, v17, vcc_lo
	v_add_co_u32 v11, vcc_lo, v11, v4
	v_add_co_ci_u32_e64 v12, null, v12, v5, vcc_lo
	s_waitcnt vmcnt(0) lgkmcnt(0)
	v_mad_u64_u32 v[7:8], null, v7, s0, v[1:2]
	flat_store_dword v[11:12], v7
	flat_load_dword v7, v[14:15] offset:64
	s_waitcnt vmcnt(0) lgkmcnt(0)
	v_mad_u64_u32 v[7:8], null, v7, s0, v[0:1]
	flat_store_dword v[11:12], v7 offset:64
	s_andn2_b32 vcc_lo, exec_lo, s3
	s_cbranch_vccnz .LBB210_6
.LBB210_5:
	v_mad_u64_u32 v[7:8], null, v9, s8, 0
	v_add3_u32 v8, v8, v6, v10
	v_lshlrev_b64 v[6:7], 2, v[7:8]
	v_add_co_u32 v6, vcc_lo, s1, v6
	v_add_co_ci_u32_e64 v7, null, s2, v7, vcc_lo
	s_lshl_b64 s[0:1], s[8:9], 6
	v_add_co_u32 v8, vcc_lo, v6, s0
	v_add_co_ci_u32_e64 v9, null, s1, v7, vcc_lo
	v_add_co_u32 v6, vcc_lo, v6, v4
	v_add_co_ci_u32_e64 v7, null, v7, v5, vcc_lo
	;; [unrolled: 2-line block ×3, first 2 shown]
	flat_store_dword v[6:7], v3
	flat_store_dword v[6:7], v2 offset:64
	flat_store_dword v[4:5], v1
	flat_store_dword v[4:5], v0 offset:64
.LBB210_6:
	s_endpgm
.LBB210_7:
	s_branch .LBB210_5
	.section	.rodata,"a",@progbits
	.p2align	6, 0x0
	.amdhsa_kernel _ZN12_GLOBAL__N_127rocblas_gemm_batched_kernelIiLi16ELi16ELi32ELi32ELi8ELi32ELi8ELi8ELi32ELc67ELc84EKPKaKPKiKPiEEvlllT_PT11_llSB_llS9_PT12_llPT13_lli
		.amdhsa_group_segment_fixed_size 2048
		.amdhsa_private_segment_fixed_size 0
		.amdhsa_kernarg_size 140
		.amdhsa_user_sgpr_count 6
		.amdhsa_user_sgpr_private_segment_buffer 1
		.amdhsa_user_sgpr_dispatch_ptr 0
		.amdhsa_user_sgpr_queue_ptr 0
		.amdhsa_user_sgpr_kernarg_segment_ptr 1
		.amdhsa_user_sgpr_dispatch_id 0
		.amdhsa_user_sgpr_flat_scratch_init 0
		.amdhsa_user_sgpr_private_segment_size 0
		.amdhsa_wavefront_size32 1
		.amdhsa_uses_dynamic_stack 0
		.amdhsa_system_sgpr_private_segment_wavefront_offset 0
		.amdhsa_system_sgpr_workgroup_id_x 1
		.amdhsa_system_sgpr_workgroup_id_y 1
		.amdhsa_system_sgpr_workgroup_id_z 1
		.amdhsa_system_sgpr_workgroup_info 0
		.amdhsa_system_vgpr_workitem_id 1
		.amdhsa_next_free_vgpr 47
		.amdhsa_next_free_sgpr 36
		.amdhsa_reserve_vcc 1
		.amdhsa_reserve_flat_scratch 0
		.amdhsa_float_round_mode_32 0
		.amdhsa_float_round_mode_16_64 0
		.amdhsa_float_denorm_mode_32 3
		.amdhsa_float_denorm_mode_16_64 3
		.amdhsa_dx10_clamp 1
		.amdhsa_ieee_mode 1
		.amdhsa_fp16_overflow 0
		.amdhsa_workgroup_processor_mode 1
		.amdhsa_memory_ordered 1
		.amdhsa_forward_progress 1
		.amdhsa_shared_vgpr_count 0
		.amdhsa_exception_fp_ieee_invalid_op 0
		.amdhsa_exception_fp_denorm_src 0
		.amdhsa_exception_fp_ieee_div_zero 0
		.amdhsa_exception_fp_ieee_overflow 0
		.amdhsa_exception_fp_ieee_underflow 0
		.amdhsa_exception_fp_ieee_inexact 0
		.amdhsa_exception_int_div_zero 0
	.end_amdhsa_kernel
	.section	.text._ZN12_GLOBAL__N_127rocblas_gemm_batched_kernelIiLi16ELi16ELi32ELi32ELi8ELi32ELi8ELi8ELi32ELc67ELc84EKPKaKPKiKPiEEvlllT_PT11_llSB_llS9_PT12_llPT13_lli,"axG",@progbits,_ZN12_GLOBAL__N_127rocblas_gemm_batched_kernelIiLi16ELi16ELi32ELi32ELi8ELi32ELi8ELi8ELi32ELc67ELc84EKPKaKPKiKPiEEvlllT_PT11_llSB_llS9_PT12_llPT13_lli,comdat
.Lfunc_end210:
	.size	_ZN12_GLOBAL__N_127rocblas_gemm_batched_kernelIiLi16ELi16ELi32ELi32ELi8ELi32ELi8ELi8ELi32ELc67ELc84EKPKaKPKiKPiEEvlllT_PT11_llSB_llS9_PT12_llPT13_lli, .Lfunc_end210-_ZN12_GLOBAL__N_127rocblas_gemm_batched_kernelIiLi16ELi16ELi32ELi32ELi8ELi32ELi8ELi8ELi32ELc67ELc84EKPKaKPKiKPiEEvlllT_PT11_llSB_llS9_PT12_llPT13_lli
                                        ; -- End function
	.set _ZN12_GLOBAL__N_127rocblas_gemm_batched_kernelIiLi16ELi16ELi32ELi32ELi8ELi32ELi8ELi8ELi32ELc67ELc84EKPKaKPKiKPiEEvlllT_PT11_llSB_llS9_PT12_llPT13_lli.num_vgpr, 47
	.set _ZN12_GLOBAL__N_127rocblas_gemm_batched_kernelIiLi16ELi16ELi32ELi32ELi8ELi32ELi8ELi8ELi32ELc67ELc84EKPKaKPKiKPiEEvlllT_PT11_llSB_llS9_PT12_llPT13_lli.num_agpr, 0
	.set _ZN12_GLOBAL__N_127rocblas_gemm_batched_kernelIiLi16ELi16ELi32ELi32ELi8ELi32ELi8ELi8ELi32ELc67ELc84EKPKaKPKiKPiEEvlllT_PT11_llSB_llS9_PT12_llPT13_lli.numbered_sgpr, 36
	.set _ZN12_GLOBAL__N_127rocblas_gemm_batched_kernelIiLi16ELi16ELi32ELi32ELi8ELi32ELi8ELi8ELi32ELc67ELc84EKPKaKPKiKPiEEvlllT_PT11_llSB_llS9_PT12_llPT13_lli.num_named_barrier, 0
	.set _ZN12_GLOBAL__N_127rocblas_gemm_batched_kernelIiLi16ELi16ELi32ELi32ELi8ELi32ELi8ELi8ELi32ELc67ELc84EKPKaKPKiKPiEEvlllT_PT11_llSB_llS9_PT12_llPT13_lli.private_seg_size, 0
	.set _ZN12_GLOBAL__N_127rocblas_gemm_batched_kernelIiLi16ELi16ELi32ELi32ELi8ELi32ELi8ELi8ELi32ELc67ELc84EKPKaKPKiKPiEEvlllT_PT11_llSB_llS9_PT12_llPT13_lli.uses_vcc, 1
	.set _ZN12_GLOBAL__N_127rocblas_gemm_batched_kernelIiLi16ELi16ELi32ELi32ELi8ELi32ELi8ELi8ELi32ELc67ELc84EKPKaKPKiKPiEEvlllT_PT11_llSB_llS9_PT12_llPT13_lli.uses_flat_scratch, 0
	.set _ZN12_GLOBAL__N_127rocblas_gemm_batched_kernelIiLi16ELi16ELi32ELi32ELi8ELi32ELi8ELi8ELi32ELc67ELc84EKPKaKPKiKPiEEvlllT_PT11_llSB_llS9_PT12_llPT13_lli.has_dyn_sized_stack, 0
	.set _ZN12_GLOBAL__N_127rocblas_gemm_batched_kernelIiLi16ELi16ELi32ELi32ELi8ELi32ELi8ELi8ELi32ELc67ELc84EKPKaKPKiKPiEEvlllT_PT11_llSB_llS9_PT12_llPT13_lli.has_recursion, 0
	.set _ZN12_GLOBAL__N_127rocblas_gemm_batched_kernelIiLi16ELi16ELi32ELi32ELi8ELi32ELi8ELi8ELi32ELc67ELc84EKPKaKPKiKPiEEvlllT_PT11_llSB_llS9_PT12_llPT13_lli.has_indirect_call, 0
	.section	.AMDGPU.csdata,"",@progbits
; Kernel info:
; codeLenInByte = 1624
; TotalNumSgprs: 38
; NumVgprs: 47
; ScratchSize: 0
; MemoryBound: 0
; FloatMode: 240
; IeeeMode: 1
; LDSByteSize: 2048 bytes/workgroup (compile time only)
; SGPRBlocks: 0
; VGPRBlocks: 5
; NumSGPRsForWavesPerEU: 38
; NumVGPRsForWavesPerEU: 47
; Occupancy: 16
; WaveLimiterHint : 1
; COMPUTE_PGM_RSRC2:SCRATCH_EN: 0
; COMPUTE_PGM_RSRC2:USER_SGPR: 6
; COMPUTE_PGM_RSRC2:TRAP_HANDLER: 0
; COMPUTE_PGM_RSRC2:TGID_X_EN: 1
; COMPUTE_PGM_RSRC2:TGID_Y_EN: 1
; COMPUTE_PGM_RSRC2:TGID_Z_EN: 1
; COMPUTE_PGM_RSRC2:TIDIG_COMP_CNT: 1
	.section	.text._ZN12_GLOBAL__N_127rocblas_gemm_batched_kernelIiLi16ELi16ELi32ELi32ELi8ELi32ELi8ELi8ELi32ELc78ELc67EKPKaKPKiKPiEEvlllT_PT11_llSB_llS9_PT12_llPT13_lli,"axG",@progbits,_ZN12_GLOBAL__N_127rocblas_gemm_batched_kernelIiLi16ELi16ELi32ELi32ELi8ELi32ELi8ELi8ELi32ELc78ELc67EKPKaKPKiKPiEEvlllT_PT11_llSB_llS9_PT12_llPT13_lli,comdat
	.globl	_ZN12_GLOBAL__N_127rocblas_gemm_batched_kernelIiLi16ELi16ELi32ELi32ELi8ELi32ELi8ELi8ELi32ELc78ELc67EKPKaKPKiKPiEEvlllT_PT11_llSB_llS9_PT12_llPT13_lli ; -- Begin function _ZN12_GLOBAL__N_127rocblas_gemm_batched_kernelIiLi16ELi16ELi32ELi32ELi8ELi32ELi8ELi8ELi32ELc78ELc67EKPKaKPKiKPiEEvlllT_PT11_llSB_llS9_PT12_llPT13_lli
	.p2align	8
	.type	_ZN12_GLOBAL__N_127rocblas_gemm_batched_kernelIiLi16ELi16ELi32ELi32ELi8ELi32ELi8ELi8ELi32ELc78ELc67EKPKaKPKiKPiEEvlllT_PT11_llSB_llS9_PT12_llPT13_lli,@function
_ZN12_GLOBAL__N_127rocblas_gemm_batched_kernelIiLi16ELi16ELi32ELi32ELi8ELi32ELi8ELi8ELi32ELc78ELc67EKPKaKPKiKPiEEvlllT_PT11_llSB_llS9_PT12_llPT13_lli: ; @_ZN12_GLOBAL__N_127rocblas_gemm_batched_kernelIiLi16ELi16ELi32ELi32ELi8ELi32ELi8ELi8ELi32ELc78ELc67EKPKaKPKiKPiEEvlllT_PT11_llSB_llS9_PT12_llPT13_lli
; %bb.0:
	s_clause 0x1
	s_load_dwordx8 s[12:19], s[4:5], 0x58
	s_load_dwordx2 s[28:29], s[4:5], 0x10
	s_mov_b32 s9, 0
	s_mov_b32 s0, s7
	s_lshl_b64 s[34:35], s[8:9], 3
	s_load_dwordx4 s[8:11], s[4:5], 0x78
	v_mov_b32_e32 v11, 0
	v_mov_b32_e32 v10, 0
	;; [unrolled: 1-line block ×4, first 2 shown]
	s_waitcnt lgkmcnt(0)
	s_add_u32 s2, s12, s34
	s_addc_u32 s3, s13, s35
	s_add_u32 s18, s18, s34
	s_addc_u32 s19, s19, s35
	s_load_dwordx2 s[12:13], s[2:3], 0x0
	s_load_dwordx2 s[18:19], s[18:19], 0x0
	v_cmp_lt_i64_e64 s2, s[28:29], 1
	s_ashr_i32 s7, s6, 31
	s_ashr_i32 s1, s0, 31
	s_lshl_b64 s[6:7], s[6:7], 5
	s_lshl_b64 s[30:31], s[0:1], 5
	s_and_b32 vcc_lo, exec_lo, s2
	s_cbranch_vccnz .LBB211_3
; %bb.1:
	s_clause 0x1
	s_load_dwordx8 s[20:27], s[4:5], 0x20
	s_load_dwordx4 s[0:3], s[4:5], 0x40
	v_lshl_add_u32 v10, v1, 4, v0
	v_and_b32_e32 v14, 7, v0
	v_mov_b32_e32 v6, 0
	v_lshlrev_b32_e32 v7, 2, v0
	v_lshl_add_u32 v8, v1, 5, 0x400
	v_lshrrev_b32_e32 v11, 3, v10
	v_lshrrev_b32_e32 v13, 5, v10
	v_and_b32_e32 v16, 31, v10
	v_lshlrev_b32_e32 v12, 2, v14
	v_mov_b32_e32 v9, 0
	v_mov_b32_e32 v10, 0
	v_lshlrev_b32_e32 v15, 2, v16
	v_lshl_or_b32 v17, v11, 5, v12
	s_waitcnt lgkmcnt(0)
	s_add_u32 s36, s20, s34
	s_addc_u32 s37, s21, s35
	s_add_u32 s20, s26, s34
	s_addc_u32 s21, s27, s35
	v_add_co_u32 v2, s2, s2, v11
	s_load_dwordx2 s[26:27], s[20:21], 0x0
	v_add_co_ci_u32_e64 v3, null, s3, 0, s2
	s_lshl_b64 s[2:3], s[22:23], 3
	s_lshl_b64 s[20:21], s[0:1], 3
	v_mad_u64_u32 v[2:3], null, s0, v14, v[2:3]
	s_waitcnt lgkmcnt(0)
	s_add_u32 s26, s26, s30
	s_addc_u32 s27, s27, s31
	s_add_u32 s24, s6, s24
	s_addc_u32 s25, s7, s25
	v_mad_u64_u32 v[4:5], null, s22, v13, s[24:25]
	s_load_dwordx2 s[24:25], s[36:37], 0x0
	v_mad_u64_u32 v[11:12], null, s23, v13, v[5:6]
	v_lshl_or_b32 v12, v13, 7, v15
	v_mad_u64_u32 v[14:15], null, s1, v14, v[3:4]
	v_add_co_u32 v4, vcc_lo, v4, v16
	v_add_nc_u32_e32 v13, 0x400, v17
	v_add_co_ci_u32_e64 v5, null, 0, v11, vcc_lo
	v_add_co_u32 v2, vcc_lo, s26, v2
	v_add_co_ci_u32_e64 v3, null, s27, v14, vcc_lo
	s_waitcnt lgkmcnt(0)
	v_add_co_u32 v4, vcc_lo, s24, v4
	v_add_co_ci_u32_e64 v5, null, s25, v5, vcc_lo
	v_mov_b32_e32 v11, 0
	s_mov_b64 s[22:23], 0
.LBB211_2:                              ; =>This Inner Loop Header: Depth=1
	flat_load_sbyte v14, v[4:5]
	s_add_u32 s22, s22, 8
	s_addc_u32 s23, s23, 0
	v_add_co_u32 v4, vcc_lo, v4, s2
	v_cmp_lt_i64_e64 s0, s[22:23], s[28:29]
	v_add_co_ci_u32_e64 v5, null, s3, v5, vcc_lo
	s_and_b32 vcc_lo, exec_lo, s0
	s_waitcnt vmcnt(0) lgkmcnt(0)
	ds_write_b32 v12, v14
	flat_load_sbyte v14, v[2:3]
	v_add_co_u32 v2, s0, v2, s20
	v_add_co_ci_u32_e64 v3, null, s21, v3, s0
	s_waitcnt vmcnt(0) lgkmcnt(0)
	ds_write_b32 v13, v14
	s_waitcnt lgkmcnt(0)
	s_barrier
	buffer_gl0_inv
	ds_read_b128 v[14:17], v8
	ds_read2_b32 v[30:31], v7 offset1:16
	ds_read_b128 v[18:21], v8 offset:512
	ds_read2_b32 v[32:33], v7 offset0:32 offset1:48
	ds_read2_b32 v[34:35], v7 offset0:64 offset1:80
	;; [unrolled: 1-line block ×3, first 2 shown]
	ds_read_b128 v[22:25], v8 offset:16
	ds_read2_b32 v[38:39], v7 offset0:128 offset1:144
	ds_read_b128 v[26:29], v8 offset:528
	ds_read2_b32 v[40:41], v7 offset0:160 offset1:176
	ds_read2_b32 v[42:43], v7 offset0:192 offset1:208
	;; [unrolled: 1-line block ×3, first 2 shown]
	s_waitcnt lgkmcnt(0)
	s_barrier
	buffer_gl0_inv
	v_mul_lo_u32 v46, v14, v30
	v_mul_lo_u32 v14, v14, v31
	;; [unrolled: 1-line block ×16, first 2 shown]
	v_add3_u32 v11, v11, v46, v31
	v_add3_u32 v10, v10, v14, v15
	;; [unrolled: 1-line block ×4, first 2 shown]
	v_mul_lo_u32 v37, v22, v38
	v_mul_lo_u32 v22, v22, v39
	;; [unrolled: 1-line block ×8, first 2 shown]
	v_add3_u32 v11, v11, v33, v35
	v_add3_u32 v10, v10, v16, v17
	v_add3_u32 v9, v9, v34, v36
	v_add3_u32 v6, v6, v20, v21
	v_mul_lo_u32 v41, v24, v42
	v_mul_lo_u32 v24, v24, v43
	;; [unrolled: 1-line block ×8, first 2 shown]
	v_add3_u32 v11, v11, v37, v39
	v_add3_u32 v10, v10, v22, v23
	;; [unrolled: 1-line block ×8, first 2 shown]
	s_cbranch_vccnz .LBB211_2
.LBB211_3:
	s_clause 0x1
	s_load_dword s1, s[4:5], 0x18
	s_load_dword s0, s[4:5], 0x50
	v_add_co_u32 v7, s2, s30, v1
	v_add_co_ci_u32_e64 v12, null, s31, 0, s2
	v_add_co_u32 v4, s2, s6, v0
	v_add_co_ci_u32_e64 v5, null, s7, 0, s2
	v_mul_lo_u32 v8, v12, s8
	s_lshl_b64 s[2:3], s[10:11], 2
	v_lshlrev_b64 v[4:5], 2, v[4:5]
	s_waitcnt lgkmcnt(0)
	v_mul_lo_u32 v3, v11, s1
	v_mul_lo_u32 v2, v10, s1
	;; [unrolled: 1-line block ×5, first 2 shown]
	s_add_u32 s1, s18, s2
	s_addc_u32 s2, s19, s3
	s_cmp_eq_u32 s0, 0
	s_mov_b32 s3, 0
	s_cbranch_scc1 .LBB211_7
; %bb.4:
	v_mul_lo_u32 v11, v12, s14
	v_mul_lo_u32 v12, v7, s15
	v_mad_u64_u32 v[9:10], null, v7, s14, 0
	s_lshl_b64 s[4:5], s[16:17], 2
	s_add_u32 s4, s12, s4
	s_addc_u32 s5, s13, s5
	v_add3_u32 v10, v10, v12, v11
	v_mad_u64_u32 v[11:12], null, v7, s8, 0
	v_lshlrev_b64 v[9:10], 2, v[9:10]
	v_add3_u32 v12, v12, v6, v8
	v_add_co_u32 v14, vcc_lo, s4, v9
	v_add_co_ci_u32_e64 v15, null, s5, v10, vcc_lo
	v_lshlrev_b64 v[11:12], 2, v[11:12]
	v_add_co_u32 v9, vcc_lo, v14, v4
	v_add_co_ci_u32_e64 v10, null, v15, v5, vcc_lo
	s_lshl_b64 s[4:5], s[14:15], 6
	v_add_co_u32 v16, vcc_lo, s1, v11
	flat_load_dword v13, v[9:10]
	v_add_co_ci_u32_e64 v17, null, s2, v12, vcc_lo
	s_waitcnt vmcnt(0) lgkmcnt(0)
	v_mad_u64_u32 v[11:12], null, v13, s0, v[3:4]
	v_add_co_u32 v12, vcc_lo, v16, v4
	v_add_co_ci_u32_e64 v13, null, v17, v5, vcc_lo
	flat_store_dword v[12:13], v11
	flat_load_dword v9, v[9:10] offset:64
	v_add_co_u32 v11, vcc_lo, v14, s4
	v_add_co_ci_u32_e64 v14, null, s5, v15, vcc_lo
	s_lshl_b64 s[4:5], s[8:9], 6
	s_waitcnt vmcnt(0) lgkmcnt(0)
	v_mad_u64_u32 v[9:10], null, v9, s0, v[2:3]
	v_add_co_u32 v10, vcc_lo, v11, v4
	v_add_co_ci_u32_e64 v11, null, v14, v5, vcc_lo
	v_add_co_u32 v14, vcc_lo, v16, s4
	flat_store_dword v[12:13], v9 offset:64
	flat_load_dword v9, v[10:11]
	v_add_co_ci_u32_e64 v15, null, s5, v17, vcc_lo
	s_waitcnt vmcnt(0) lgkmcnt(0)
	v_mad_u64_u32 v[12:13], null, v9, s0, v[1:2]
	v_add_co_u32 v13, vcc_lo, v14, v4
	v_add_co_ci_u32_e64 v14, null, v15, v5, vcc_lo
	flat_store_dword v[13:14], v12
	flat_load_dword v9, v[10:11] offset:64
	s_waitcnt vmcnt(0) lgkmcnt(0)
	v_mad_u64_u32 v[9:10], null, v9, s0, v[0:1]
	flat_store_dword v[13:14], v9 offset:64
	s_andn2_b32 vcc_lo, exec_lo, s3
	s_cbranch_vccnz .LBB211_6
.LBB211_5:
	v_mad_u64_u32 v[9:10], null, v7, s8, 0
	v_add3_u32 v10, v10, v6, v8
	v_lshlrev_b64 v[6:7], 2, v[9:10]
	v_add_co_u32 v6, vcc_lo, s1, v6
	v_add_co_ci_u32_e64 v7, null, s2, v7, vcc_lo
	s_lshl_b64 s[0:1], s[8:9], 6
	v_add_co_u32 v8, vcc_lo, v6, s0
	v_add_co_ci_u32_e64 v9, null, s1, v7, vcc_lo
	v_add_co_u32 v6, vcc_lo, v6, v4
	v_add_co_ci_u32_e64 v7, null, v7, v5, vcc_lo
	v_add_co_u32 v4, vcc_lo, v8, v4
	v_add_co_ci_u32_e64 v5, null, v9, v5, vcc_lo
	flat_store_dword v[6:7], v3
	flat_store_dword v[6:7], v2 offset:64
	flat_store_dword v[4:5], v1
	flat_store_dword v[4:5], v0 offset:64
.LBB211_6:
	s_endpgm
.LBB211_7:
	s_branch .LBB211_5
	.section	.rodata,"a",@progbits
	.p2align	6, 0x0
	.amdhsa_kernel _ZN12_GLOBAL__N_127rocblas_gemm_batched_kernelIiLi16ELi16ELi32ELi32ELi8ELi32ELi8ELi8ELi32ELc78ELc67EKPKaKPKiKPiEEvlllT_PT11_llSB_llS9_PT12_llPT13_lli
		.amdhsa_group_segment_fixed_size 2048
		.amdhsa_private_segment_fixed_size 0
		.amdhsa_kernarg_size 140
		.amdhsa_user_sgpr_count 6
		.amdhsa_user_sgpr_private_segment_buffer 1
		.amdhsa_user_sgpr_dispatch_ptr 0
		.amdhsa_user_sgpr_queue_ptr 0
		.amdhsa_user_sgpr_kernarg_segment_ptr 1
		.amdhsa_user_sgpr_dispatch_id 0
		.amdhsa_user_sgpr_flat_scratch_init 0
		.amdhsa_user_sgpr_private_segment_size 0
		.amdhsa_wavefront_size32 1
		.amdhsa_uses_dynamic_stack 0
		.amdhsa_system_sgpr_private_segment_wavefront_offset 0
		.amdhsa_system_sgpr_workgroup_id_x 1
		.amdhsa_system_sgpr_workgroup_id_y 1
		.amdhsa_system_sgpr_workgroup_id_z 1
		.amdhsa_system_sgpr_workgroup_info 0
		.amdhsa_system_vgpr_workitem_id 1
		.amdhsa_next_free_vgpr 47
		.amdhsa_next_free_sgpr 38
		.amdhsa_reserve_vcc 1
		.amdhsa_reserve_flat_scratch 0
		.amdhsa_float_round_mode_32 0
		.amdhsa_float_round_mode_16_64 0
		.amdhsa_float_denorm_mode_32 3
		.amdhsa_float_denorm_mode_16_64 3
		.amdhsa_dx10_clamp 1
		.amdhsa_ieee_mode 1
		.amdhsa_fp16_overflow 0
		.amdhsa_workgroup_processor_mode 1
		.amdhsa_memory_ordered 1
		.amdhsa_forward_progress 1
		.amdhsa_shared_vgpr_count 0
		.amdhsa_exception_fp_ieee_invalid_op 0
		.amdhsa_exception_fp_denorm_src 0
		.amdhsa_exception_fp_ieee_div_zero 0
		.amdhsa_exception_fp_ieee_overflow 0
		.amdhsa_exception_fp_ieee_underflow 0
		.amdhsa_exception_fp_ieee_inexact 0
		.amdhsa_exception_int_div_zero 0
	.end_amdhsa_kernel
	.section	.text._ZN12_GLOBAL__N_127rocblas_gemm_batched_kernelIiLi16ELi16ELi32ELi32ELi8ELi32ELi8ELi8ELi32ELc78ELc67EKPKaKPKiKPiEEvlllT_PT11_llSB_llS9_PT12_llPT13_lli,"axG",@progbits,_ZN12_GLOBAL__N_127rocblas_gemm_batched_kernelIiLi16ELi16ELi32ELi32ELi8ELi32ELi8ELi8ELi32ELc78ELc67EKPKaKPKiKPiEEvlllT_PT11_llSB_llS9_PT12_llPT13_lli,comdat
.Lfunc_end211:
	.size	_ZN12_GLOBAL__N_127rocblas_gemm_batched_kernelIiLi16ELi16ELi32ELi32ELi8ELi32ELi8ELi8ELi32ELc78ELc67EKPKaKPKiKPiEEvlllT_PT11_llSB_llS9_PT12_llPT13_lli, .Lfunc_end211-_ZN12_GLOBAL__N_127rocblas_gemm_batched_kernelIiLi16ELi16ELi32ELi32ELi8ELi32ELi8ELi8ELi32ELc78ELc67EKPKaKPKiKPiEEvlllT_PT11_llSB_llS9_PT12_llPT13_lli
                                        ; -- End function
	.set _ZN12_GLOBAL__N_127rocblas_gemm_batched_kernelIiLi16ELi16ELi32ELi32ELi8ELi32ELi8ELi8ELi32ELc78ELc67EKPKaKPKiKPiEEvlllT_PT11_llSB_llS9_PT12_llPT13_lli.num_vgpr, 47
	.set _ZN12_GLOBAL__N_127rocblas_gemm_batched_kernelIiLi16ELi16ELi32ELi32ELi8ELi32ELi8ELi8ELi32ELc78ELc67EKPKaKPKiKPiEEvlllT_PT11_llSB_llS9_PT12_llPT13_lli.num_agpr, 0
	.set _ZN12_GLOBAL__N_127rocblas_gemm_batched_kernelIiLi16ELi16ELi32ELi32ELi8ELi32ELi8ELi8ELi32ELc78ELc67EKPKaKPKiKPiEEvlllT_PT11_llSB_llS9_PT12_llPT13_lli.numbered_sgpr, 38
	.set _ZN12_GLOBAL__N_127rocblas_gemm_batched_kernelIiLi16ELi16ELi32ELi32ELi8ELi32ELi8ELi8ELi32ELc78ELc67EKPKaKPKiKPiEEvlllT_PT11_llSB_llS9_PT12_llPT13_lli.num_named_barrier, 0
	.set _ZN12_GLOBAL__N_127rocblas_gemm_batched_kernelIiLi16ELi16ELi32ELi32ELi8ELi32ELi8ELi8ELi32ELc78ELc67EKPKaKPKiKPiEEvlllT_PT11_llSB_llS9_PT12_llPT13_lli.private_seg_size, 0
	.set _ZN12_GLOBAL__N_127rocblas_gemm_batched_kernelIiLi16ELi16ELi32ELi32ELi8ELi32ELi8ELi8ELi32ELc78ELc67EKPKaKPKiKPiEEvlllT_PT11_llSB_llS9_PT12_llPT13_lli.uses_vcc, 1
	.set _ZN12_GLOBAL__N_127rocblas_gemm_batched_kernelIiLi16ELi16ELi32ELi32ELi8ELi32ELi8ELi8ELi32ELc78ELc67EKPKaKPKiKPiEEvlllT_PT11_llSB_llS9_PT12_llPT13_lli.uses_flat_scratch, 0
	.set _ZN12_GLOBAL__N_127rocblas_gemm_batched_kernelIiLi16ELi16ELi32ELi32ELi8ELi32ELi8ELi8ELi32ELc78ELc67EKPKaKPKiKPiEEvlllT_PT11_llSB_llS9_PT12_llPT13_lli.has_dyn_sized_stack, 0
	.set _ZN12_GLOBAL__N_127rocblas_gemm_batched_kernelIiLi16ELi16ELi32ELi32ELi8ELi32ELi8ELi8ELi32ELc78ELc67EKPKaKPKiKPiEEvlllT_PT11_llSB_llS9_PT12_llPT13_lli.has_recursion, 0
	.set _ZN12_GLOBAL__N_127rocblas_gemm_batched_kernelIiLi16ELi16ELi32ELi32ELi8ELi32ELi8ELi8ELi32ELc78ELc67EKPKaKPKiKPiEEvlllT_PT11_llSB_llS9_PT12_llPT13_lli.has_indirect_call, 0
	.section	.AMDGPU.csdata,"",@progbits
; Kernel info:
; codeLenInByte = 1608
; TotalNumSgprs: 40
; NumVgprs: 47
; ScratchSize: 0
; MemoryBound: 0
; FloatMode: 240
; IeeeMode: 1
; LDSByteSize: 2048 bytes/workgroup (compile time only)
; SGPRBlocks: 0
; VGPRBlocks: 5
; NumSGPRsForWavesPerEU: 40
; NumVGPRsForWavesPerEU: 47
; Occupancy: 16
; WaveLimiterHint : 1
; COMPUTE_PGM_RSRC2:SCRATCH_EN: 0
; COMPUTE_PGM_RSRC2:USER_SGPR: 6
; COMPUTE_PGM_RSRC2:TRAP_HANDLER: 0
; COMPUTE_PGM_RSRC2:TGID_X_EN: 1
; COMPUTE_PGM_RSRC2:TGID_Y_EN: 1
; COMPUTE_PGM_RSRC2:TGID_Z_EN: 1
; COMPUTE_PGM_RSRC2:TIDIG_COMP_CNT: 1
	.section	.text._ZN12_GLOBAL__N_127rocblas_gemm_batched_kernelIiLi16ELi16ELi32ELi32ELi8ELi32ELi8ELi8ELi32ELc84ELc67EKPKaKPKiKPiEEvlllT_PT11_llSB_llS9_PT12_llPT13_lli,"axG",@progbits,_ZN12_GLOBAL__N_127rocblas_gemm_batched_kernelIiLi16ELi16ELi32ELi32ELi8ELi32ELi8ELi8ELi32ELc84ELc67EKPKaKPKiKPiEEvlllT_PT11_llSB_llS9_PT12_llPT13_lli,comdat
	.globl	_ZN12_GLOBAL__N_127rocblas_gemm_batched_kernelIiLi16ELi16ELi32ELi32ELi8ELi32ELi8ELi8ELi32ELc84ELc67EKPKaKPKiKPiEEvlllT_PT11_llSB_llS9_PT12_llPT13_lli ; -- Begin function _ZN12_GLOBAL__N_127rocblas_gemm_batched_kernelIiLi16ELi16ELi32ELi32ELi8ELi32ELi8ELi8ELi32ELc84ELc67EKPKaKPKiKPiEEvlllT_PT11_llSB_llS9_PT12_llPT13_lli
	.p2align	8
	.type	_ZN12_GLOBAL__N_127rocblas_gemm_batched_kernelIiLi16ELi16ELi32ELi32ELi8ELi32ELi8ELi8ELi32ELc84ELc67EKPKaKPKiKPiEEvlllT_PT11_llSB_llS9_PT12_llPT13_lli,@function
_ZN12_GLOBAL__N_127rocblas_gemm_batched_kernelIiLi16ELi16ELi32ELi32ELi8ELi32ELi8ELi8ELi32ELc84ELc67EKPKaKPKiKPiEEvlllT_PT11_llSB_llS9_PT12_llPT13_lli: ; @_ZN12_GLOBAL__N_127rocblas_gemm_batched_kernelIiLi16ELi16ELi32ELi32ELi8ELi32ELi8ELi8ELi32ELc84ELc67EKPKaKPKiKPiEEvlllT_PT11_llSB_llS9_PT12_llPT13_lli
; %bb.0:
	s_clause 0x1
	s_load_dwordx8 s[12:19], s[4:5], 0x58
	s_load_dwordx2 s[28:29], s[4:5], 0x10
	s_mov_b32 s9, 0
	s_mov_b32 s0, s7
	s_lshl_b64 s[34:35], s[8:9], 3
	s_load_dwordx4 s[8:11], s[4:5], 0x78
	v_mov_b32_e32 v6, 0
	v_mov_b32_e32 v8, 0
	;; [unrolled: 1-line block ×4, first 2 shown]
	s_waitcnt lgkmcnt(0)
	s_add_u32 s2, s12, s34
	s_addc_u32 s3, s13, s35
	s_add_u32 s18, s18, s34
	s_addc_u32 s19, s19, s35
	s_load_dwordx2 s[12:13], s[2:3], 0x0
	s_load_dwordx2 s[18:19], s[18:19], 0x0
	v_cmp_lt_i64_e64 s2, s[28:29], 1
	s_ashr_i32 s7, s6, 31
	s_ashr_i32 s1, s0, 31
	s_lshl_b64 s[6:7], s[6:7], 5
	s_lshl_b64 s[30:31], s[0:1], 5
	s_and_b32 vcc_lo, exec_lo, s2
	s_cbranch_vccnz .LBB212_3
; %bb.1:
	s_clause 0x1
	s_load_dwordx8 s[20:27], s[4:5], 0x20
	s_load_dwordx4 s[0:3], s[4:5], 0x40
	v_lshl_add_u32 v2, v1, 4, v0
	v_and_b32_e32 v8, 7, v0
	v_mov_b32_e32 v4, 0
	v_lshlrev_b32_e32 v5, 2, v0
	v_lshrrev_b32_e32 v3, 3, v2
	v_lshlrev_b32_e32 v7, 2, v8
	v_and_b32_e32 v6, 31, v2
	v_lshrrev_b32_e32 v10, 5, v2
	v_lshl_or_b32 v12, v3, 5, v7
	v_lshlrev_b32_e32 v11, 2, v6
	s_waitcnt lgkmcnt(0)
	s_add_u32 s20, s20, s34
	v_add_co_u32 v2, s2, s2, v3
	s_addc_u32 s21, s21, s35
	v_add_co_ci_u32_e64 v3, null, s3, 0, s2
	s_add_u32 s2, s26, s34
	s_addc_u32 s3, s27, s35
	v_add_co_u32 v9, s26, s6, v6
	v_add_co_ci_u32_e64 v13, null, s7, 0, s26
	s_load_dwordx2 s[26:27], s[2:3], 0x0
	s_load_dwordx2 s[20:21], s[20:21], 0x0
	v_add_co_u32 v6, s2, s24, v10
	v_mad_u64_u32 v[2:3], null, s0, v8, v[2:3]
	v_add_co_ci_u32_e64 v7, null, s25, 0, s2
	v_mul_lo_u32 v14, s22, v13
	v_mul_lo_u32 v15, s23, v9
	v_lshl_or_b32 v10, v10, 7, v11
	v_mad_u64_u32 v[6:7], null, s22, v9, v[6:7]
	v_add_nc_u32_e32 v11, 0x400, v12
	v_mad_u64_u32 v[12:13], null, s1, v8, v[3:4]
	s_lshl_b64 s[2:3], s[0:1], 3
	v_lshl_add_u32 v9, v1, 5, 0x400
	v_mov_b32_e32 v8, 0
	v_add3_u32 v7, v15, v7, v14
	s_waitcnt lgkmcnt(0)
	s_add_u32 s0, s26, s30
	s_addc_u32 s1, s27, s31
	v_add_co_u32 v2, vcc_lo, s0, v2
	v_add_co_ci_u32_e64 v3, null, s1, v12, vcc_lo
	v_add_co_u32 v12, vcc_lo, s20, v6
	v_add_co_ci_u32_e64 v13, null, s21, v7, vcc_lo
	v_mov_b32_e32 v7, 0
	v_mov_b32_e32 v6, 0
	s_mov_b64 s[20:21], 0
.LBB212_2:                              ; =>This Inner Loop Header: Depth=1
	v_add_co_u32 v14, vcc_lo, v12, s20
	v_add_co_ci_u32_e64 v15, null, s21, v13, vcc_lo
	s_add_u32 s20, s20, 8
	s_addc_u32 s21, s21, 0
	v_cmp_lt_i64_e64 s0, s[20:21], s[28:29]
	flat_load_sbyte v14, v[14:15]
	s_and_b32 vcc_lo, exec_lo, s0
	s_waitcnt vmcnt(0) lgkmcnt(0)
	ds_write_b32 v10, v14
	flat_load_sbyte v14, v[2:3]
	v_add_co_u32 v2, s0, v2, s2
	v_add_co_ci_u32_e64 v3, null, s3, v3, s0
	s_waitcnt vmcnt(0) lgkmcnt(0)
	ds_write_b32 v11, v14
	s_waitcnt lgkmcnt(0)
	s_barrier
	buffer_gl0_inv
	ds_read_b128 v[14:17], v9
	ds_read2_b32 v[30:31], v5 offset1:16
	ds_read_b128 v[18:21], v9 offset:512
	ds_read2_b32 v[32:33], v5 offset0:32 offset1:48
	ds_read2_b32 v[34:35], v5 offset0:64 offset1:80
	;; [unrolled: 1-line block ×3, first 2 shown]
	ds_read_b128 v[22:25], v9 offset:16
	ds_read2_b32 v[38:39], v5 offset0:128 offset1:144
	ds_read_b128 v[26:29], v9 offset:528
	ds_read2_b32 v[40:41], v5 offset0:160 offset1:176
	ds_read2_b32 v[42:43], v5 offset0:192 offset1:208
	;; [unrolled: 1-line block ×3, first 2 shown]
	s_waitcnt lgkmcnt(0)
	s_barrier
	buffer_gl0_inv
	v_mul_lo_u32 v46, v14, v30
	v_mul_lo_u32 v14, v14, v31
	;; [unrolled: 1-line block ×16, first 2 shown]
	v_add3_u32 v6, v6, v46, v31
	v_add3_u32 v8, v8, v14, v15
	;; [unrolled: 1-line block ×4, first 2 shown]
	v_mul_lo_u32 v37, v22, v38
	v_mul_lo_u32 v22, v22, v39
	;; [unrolled: 1-line block ×8, first 2 shown]
	v_add3_u32 v6, v6, v33, v35
	v_add3_u32 v8, v8, v16, v17
	;; [unrolled: 1-line block ×4, first 2 shown]
	v_mul_lo_u32 v41, v24, v42
	v_mul_lo_u32 v24, v24, v43
	;; [unrolled: 1-line block ×8, first 2 shown]
	v_add3_u32 v6, v6, v37, v39
	v_add3_u32 v8, v8, v22, v23
	;; [unrolled: 1-line block ×8, first 2 shown]
	s_cbranch_vccnz .LBB212_2
.LBB212_3:
	s_clause 0x1
	s_load_dword s1, s[4:5], 0x18
	s_load_dword s0, s[4:5], 0x50
	v_add_co_u32 v9, s2, s30, v1
	v_add_co_ci_u32_e64 v11, null, s31, 0, s2
	v_add_co_u32 v12, s2, s6, v0
	v_add_co_ci_u32_e64 v13, null, s7, 0, s2
	v_mul_lo_u32 v10, v11, s8
	s_lshl_b64 s[2:3], s[10:11], 2
	s_waitcnt lgkmcnt(0)
	v_mul_lo_u32 v3, v6, s1
	v_mul_lo_u32 v2, v8, s1
	;; [unrolled: 1-line block ×5, first 2 shown]
	v_lshlrev_b64 v[4:5], 2, v[12:13]
	s_add_u32 s1, s18, s2
	s_addc_u32 s2, s19, s3
	s_cmp_eq_u32 s0, 0
	s_mov_b32 s3, 0
	s_cbranch_scc1 .LBB212_7
; %bb.4:
	v_mul_lo_u32 v11, v11, s14
	v_mul_lo_u32 v12, v9, s15
	v_mad_u64_u32 v[7:8], null, v9, s14, 0
	s_lshl_b64 s[4:5], s[16:17], 2
	s_add_u32 s4, s12, s4
	s_addc_u32 s5, s13, s5
	v_add3_u32 v8, v8, v12, v11
	v_mad_u64_u32 v[11:12], null, v9, s8, 0
	v_lshlrev_b64 v[7:8], 2, v[7:8]
	v_add3_u32 v12, v12, v6, v10
	v_add_co_u32 v14, vcc_lo, s4, v7
	v_add_co_ci_u32_e64 v15, null, s5, v8, vcc_lo
	v_lshlrev_b64 v[11:12], 2, v[11:12]
	v_add_co_u32 v7, vcc_lo, v14, v4
	v_add_co_ci_u32_e64 v8, null, v15, v5, vcc_lo
	s_lshl_b64 s[4:5], s[14:15], 6
	v_add_co_u32 v16, vcc_lo, s1, v11
	flat_load_dword v13, v[7:8]
	v_add_co_ci_u32_e64 v17, null, s2, v12, vcc_lo
	s_waitcnt vmcnt(0) lgkmcnt(0)
	v_mad_u64_u32 v[11:12], null, v13, s0, v[3:4]
	v_add_co_u32 v12, vcc_lo, v16, v4
	v_add_co_ci_u32_e64 v13, null, v17, v5, vcc_lo
	flat_store_dword v[12:13], v11
	flat_load_dword v7, v[7:8] offset:64
	v_add_co_u32 v11, vcc_lo, v14, s4
	v_add_co_ci_u32_e64 v15, null, s5, v15, vcc_lo
	s_lshl_b64 s[4:5], s[8:9], 6
	v_add_co_u32 v14, vcc_lo, v11, v4
	v_add_co_ci_u32_e64 v15, null, v15, v5, vcc_lo
	v_add_co_u32 v11, vcc_lo, v16, s4
	s_waitcnt vmcnt(0) lgkmcnt(0)
	v_mad_u64_u32 v[7:8], null, v7, s0, v[2:3]
	flat_store_dword v[12:13], v7 offset:64
	flat_load_dword v7, v[14:15]
	v_add_co_ci_u32_e64 v12, null, s5, v17, vcc_lo
	v_add_co_u32 v11, vcc_lo, v11, v4
	v_add_co_ci_u32_e64 v12, null, v12, v5, vcc_lo
	s_waitcnt vmcnt(0) lgkmcnt(0)
	v_mad_u64_u32 v[7:8], null, v7, s0, v[1:2]
	flat_store_dword v[11:12], v7
	flat_load_dword v7, v[14:15] offset:64
	s_waitcnt vmcnt(0) lgkmcnt(0)
	v_mad_u64_u32 v[7:8], null, v7, s0, v[0:1]
	flat_store_dword v[11:12], v7 offset:64
	s_andn2_b32 vcc_lo, exec_lo, s3
	s_cbranch_vccnz .LBB212_6
.LBB212_5:
	v_mad_u64_u32 v[7:8], null, v9, s8, 0
	v_add3_u32 v8, v8, v6, v10
	v_lshlrev_b64 v[6:7], 2, v[7:8]
	v_add_co_u32 v6, vcc_lo, s1, v6
	v_add_co_ci_u32_e64 v7, null, s2, v7, vcc_lo
	s_lshl_b64 s[0:1], s[8:9], 6
	v_add_co_u32 v8, vcc_lo, v6, s0
	v_add_co_ci_u32_e64 v9, null, s1, v7, vcc_lo
	v_add_co_u32 v6, vcc_lo, v6, v4
	v_add_co_ci_u32_e64 v7, null, v7, v5, vcc_lo
	;; [unrolled: 2-line block ×3, first 2 shown]
	flat_store_dword v[6:7], v3
	flat_store_dword v[6:7], v2 offset:64
	flat_store_dword v[4:5], v1
	flat_store_dword v[4:5], v0 offset:64
.LBB212_6:
	s_endpgm
.LBB212_7:
	s_branch .LBB212_5
	.section	.rodata,"a",@progbits
	.p2align	6, 0x0
	.amdhsa_kernel _ZN12_GLOBAL__N_127rocblas_gemm_batched_kernelIiLi16ELi16ELi32ELi32ELi8ELi32ELi8ELi8ELi32ELc84ELc67EKPKaKPKiKPiEEvlllT_PT11_llSB_llS9_PT12_llPT13_lli
		.amdhsa_group_segment_fixed_size 2048
		.amdhsa_private_segment_fixed_size 0
		.amdhsa_kernarg_size 140
		.amdhsa_user_sgpr_count 6
		.amdhsa_user_sgpr_private_segment_buffer 1
		.amdhsa_user_sgpr_dispatch_ptr 0
		.amdhsa_user_sgpr_queue_ptr 0
		.amdhsa_user_sgpr_kernarg_segment_ptr 1
		.amdhsa_user_sgpr_dispatch_id 0
		.amdhsa_user_sgpr_flat_scratch_init 0
		.amdhsa_user_sgpr_private_segment_size 0
		.amdhsa_wavefront_size32 1
		.amdhsa_uses_dynamic_stack 0
		.amdhsa_system_sgpr_private_segment_wavefront_offset 0
		.amdhsa_system_sgpr_workgroup_id_x 1
		.amdhsa_system_sgpr_workgroup_id_y 1
		.amdhsa_system_sgpr_workgroup_id_z 1
		.amdhsa_system_sgpr_workgroup_info 0
		.amdhsa_system_vgpr_workitem_id 1
		.amdhsa_next_free_vgpr 47
		.amdhsa_next_free_sgpr 36
		.amdhsa_reserve_vcc 1
		.amdhsa_reserve_flat_scratch 0
		.amdhsa_float_round_mode_32 0
		.amdhsa_float_round_mode_16_64 0
		.amdhsa_float_denorm_mode_32 3
		.amdhsa_float_denorm_mode_16_64 3
		.amdhsa_dx10_clamp 1
		.amdhsa_ieee_mode 1
		.amdhsa_fp16_overflow 0
		.amdhsa_workgroup_processor_mode 1
		.amdhsa_memory_ordered 1
		.amdhsa_forward_progress 1
		.amdhsa_shared_vgpr_count 0
		.amdhsa_exception_fp_ieee_invalid_op 0
		.amdhsa_exception_fp_denorm_src 0
		.amdhsa_exception_fp_ieee_div_zero 0
		.amdhsa_exception_fp_ieee_overflow 0
		.amdhsa_exception_fp_ieee_underflow 0
		.amdhsa_exception_fp_ieee_inexact 0
		.amdhsa_exception_int_div_zero 0
	.end_amdhsa_kernel
	.section	.text._ZN12_GLOBAL__N_127rocblas_gemm_batched_kernelIiLi16ELi16ELi32ELi32ELi8ELi32ELi8ELi8ELi32ELc84ELc67EKPKaKPKiKPiEEvlllT_PT11_llSB_llS9_PT12_llPT13_lli,"axG",@progbits,_ZN12_GLOBAL__N_127rocblas_gemm_batched_kernelIiLi16ELi16ELi32ELi32ELi8ELi32ELi8ELi8ELi32ELc84ELc67EKPKaKPKiKPiEEvlllT_PT11_llSB_llS9_PT12_llPT13_lli,comdat
.Lfunc_end212:
	.size	_ZN12_GLOBAL__N_127rocblas_gemm_batched_kernelIiLi16ELi16ELi32ELi32ELi8ELi32ELi8ELi8ELi32ELc84ELc67EKPKaKPKiKPiEEvlllT_PT11_llSB_llS9_PT12_llPT13_lli, .Lfunc_end212-_ZN12_GLOBAL__N_127rocblas_gemm_batched_kernelIiLi16ELi16ELi32ELi32ELi8ELi32ELi8ELi8ELi32ELc84ELc67EKPKaKPKiKPiEEvlllT_PT11_llSB_llS9_PT12_llPT13_lli
                                        ; -- End function
	.set _ZN12_GLOBAL__N_127rocblas_gemm_batched_kernelIiLi16ELi16ELi32ELi32ELi8ELi32ELi8ELi8ELi32ELc84ELc67EKPKaKPKiKPiEEvlllT_PT11_llSB_llS9_PT12_llPT13_lli.num_vgpr, 47
	.set _ZN12_GLOBAL__N_127rocblas_gemm_batched_kernelIiLi16ELi16ELi32ELi32ELi8ELi32ELi8ELi8ELi32ELc84ELc67EKPKaKPKiKPiEEvlllT_PT11_llSB_llS9_PT12_llPT13_lli.num_agpr, 0
	.set _ZN12_GLOBAL__N_127rocblas_gemm_batched_kernelIiLi16ELi16ELi32ELi32ELi8ELi32ELi8ELi8ELi32ELc84ELc67EKPKaKPKiKPiEEvlllT_PT11_llSB_llS9_PT12_llPT13_lli.numbered_sgpr, 36
	.set _ZN12_GLOBAL__N_127rocblas_gemm_batched_kernelIiLi16ELi16ELi32ELi32ELi8ELi32ELi8ELi8ELi32ELc84ELc67EKPKaKPKiKPiEEvlllT_PT11_llSB_llS9_PT12_llPT13_lli.num_named_barrier, 0
	.set _ZN12_GLOBAL__N_127rocblas_gemm_batched_kernelIiLi16ELi16ELi32ELi32ELi8ELi32ELi8ELi8ELi32ELc84ELc67EKPKaKPKiKPiEEvlllT_PT11_llSB_llS9_PT12_llPT13_lli.private_seg_size, 0
	.set _ZN12_GLOBAL__N_127rocblas_gemm_batched_kernelIiLi16ELi16ELi32ELi32ELi8ELi32ELi8ELi8ELi32ELc84ELc67EKPKaKPKiKPiEEvlllT_PT11_llSB_llS9_PT12_llPT13_lli.uses_vcc, 1
	.set _ZN12_GLOBAL__N_127rocblas_gemm_batched_kernelIiLi16ELi16ELi32ELi32ELi8ELi32ELi8ELi8ELi32ELc84ELc67EKPKaKPKiKPiEEvlllT_PT11_llSB_llS9_PT12_llPT13_lli.uses_flat_scratch, 0
	.set _ZN12_GLOBAL__N_127rocblas_gemm_batched_kernelIiLi16ELi16ELi32ELi32ELi8ELi32ELi8ELi8ELi32ELc84ELc67EKPKaKPKiKPiEEvlllT_PT11_llSB_llS9_PT12_llPT13_lli.has_dyn_sized_stack, 0
	.set _ZN12_GLOBAL__N_127rocblas_gemm_batched_kernelIiLi16ELi16ELi32ELi32ELi8ELi32ELi8ELi8ELi32ELc84ELc67EKPKaKPKiKPiEEvlllT_PT11_llSB_llS9_PT12_llPT13_lli.has_recursion, 0
	.set _ZN12_GLOBAL__N_127rocblas_gemm_batched_kernelIiLi16ELi16ELi32ELi32ELi8ELi32ELi8ELi8ELi32ELc84ELc67EKPKaKPKiKPiEEvlllT_PT11_llSB_llS9_PT12_llPT13_lli.has_indirect_call, 0
	.section	.AMDGPU.csdata,"",@progbits
; Kernel info:
; codeLenInByte = 1624
; TotalNumSgprs: 38
; NumVgprs: 47
; ScratchSize: 0
; MemoryBound: 0
; FloatMode: 240
; IeeeMode: 1
; LDSByteSize: 2048 bytes/workgroup (compile time only)
; SGPRBlocks: 0
; VGPRBlocks: 5
; NumSGPRsForWavesPerEU: 38
; NumVGPRsForWavesPerEU: 47
; Occupancy: 16
; WaveLimiterHint : 1
; COMPUTE_PGM_RSRC2:SCRATCH_EN: 0
; COMPUTE_PGM_RSRC2:USER_SGPR: 6
; COMPUTE_PGM_RSRC2:TRAP_HANDLER: 0
; COMPUTE_PGM_RSRC2:TGID_X_EN: 1
; COMPUTE_PGM_RSRC2:TGID_Y_EN: 1
; COMPUTE_PGM_RSRC2:TGID_Z_EN: 1
; COMPUTE_PGM_RSRC2:TIDIG_COMP_CNT: 1
	.section	.text._ZN12_GLOBAL__N_135rocblas_gemm_batched_general_kernelIiLi16ELi16ELi32ELi32ELi8ELi32ELi8ELi8ELi32ELc78ELc78EKPKaKPKiKPiEEvlllT_PT11_llSB_llS9_PT12_llPT13_lli,"axG",@progbits,_ZN12_GLOBAL__N_135rocblas_gemm_batched_general_kernelIiLi16ELi16ELi32ELi32ELi8ELi32ELi8ELi8ELi32ELc78ELc78EKPKaKPKiKPiEEvlllT_PT11_llSB_llS9_PT12_llPT13_lli,comdat
	.globl	_ZN12_GLOBAL__N_135rocblas_gemm_batched_general_kernelIiLi16ELi16ELi32ELi32ELi8ELi32ELi8ELi8ELi32ELc78ELc78EKPKaKPKiKPiEEvlllT_PT11_llSB_llS9_PT12_llPT13_lli ; -- Begin function _ZN12_GLOBAL__N_135rocblas_gemm_batched_general_kernelIiLi16ELi16ELi32ELi32ELi8ELi32ELi8ELi8ELi32ELc78ELc78EKPKaKPKiKPiEEvlllT_PT11_llSB_llS9_PT12_llPT13_lli
	.p2align	8
	.type	_ZN12_GLOBAL__N_135rocblas_gemm_batched_general_kernelIiLi16ELi16ELi32ELi32ELi8ELi32ELi8ELi8ELi32ELc78ELc78EKPKaKPKiKPiEEvlllT_PT11_llSB_llS9_PT12_llPT13_lli,@function
_ZN12_GLOBAL__N_135rocblas_gemm_batched_general_kernelIiLi16ELi16ELi32ELi32ELi8ELi32ELi8ELi8ELi32ELc78ELc78EKPKaKPKiKPiEEvlllT_PT11_llSB_llS9_PT12_llPT13_lli: ; @_ZN12_GLOBAL__N_135rocblas_gemm_batched_general_kernelIiLi16ELi16ELi32ELi32ELi8ELi32ELi8ELi8ELi32ELc78ELc78EKPKaKPKiKPiEEvlllT_PT11_llSB_llS9_PT12_llPT13_lli
; %bb.0:
	s_clause 0x1
	s_load_dwordx8 s[12:19], s[4:5], 0x58
	s_load_dwordx2 s[34:35], s[4:5], 0x10
	s_mov_b32 s9, 0
	s_load_dwordx4 s[28:31], s[4:5], 0x0
	s_lshl_b64 s[38:39], s[8:9], 3
	s_load_dwordx4 s[8:11], s[4:5], 0x78
	s_mov_b32 s0, s7
	v_mov_b32_e32 v10, 0
	v_mov_b32_e32 v9, 0
	;; [unrolled: 1-line block ×4, first 2 shown]
	s_waitcnt lgkmcnt(0)
	s_add_u32 s2, s12, s38
	s_addc_u32 s3, s13, s39
	s_add_u32 s18, s18, s38
	s_addc_u32 s19, s19, s39
	s_load_dwordx2 s[12:13], s[2:3], 0x0
	s_load_dwordx2 s[18:19], s[18:19], 0x0
	v_cmp_lt_i64_e64 s2, s[34:35], 1
	s_ashr_i32 s7, s6, 31
	s_ashr_i32 s1, s0, 31
	s_lshl_b64 s[6:7], s[6:7], 5
	s_lshl_b64 s[36:37], s[0:1], 5
	s_and_b32 vcc_lo, exec_lo, s2
	s_cbranch_vccnz .LBB213_7
; %bb.1:
	s_clause 0x1
	s_load_dwordx8 s[20:27], s[4:5], 0x20
	s_load_dwordx4 s[0:3], s[4:5], 0x40
	v_lshl_add_u32 v2, v1, 4, v0
	v_mov_b32_e32 v3, s7
	v_and_b32_e32 v4, 7, v0
	v_mov_b32_e32 v7, 0
	v_lshlrev_b32_e32 v5, 2, v0
	v_lshrrev_b32_e32 v10, 3, v2
	v_lshrrev_b32_e32 v11, 5, v2
	v_and_b32_e32 v18, 31, v2
	v_lshlrev_b32_e32 v12, 2, v4
	v_lshl_add_u32 v6, v1, 5, 0x400
	v_add_co_u32 v8, s33, v10, s36
	v_add_co_ci_u32_e64 v9, null, 0, s37, s33
	v_or_b32_e32 v2, s6, v18
	v_lshlrev_b32_e32 v13, 2, v18
	v_lshl_or_b32 v10, v10, 5, v12
	s_waitcnt lgkmcnt(0)
	s_add_u32 s26, s26, s38
	s_addc_u32 s27, s27, s39
	s_add_u32 s20, s20, s38
	s_addc_u32 s21, s21, s39
	s_add_u32 s24, s6, s24
	s_addc_u32 s25, s7, s25
	v_mad_u64_u32 v[16:17], null, s0, v8, s[2:3]
	v_mad_u64_u32 v[14:15], null, s22, v11, s[24:25]
	s_load_dwordx2 s[2:3], s[26:27], 0x0
	s_load_dwordx2 s[20:21], s[20:21], 0x0
	v_mul_lo_u32 v19, s0, v9
	v_mul_lo_u32 v20, s1, v8
	v_cmp_gt_i64_e64 s0, s[28:29], v[2:3]
	v_cmp_gt_i64_e64 s1, s[30:31], v[8:9]
	v_mov_b32_e32 v2, v15
	v_lshl_or_b32 v12, v11, 7, v13
	v_add_nc_u32_e32 v13, 0x400, v10
	v_add3_u32 v8, v20, v17, v19
	v_mad_u64_u32 v[2:3], null, s23, v11, v[2:3]
	v_add_co_u32 v3, vcc_lo, v16, v4
	v_add_co_ci_u32_e64 v8, null, 0, v8, vcc_lo
	v_add_co_u32 v9, vcc_lo, v14, v18
	v_add_co_ci_u32_e64 v10, null, 0, v2, vcc_lo
	s_waitcnt lgkmcnt(0)
	v_add_co_u32 v14, vcc_lo, s2, v3
	v_add_co_ci_u32_e64 v15, null, s3, v8, vcc_lo
	v_add_co_u32 v2, vcc_lo, s20, v9
	v_add_co_ci_u32_e64 v3, null, s21, v10, vcc_lo
	v_mov_b32_e32 v8, 0
	v_mov_b32_e32 v9, 0
	v_mov_b32_e32 v10, 0
	s_lshl_b64 s[2:3], s[22:23], 3
	s_mov_b64 s[20:21], 0
	s_branch .LBB213_3
.LBB213_2:                              ;   in Loop: Header=BB213_3 Depth=1
	s_or_b32 exec_lo, exec_lo, s22
	s_waitcnt vmcnt(0) lgkmcnt(0)
	ds_write_b32 v13, v17
	s_waitcnt lgkmcnt(0)
	s_barrier
	buffer_gl0_inv
	ds_read_b128 v[16:19], v6
	ds_read2_b32 v[32:33], v5 offset1:16
	ds_read_b128 v[20:23], v6 offset:512
	ds_read2_b32 v[34:35], v5 offset0:32 offset1:48
	ds_read2_b32 v[36:37], v5 offset0:64 offset1:80
	;; [unrolled: 1-line block ×3, first 2 shown]
	ds_read_b128 v[24:27], v6 offset:16
	ds_read2_b32 v[40:41], v5 offset0:128 offset1:144
	ds_read_b128 v[28:31], v6 offset:528
	ds_read2_b32 v[42:43], v5 offset0:160 offset1:176
	s_add_u32 s20, s20, 8
	s_addc_u32 s21, s21, 0
	v_add_co_u32 v2, vcc_lo, v2, s2
	v_cmp_lt_i64_e64 s22, s[20:21], s[34:35]
	v_add_co_ci_u32_e64 v3, null, s3, v3, vcc_lo
	s_and_b32 vcc_lo, exec_lo, s22
	s_waitcnt lgkmcnt(8)
	v_mul_lo_u32 v44, v16, v32
	v_mul_lo_u32 v16, v16, v33
	s_waitcnt lgkmcnt(7)
	v_mul_lo_u32 v32, v20, v32
	v_mul_lo_u32 v20, v20, v33
	;; [unrolled: 3-line block ×3, first 2 shown]
	v_mul_lo_u32 v34, v21, v34
	v_mul_lo_u32 v21, v21, v35
	s_waitcnt lgkmcnt(5)
	v_mul_lo_u32 v35, v18, v36
	v_mul_lo_u32 v18, v18, v37
	;; [unrolled: 1-line block ×4, first 2 shown]
	v_add3_u32 v33, v10, v44, v33
	v_add3_u32 v44, v9, v16, v17
	ds_read2_b32 v[9:10], v5 offset0:192 offset1:208
	ds_read2_b32 v[16:17], v5 offset0:224 offset1:240
	s_waitcnt lgkmcnt(6)
	v_mul_lo_u32 v37, v19, v38
	v_mul_lo_u32 v19, v19, v39
	;; [unrolled: 1-line block ×4, first 2 shown]
	v_add3_u32 v7, v7, v20, v21
	s_waitcnt lgkmcnt(4)
	v_mul_lo_u32 v20, v24, v40
	s_waitcnt lgkmcnt(2)
	v_mul_lo_u32 v21, v25, v42
	v_add3_u32 v8, v8, v32, v34
	v_add3_u32 v32, v33, v35, v37
	;; [unrolled: 1-line block ×3, first 2 shown]
	v_mul_lo_u32 v19, v24, v41
	v_add3_u32 v7, v7, v22, v23
	v_mul_lo_u32 v22, v28, v40
	v_mul_lo_u32 v23, v28, v41
	v_add3_u32 v20, v32, v20, v21
	v_mul_lo_u32 v21, v25, v43
	v_mul_lo_u32 v24, v29, v42
	;; [unrolled: 1-line block ×3, first 2 shown]
	v_add3_u32 v8, v8, v36, v38
	s_waitcnt lgkmcnt(1)
	v_mul_lo_u32 v28, v26, v9
	v_mul_lo_u32 v26, v26, v10
	v_mul_lo_u32 v29, v30, v9
	v_mul_lo_u32 v30, v30, v10
	s_waitcnt lgkmcnt(0)
	v_mul_lo_u32 v9, v27, v16
	v_mul_lo_u32 v27, v27, v17
	;; [unrolled: 1-line block ×4, first 2 shown]
	v_add3_u32 v18, v18, v19, v21
	v_add3_u32 v8, v8, v22, v24
	;; [unrolled: 1-line block ×7, first 2 shown]
	s_barrier
	buffer_gl0_inv
	s_cbranch_vccz .LBB213_7
.LBB213_3:                              ; =>This Inner Loop Header: Depth=1
	v_add_co_u32 v16, s22, v11, s20
	v_add_co_ci_u32_e64 v17, null, 0, s21, s22
	v_cmp_gt_i64_e32 vcc_lo, s[34:35], v[16:17]
	v_mov_b32_e32 v16, 0
	s_and_b32 s23, s0, vcc_lo
	s_and_saveexec_b32 s22, s23
	s_cbranch_execz .LBB213_5
; %bb.4:                                ;   in Loop: Header=BB213_3 Depth=1
	flat_load_sbyte v16, v[2:3]
.LBB213_5:                              ;   in Loop: Header=BB213_3 Depth=1
	s_or_b32 exec_lo, exec_lo, s22
	v_add_co_u32 v17, s22, v4, s20
	v_add_co_ci_u32_e64 v18, null, 0, s21, s22
	s_waitcnt vmcnt(0) lgkmcnt(0)
	ds_write_b32 v12, v16
	v_cmp_gt_i64_e32 vcc_lo, s[34:35], v[17:18]
	v_mov_b32_e32 v17, 0
	s_and_b32 s23, vcc_lo, s1
	s_and_saveexec_b32 s22, s23
	s_cbranch_execz .LBB213_2
; %bb.6:                                ;   in Loop: Header=BB213_3 Depth=1
	v_add_co_u32 v16, vcc_lo, v14, s20
	v_add_co_ci_u32_e64 v17, null, s21, v15, vcc_lo
	flat_load_sbyte v17, v[16:17]
	s_branch .LBB213_2
.LBB213_7:
	s_clause 0x1
	s_load_dword s20, s[4:5], 0x50
	s_load_dword s3, s[4:5], 0x18
	v_add_co_u32 v1, s0, s36, v1
	v_add_co_ci_u32_e64 v2, null, s37, 0, s0
	s_lshl_b64 s[4:5], s[10:11], 2
	s_waitcnt lgkmcnt(0)
	s_add_u32 s4, s18, s4
	v_cmp_gt_i64_e64 s0, s[30:31], v[1:2]
	s_addc_u32 s5, s19, s5
	s_cmp_eq_u32 s20, 0
	s_cbranch_scc1 .LBB213_20
; %bb.8:
	s_and_saveexec_b32 s10, s0
	s_cbranch_execz .LBB213_18
; %bb.9:
	v_mul_lo_u32 v5, v2, s14
	v_mul_lo_u32 v6, v1, s15
	v_mad_u64_u32 v[3:4], null, v1, s14, 0
	v_mul_lo_u32 v13, v2, s8
	v_mul_lo_u32 v14, v1, s9
	v_mad_u64_u32 v[11:12], null, v1, s8, 0
	s_lshl_b64 s[16:17], s[16:17], 2
	v_add3_u32 v4, v4, v6, v5
	v_add_co_u32 v5, s1, s6, v0
	v_add_co_ci_u32_e64 v6, null, s7, 0, s1
	v_add3_u32 v12, v12, v14, v13
	v_lshlrev_b64 v[3:4], 2, v[3:4]
	s_add_u32 s1, s12, s16
	s_addc_u32 s2, s13, s17
	v_cmp_gt_i64_e32 vcc_lo, s[28:29], v[5:6]
	v_lshlrev_b64 v[13:14], 2, v[11:12]
	v_add_co_u32 v11, s1, s1, v3
	v_add_co_ci_u32_e64 v12, null, s2, v4, s1
	v_add_co_u32 v13, s1, s4, v13
	v_lshlrev_b64 v[3:4], 2, v[5:6]
	v_add_co_ci_u32_e64 v14, null, s5, v14, s1
	s_and_saveexec_b32 s2, vcc_lo
	s_cbranch_execz .LBB213_11
; %bb.10:
	v_add_co_u32 v15, s1, v11, v3
	v_add_co_ci_u32_e64 v16, null, v12, v4, s1
	flat_load_dword v16, v[15:16]
	v_mul_lo_u32 v15, v10, s3
	s_waitcnt vmcnt(0) lgkmcnt(0)
	v_mad_u64_u32 v[15:16], null, v16, s20, v[15:16]
	v_add_co_u32 v16, s1, v13, v3
	v_add_co_ci_u32_e64 v17, null, v14, v4, s1
	flat_store_dword v[16:17], v15
.LBB213_11:
	s_or_b32 exec_lo, exec_lo, s2
	v_add_co_u32 v5, s1, v5, 16
	v_add_co_ci_u32_e64 v6, null, 0, v6, s1
	v_cmp_gt_i64_e64 s1, s[28:29], v[5:6]
	s_and_saveexec_b32 s11, s1
	s_cbranch_execz .LBB213_13
; %bb.12:
	v_add_co_u32 v5, s2, v11, v3
	v_add_co_ci_u32_e64 v6, null, v12, v4, s2
	v_add_co_u32 v15, s2, v13, v3
	v_add_co_ci_u32_e64 v16, null, v14, v4, s2
	flat_load_dword v6, v[5:6] offset:64
	v_mul_lo_u32 v5, v9, s3
	s_waitcnt vmcnt(0) lgkmcnt(0)
	v_mad_u64_u32 v[5:6], null, v6, s20, v[5:6]
	flat_store_dword v[15:16], v5 offset:64
.LBB213_13:
	s_or_b32 exec_lo, exec_lo, s11
	v_add_co_u32 v5, s2, v1, 16
	v_add_co_ci_u32_e64 v6, null, 0, v2, s2
	v_cmp_gt_i64_e64 s2, s[30:31], v[5:6]
	s_and_b32 exec_lo, exec_lo, s2
	s_cbranch_execz .LBB213_18
; %bb.14:
	s_lshl_b64 s[12:13], s[14:15], 6
	v_add_co_u32 v5, s2, v11, s12
	v_add_co_ci_u32_e64 v6, null, s13, v12, s2
	s_lshl_b64 s[12:13], s[8:9], 6
	v_add_co_u32 v11, s2, v13, s12
	v_add_co_ci_u32_e64 v12, null, s13, v14, s2
	v_add_co_u32 v5, s2, v5, v3
	v_add_co_ci_u32_e64 v6, null, v6, v4, s2
	;; [unrolled: 2-line block ×3, first 2 shown]
	s_and_saveexec_b32 s2, vcc_lo
	s_cbranch_execz .LBB213_16
; %bb.15:
	flat_load_dword v12, v[5:6]
	v_mul_lo_u32 v11, v8, s3
	s_waitcnt vmcnt(0) lgkmcnt(0)
	v_mad_u64_u32 v[11:12], null, v12, s20, v[11:12]
	flat_store_dword v[3:4], v11
.LBB213_16:
	s_or_b32 exec_lo, exec_lo, s2
	s_and_b32 exec_lo, exec_lo, s1
	s_cbranch_execz .LBB213_18
; %bb.17:
	flat_load_dword v6, v[5:6] offset:64
	v_mul_lo_u32 v5, v7, s3
	s_waitcnt vmcnt(0) lgkmcnt(0)
	v_mad_u64_u32 v[5:6], null, v6, s20, v[5:6]
	flat_store_dword v[3:4], v5 offset:64
.LBB213_18:
	s_or_b32 exec_lo, exec_lo, s10
	s_cbranch_execz .LBB213_21
.LBB213_19:
	s_endpgm
.LBB213_20:
.LBB213_21:
	s_and_saveexec_b32 s1, s0
	s_cbranch_execz .LBB213_19
; %bb.22:
	v_mul_lo_u32 v5, v2, s8
	v_mul_lo_u32 v6, v1, s9
	v_mad_u64_u32 v[3:4], null, v1, s8, 0
	v_add3_u32 v4, v4, v6, v5
	v_add_co_u32 v5, s0, s6, v0
	v_add_co_ci_u32_e64 v6, null, s7, 0, s0
	v_lshlrev_b64 v[11:12], 2, v[3:4]
	v_cmp_gt_i64_e32 vcc_lo, s[28:29], v[5:6]
	v_lshlrev_b64 v[3:4], 2, v[5:6]
	v_add_co_u32 v0, s0, s4, v11
	v_add_co_ci_u32_e64 v11, null, s5, v12, s0
	s_and_saveexec_b32 s1, vcc_lo
	s_cbranch_execz .LBB213_24
; %bb.23:
	v_mul_lo_u32 v10, v10, s3
	v_add_co_u32 v12, s0, v0, v3
	v_add_co_ci_u32_e64 v13, null, v11, v4, s0
	flat_store_dword v[12:13], v10
.LBB213_24:
	s_or_b32 exec_lo, exec_lo, s1
	v_add_co_u32 v5, s0, v5, 16
	v_add_co_ci_u32_e64 v6, null, 0, v6, s0
	v_cmp_gt_i64_e64 s0, s[28:29], v[5:6]
	s_and_saveexec_b32 s2, s0
	s_cbranch_execz .LBB213_26
; %bb.25:
	v_mul_lo_u32 v9, v9, s3
	v_add_co_u32 v5, s1, v0, v3
	v_add_co_ci_u32_e64 v6, null, v11, v4, s1
	flat_store_dword v[5:6], v9 offset:64
.LBB213_26:
	s_or_b32 exec_lo, exec_lo, s2
	v_add_co_u32 v1, s1, v1, 16
	v_add_co_ci_u32_e64 v2, null, 0, v2, s1
	v_cmp_gt_i64_e64 s1, s[30:31], v[1:2]
	s_and_b32 exec_lo, exec_lo, s1
	s_cbranch_execz .LBB213_19
; %bb.27:
	s_lshl_b64 s[4:5], s[8:9], 6
	v_add_co_u32 v0, s1, v0, s4
	v_add_co_ci_u32_e64 v1, null, s5, v11, s1
	v_add_co_u32 v0, s1, v0, v3
	v_add_co_ci_u32_e64 v1, null, v1, v4, s1
	s_and_saveexec_b32 s1, vcc_lo
	s_cbranch_execz .LBB213_29
; %bb.28:
	v_mul_lo_u32 v2, v8, s3
	flat_store_dword v[0:1], v2
.LBB213_29:
	s_or_b32 exec_lo, exec_lo, s1
	s_and_b32 exec_lo, exec_lo, s0
	s_cbranch_execz .LBB213_19
; %bb.30:
	v_mul_lo_u32 v2, v7, s3
	flat_store_dword v[0:1], v2 offset:64
	s_endpgm
	.section	.rodata,"a",@progbits
	.p2align	6, 0x0
	.amdhsa_kernel _ZN12_GLOBAL__N_135rocblas_gemm_batched_general_kernelIiLi16ELi16ELi32ELi32ELi8ELi32ELi8ELi8ELi32ELc78ELc78EKPKaKPKiKPiEEvlllT_PT11_llSB_llS9_PT12_llPT13_lli
		.amdhsa_group_segment_fixed_size 2048
		.amdhsa_private_segment_fixed_size 0
		.amdhsa_kernarg_size 140
		.amdhsa_user_sgpr_count 6
		.amdhsa_user_sgpr_private_segment_buffer 1
		.amdhsa_user_sgpr_dispatch_ptr 0
		.amdhsa_user_sgpr_queue_ptr 0
		.amdhsa_user_sgpr_kernarg_segment_ptr 1
		.amdhsa_user_sgpr_dispatch_id 0
		.amdhsa_user_sgpr_flat_scratch_init 0
		.amdhsa_user_sgpr_private_segment_size 0
		.amdhsa_wavefront_size32 1
		.amdhsa_uses_dynamic_stack 0
		.amdhsa_system_sgpr_private_segment_wavefront_offset 0
		.amdhsa_system_sgpr_workgroup_id_x 1
		.amdhsa_system_sgpr_workgroup_id_y 1
		.amdhsa_system_sgpr_workgroup_id_z 1
		.amdhsa_system_sgpr_workgroup_info 0
		.amdhsa_system_vgpr_workitem_id 1
		.amdhsa_next_free_vgpr 45
		.amdhsa_next_free_sgpr 40
		.amdhsa_reserve_vcc 1
		.amdhsa_reserve_flat_scratch 0
		.amdhsa_float_round_mode_32 0
		.amdhsa_float_round_mode_16_64 0
		.amdhsa_float_denorm_mode_32 3
		.amdhsa_float_denorm_mode_16_64 3
		.amdhsa_dx10_clamp 1
		.amdhsa_ieee_mode 1
		.amdhsa_fp16_overflow 0
		.amdhsa_workgroup_processor_mode 1
		.amdhsa_memory_ordered 1
		.amdhsa_forward_progress 1
		.amdhsa_shared_vgpr_count 0
		.amdhsa_exception_fp_ieee_invalid_op 0
		.amdhsa_exception_fp_denorm_src 0
		.amdhsa_exception_fp_ieee_div_zero 0
		.amdhsa_exception_fp_ieee_overflow 0
		.amdhsa_exception_fp_ieee_underflow 0
		.amdhsa_exception_fp_ieee_inexact 0
		.amdhsa_exception_int_div_zero 0
	.end_amdhsa_kernel
	.section	.text._ZN12_GLOBAL__N_135rocblas_gemm_batched_general_kernelIiLi16ELi16ELi32ELi32ELi8ELi32ELi8ELi8ELi32ELc78ELc78EKPKaKPKiKPiEEvlllT_PT11_llSB_llS9_PT12_llPT13_lli,"axG",@progbits,_ZN12_GLOBAL__N_135rocblas_gemm_batched_general_kernelIiLi16ELi16ELi32ELi32ELi8ELi32ELi8ELi8ELi32ELc78ELc78EKPKaKPKiKPiEEvlllT_PT11_llSB_llS9_PT12_llPT13_lli,comdat
.Lfunc_end213:
	.size	_ZN12_GLOBAL__N_135rocblas_gemm_batched_general_kernelIiLi16ELi16ELi32ELi32ELi8ELi32ELi8ELi8ELi32ELc78ELc78EKPKaKPKiKPiEEvlllT_PT11_llSB_llS9_PT12_llPT13_lli, .Lfunc_end213-_ZN12_GLOBAL__N_135rocblas_gemm_batched_general_kernelIiLi16ELi16ELi32ELi32ELi8ELi32ELi8ELi8ELi32ELc78ELc78EKPKaKPKiKPiEEvlllT_PT11_llSB_llS9_PT12_llPT13_lli
                                        ; -- End function
	.set _ZN12_GLOBAL__N_135rocblas_gemm_batched_general_kernelIiLi16ELi16ELi32ELi32ELi8ELi32ELi8ELi8ELi32ELc78ELc78EKPKaKPKiKPiEEvlllT_PT11_llSB_llS9_PT12_llPT13_lli.num_vgpr, 45
	.set _ZN12_GLOBAL__N_135rocblas_gemm_batched_general_kernelIiLi16ELi16ELi32ELi32ELi8ELi32ELi8ELi8ELi32ELc78ELc78EKPKaKPKiKPiEEvlllT_PT11_llSB_llS9_PT12_llPT13_lli.num_agpr, 0
	.set _ZN12_GLOBAL__N_135rocblas_gemm_batched_general_kernelIiLi16ELi16ELi32ELi32ELi8ELi32ELi8ELi8ELi32ELc78ELc78EKPKaKPKiKPiEEvlllT_PT11_llSB_llS9_PT12_llPT13_lli.numbered_sgpr, 40
	.set _ZN12_GLOBAL__N_135rocblas_gemm_batched_general_kernelIiLi16ELi16ELi32ELi32ELi8ELi32ELi8ELi8ELi32ELc78ELc78EKPKaKPKiKPiEEvlllT_PT11_llSB_llS9_PT12_llPT13_lli.num_named_barrier, 0
	.set _ZN12_GLOBAL__N_135rocblas_gemm_batched_general_kernelIiLi16ELi16ELi32ELi32ELi8ELi32ELi8ELi8ELi32ELc78ELc78EKPKaKPKiKPiEEvlllT_PT11_llSB_llS9_PT12_llPT13_lli.private_seg_size, 0
	.set _ZN12_GLOBAL__N_135rocblas_gemm_batched_general_kernelIiLi16ELi16ELi32ELi32ELi8ELi32ELi8ELi8ELi32ELc78ELc78EKPKaKPKiKPiEEvlllT_PT11_llSB_llS9_PT12_llPT13_lli.uses_vcc, 1
	.set _ZN12_GLOBAL__N_135rocblas_gemm_batched_general_kernelIiLi16ELi16ELi32ELi32ELi8ELi32ELi8ELi8ELi32ELc78ELc78EKPKaKPKiKPiEEvlllT_PT11_llSB_llS9_PT12_llPT13_lli.uses_flat_scratch, 0
	.set _ZN12_GLOBAL__N_135rocblas_gemm_batched_general_kernelIiLi16ELi16ELi32ELi32ELi8ELi32ELi8ELi8ELi32ELc78ELc78EKPKaKPKiKPiEEvlllT_PT11_llSB_llS9_PT12_llPT13_lli.has_dyn_sized_stack, 0
	.set _ZN12_GLOBAL__N_135rocblas_gemm_batched_general_kernelIiLi16ELi16ELi32ELi32ELi8ELi32ELi8ELi8ELi32ELc78ELc78EKPKaKPKiKPiEEvlllT_PT11_llSB_llS9_PT12_llPT13_lli.has_recursion, 0
	.set _ZN12_GLOBAL__N_135rocblas_gemm_batched_general_kernelIiLi16ELi16ELi32ELi32ELi8ELi32ELi8ELi8ELi32ELc78ELc78EKPKaKPKiKPiEEvlllT_PT11_llSB_llS9_PT12_llPT13_lli.has_indirect_call, 0
	.section	.AMDGPU.csdata,"",@progbits
; Kernel info:
; codeLenInByte = 2128
; TotalNumSgprs: 42
; NumVgprs: 45
; ScratchSize: 0
; MemoryBound: 0
; FloatMode: 240
; IeeeMode: 1
; LDSByteSize: 2048 bytes/workgroup (compile time only)
; SGPRBlocks: 0
; VGPRBlocks: 5
; NumSGPRsForWavesPerEU: 42
; NumVGPRsForWavesPerEU: 45
; Occupancy: 16
; WaveLimiterHint : 1
; COMPUTE_PGM_RSRC2:SCRATCH_EN: 0
; COMPUTE_PGM_RSRC2:USER_SGPR: 6
; COMPUTE_PGM_RSRC2:TRAP_HANDLER: 0
; COMPUTE_PGM_RSRC2:TGID_X_EN: 1
; COMPUTE_PGM_RSRC2:TGID_Y_EN: 1
; COMPUTE_PGM_RSRC2:TGID_Z_EN: 1
; COMPUTE_PGM_RSRC2:TIDIG_COMP_CNT: 1
	.section	.text._ZN12_GLOBAL__N_135rocblas_gemm_batched_general_kernelIiLi16ELi16ELi32ELi32ELi8ELi32ELi8ELi8ELi32ELc84ELc78EKPKaKPKiKPiEEvlllT_PT11_llSB_llS9_PT12_llPT13_lli,"axG",@progbits,_ZN12_GLOBAL__N_135rocblas_gemm_batched_general_kernelIiLi16ELi16ELi32ELi32ELi8ELi32ELi8ELi8ELi32ELc84ELc78EKPKaKPKiKPiEEvlllT_PT11_llSB_llS9_PT12_llPT13_lli,comdat
	.globl	_ZN12_GLOBAL__N_135rocblas_gemm_batched_general_kernelIiLi16ELi16ELi32ELi32ELi8ELi32ELi8ELi8ELi32ELc84ELc78EKPKaKPKiKPiEEvlllT_PT11_llSB_llS9_PT12_llPT13_lli ; -- Begin function _ZN12_GLOBAL__N_135rocblas_gemm_batched_general_kernelIiLi16ELi16ELi32ELi32ELi8ELi32ELi8ELi8ELi32ELc84ELc78EKPKaKPKiKPiEEvlllT_PT11_llSB_llS9_PT12_llPT13_lli
	.p2align	8
	.type	_ZN12_GLOBAL__N_135rocblas_gemm_batched_general_kernelIiLi16ELi16ELi32ELi32ELi8ELi32ELi8ELi8ELi32ELc84ELc78EKPKaKPKiKPiEEvlllT_PT11_llSB_llS9_PT12_llPT13_lli,@function
_ZN12_GLOBAL__N_135rocblas_gemm_batched_general_kernelIiLi16ELi16ELi32ELi32ELi8ELi32ELi8ELi8ELi32ELc84ELc78EKPKaKPKiKPiEEvlllT_PT11_llSB_llS9_PT12_llPT13_lli: ; @_ZN12_GLOBAL__N_135rocblas_gemm_batched_general_kernelIiLi16ELi16ELi32ELi32ELi8ELi32ELi8ELi8ELi32ELc84ELc78EKPKaKPKiKPiEEvlllT_PT11_llSB_llS9_PT12_llPT13_lli
; %bb.0:
	s_clause 0x1
	s_load_dwordx8 s[12:19], s[4:5], 0x58
	s_load_dwordx2 s[34:35], s[4:5], 0x10
	s_mov_b32 s9, 0
	s_load_dwordx4 s[28:31], s[4:5], 0x0
	s_lshl_b64 s[40:41], s[8:9], 3
	s_load_dwordx4 s[8:11], s[4:5], 0x78
	s_mov_b32 s0, s7
	v_mov_b32_e32 v10, 0
	v_mov_b32_e32 v9, 0
	;; [unrolled: 1-line block ×4, first 2 shown]
	s_waitcnt lgkmcnt(0)
	s_add_u32 s2, s12, s40
	s_addc_u32 s3, s13, s41
	s_add_u32 s12, s18, s40
	s_addc_u32 s13, s19, s41
	s_load_dwordx2 s[2:3], s[2:3], 0x0
	s_load_dwordx2 s[12:13], s[12:13], 0x0
	v_cmp_lt_i64_e64 s18, s[34:35], 1
	s_ashr_i32 s7, s6, 31
	s_ashr_i32 s1, s0, 31
	s_lshl_b64 s[6:7], s[6:7], 5
	s_and_b32 vcc_lo, exec_lo, s18
	s_lshl_b64 s[18:19], s[0:1], 5
	s_cbranch_vccnz .LBB214_7
; %bb.1:
	s_clause 0x1
	s_load_dwordx8 s[20:27], s[4:5], 0x20
	s_load_dwordx4 s[36:39], s[4:5], 0x40
	v_lshl_add_u32 v4, v1, 4, v0
	v_and_b32_e32 v2, 7, v0
	v_mov_b32_e32 v5, s7
	v_mov_b32_e32 v7, 0
	v_and_b32_e32 v6, 31, v4
	v_lshrrev_b32_e32 v10, 3, v4
	v_lshrrev_b32_e32 v3, 5, v4
	v_lshlrev_b32_e32 v11, 2, v2
	v_or_b32_e32 v4, s6, v6
	v_lshlrev_b32_e32 v12, 2, v6
	v_add_co_u32 v8, s0, v10, s18
	v_add_co_ci_u32_e64 v9, null, 0, s19, s0
	v_cmp_gt_i64_e64 s0, s[28:29], v[4:5]
	v_lshl_or_b32 v4, v3, 7, v12
	s_waitcnt lgkmcnt(0)
	s_add_u32 s26, s26, s40
	s_addc_u32 s27, s27, s41
	s_add_u32 s20, s20, s40
	s_addc_u32 s21, s21, s41
	s_load_dwordx2 s[26:27], s[26:27], 0x0
	s_load_dwordx2 s[20:21], s[20:21], 0x0
	v_add_co_u32 v12, s1, s24, v3
	v_lshl_or_b32 v14, v10, 5, v11
	v_mul_lo_u32 v15, s36, v9
	v_mul_lo_u32 v16, s37, v8
	v_mad_u64_u32 v[10:11], null, s36, v8, s[38:39]
	v_add_co_ci_u32_e64 v13, null, s25, 0, s1
	v_add_co_u32 v6, s1, s6, v6
	v_add_co_ci_u32_e64 v17, null, s7, 0, s1
	v_cmp_gt_i64_e64 s1, s[30:31], v[8:9]
	v_mad_u64_u32 v[8:9], null, s22, v6, v[12:13]
	v_mul_lo_u32 v12, s22, v17
	v_mul_lo_u32 v13, s23, v6
	v_add_nc_u32_e32 v5, 0x400, v14
	v_add3_u32 v14, v16, v11, v15
	v_add_co_u32 v10, vcc_lo, v10, v2
	v_lshlrev_b32_e32 v6, 2, v0
	v_lshl_add_u32 v11, v1, 5, 0x400
	v_add_co_ci_u32_e64 v14, null, 0, v14, vcc_lo
	v_add3_u32 v9, v13, v9, v12
	s_waitcnt lgkmcnt(0)
	v_add_co_u32 v12, vcc_lo, s26, v10
	v_add_co_ci_u32_e64 v13, null, s27, v14, vcc_lo
	v_add_co_u32 v14, vcc_lo, s20, v8
	v_add_co_ci_u32_e64 v15, null, s21, v9, vcc_lo
	v_mov_b32_e32 v8, 0
	v_mov_b32_e32 v9, 0
	;; [unrolled: 1-line block ×3, first 2 shown]
	s_mov_b64 s[20:21], 0
	s_branch .LBB214_3
.LBB214_2:                              ;   in Loop: Header=BB214_3 Depth=1
	s_or_b32 exec_lo, exec_lo, s22
	s_waitcnt vmcnt(0) lgkmcnt(0)
	ds_write_b32 v5, v17
	s_waitcnt lgkmcnt(0)
	s_barrier
	buffer_gl0_inv
	ds_read_b128 v[16:19], v11
	ds_read2_b32 v[32:33], v6 offset1:16
	ds_read_b128 v[20:23], v11 offset:512
	ds_read2_b32 v[34:35], v6 offset0:32 offset1:48
	ds_read2_b32 v[36:37], v6 offset0:64 offset1:80
	ds_read_b128 v[24:27], v11 offset:16
	ds_read2_b32 v[38:39], v6 offset0:96 offset1:112
	ds_read2_b32 v[40:41], v6 offset0:128 offset1:144
	ds_read_b128 v[28:31], v11 offset:528
	ds_read2_b32 v[42:43], v6 offset0:160 offset1:176
	s_add_u32 s20, s20, 8
	s_addc_u32 s21, s21, 0
	v_cmp_lt_i64_e64 s22, s[20:21], s[34:35]
	s_and_b32 vcc_lo, exec_lo, s22
	s_waitcnt lgkmcnt(8)
	v_mul_lo_u32 v44, v16, v32
	v_mul_lo_u32 v16, v16, v33
	s_waitcnt lgkmcnt(7)
	v_mul_lo_u32 v32, v20, v32
	v_mul_lo_u32 v20, v20, v33
	;; [unrolled: 3-line block ×3, first 2 shown]
	v_mul_lo_u32 v34, v21, v34
	v_mul_lo_u32 v21, v21, v35
	s_waitcnt lgkmcnt(5)
	v_mul_lo_u32 v35, v18, v36
	v_mul_lo_u32 v18, v18, v37
	;; [unrolled: 1-line block ×3, first 2 shown]
	v_add3_u32 v33, v10, v44, v33
	v_add3_u32 v16, v9, v16, v17
	;; [unrolled: 1-line block ×4, first 2 shown]
	ds_read2_b32 v[7:8], v6 offset0:192 offset1:208
	ds_read2_b32 v[9:10], v6 offset0:224 offset1:240
	v_mul_lo_u32 v21, v22, v37
	s_waitcnt lgkmcnt(5)
	v_mul_lo_u32 v22, v19, v38
	v_mul_lo_u32 v19, v19, v39
	;; [unrolled: 1-line block ×4, first 2 shown]
	s_waitcnt lgkmcnt(4)
	v_mul_lo_u32 v34, v24, v40
	v_mul_lo_u32 v24, v24, v41
	s_waitcnt lgkmcnt(2)
	v_mul_lo_u32 v38, v25, v42
	v_mul_lo_u32 v25, v25, v43
	;; [unrolled: 1-line block ×4, first 2 shown]
	v_add3_u32 v22, v33, v35, v22
	v_add3_u32 v16, v16, v18, v19
	;; [unrolled: 1-line block ×3, first 2 shown]
	v_mul_lo_u32 v19, v28, v41
	v_mul_lo_u32 v21, v29, v43
	v_add3_u32 v17, v17, v36, v32
	v_add3_u32 v20, v22, v34, v38
	;; [unrolled: 1-line block ×3, first 2 shown]
	s_waitcnt lgkmcnt(1)
	v_mul_lo_u32 v22, v26, v7
	v_mul_lo_u32 v23, v26, v8
	;; [unrolled: 1-line block ×3, first 2 shown]
	s_waitcnt lgkmcnt(0)
	v_mul_lo_u32 v24, v27, v9
	v_mul_lo_u32 v25, v30, v8
	;; [unrolled: 1-line block ×5, first 2 shown]
	v_add3_u32 v17, v17, v37, v39
	v_add3_u32 v18, v18, v19, v21
	;; [unrolled: 1-line block ×3, first 2 shown]
	s_barrier
	v_add3_u32 v9, v16, v23, v8
	v_add3_u32 v8, v17, v7, v26
	;; [unrolled: 1-line block ×3, first 2 shown]
	buffer_gl0_inv
	s_cbranch_vccz .LBB214_7
.LBB214_3:                              ; =>This Inner Loop Header: Depth=1
	v_add_co_u32 v16, s22, v3, s20
	v_add_co_ci_u32_e64 v17, null, 0, s21, s22
	v_cmp_gt_i64_e32 vcc_lo, s[34:35], v[16:17]
	v_mov_b32_e32 v16, 0
	s_and_b32 s23, s0, vcc_lo
	s_and_saveexec_b32 s22, s23
	s_cbranch_execz .LBB214_5
; %bb.4:                                ;   in Loop: Header=BB214_3 Depth=1
	v_add_co_u32 v16, vcc_lo, v14, s20
	v_add_co_ci_u32_e64 v17, null, s21, v15, vcc_lo
	flat_load_sbyte v16, v[16:17]
.LBB214_5:                              ;   in Loop: Header=BB214_3 Depth=1
	s_or_b32 exec_lo, exec_lo, s22
	v_add_co_u32 v17, s22, v2, s20
	v_add_co_ci_u32_e64 v18, null, 0, s21, s22
	s_waitcnt vmcnt(0) lgkmcnt(0)
	ds_write_b32 v4, v16
	v_cmp_gt_i64_e32 vcc_lo, s[34:35], v[17:18]
	v_mov_b32_e32 v17, 0
	s_and_b32 s23, vcc_lo, s1
	s_and_saveexec_b32 s22, s23
	s_cbranch_execz .LBB214_2
; %bb.6:                                ;   in Loop: Header=BB214_3 Depth=1
	v_add_co_u32 v16, vcc_lo, v12, s20
	v_add_co_ci_u32_e64 v17, null, s21, v13, vcc_lo
	flat_load_sbyte v17, v[16:17]
	s_branch .LBB214_2
.LBB214_7:
	s_clause 0x1
	s_load_dword s20, s[4:5], 0x50
	s_load_dword s4, s[4:5], 0x18
	v_add_co_u32 v1, s0, s18, v1
	v_add_co_ci_u32_e64 v2, null, s19, 0, s0
	s_lshl_b64 s[10:11], s[10:11], 2
	s_waitcnt lgkmcnt(0)
	s_add_u32 s5, s12, s10
	v_cmp_gt_i64_e64 s0, s[30:31], v[1:2]
	s_addc_u32 s10, s13, s11
	s_cmp_eq_u32 s20, 0
	s_cbranch_scc1 .LBB214_20
; %bb.8:
	s_and_saveexec_b32 s11, s0
	s_cbranch_execz .LBB214_18
; %bb.9:
	v_mul_lo_u32 v5, v2, s14
	v_mul_lo_u32 v6, v1, s15
	v_mad_u64_u32 v[3:4], null, v1, s14, 0
	v_mul_lo_u32 v13, v2, s8
	v_mul_lo_u32 v14, v1, s9
	v_mad_u64_u32 v[11:12], null, v1, s8, 0
	s_lshl_b64 s[12:13], s[16:17], 2
	v_add3_u32 v4, v4, v6, v5
	v_add_co_u32 v5, s1, s6, v0
	v_add_co_ci_u32_e64 v6, null, s7, 0, s1
	v_add3_u32 v12, v12, v14, v13
	v_lshlrev_b64 v[3:4], 2, v[3:4]
	s_add_u32 s1, s2, s12
	s_addc_u32 s2, s3, s13
	v_cmp_gt_i64_e32 vcc_lo, s[28:29], v[5:6]
	v_lshlrev_b64 v[13:14], 2, v[11:12]
	v_add_co_u32 v11, s1, s1, v3
	v_add_co_ci_u32_e64 v12, null, s2, v4, s1
	v_add_co_u32 v13, s1, s5, v13
	v_lshlrev_b64 v[3:4], 2, v[5:6]
	v_add_co_ci_u32_e64 v14, null, s10, v14, s1
	s_and_saveexec_b32 s2, vcc_lo
	s_cbranch_execz .LBB214_11
; %bb.10:
	v_add_co_u32 v15, s1, v11, v3
	v_add_co_ci_u32_e64 v16, null, v12, v4, s1
	flat_load_dword v16, v[15:16]
	v_mul_lo_u32 v15, v10, s4
	s_waitcnt vmcnt(0) lgkmcnt(0)
	v_mad_u64_u32 v[15:16], null, v16, s20, v[15:16]
	v_add_co_u32 v16, s1, v13, v3
	v_add_co_ci_u32_e64 v17, null, v14, v4, s1
	flat_store_dword v[16:17], v15
.LBB214_11:
	s_or_b32 exec_lo, exec_lo, s2
	v_add_co_u32 v5, s1, v5, 16
	v_add_co_ci_u32_e64 v6, null, 0, v6, s1
	v_cmp_gt_i64_e64 s1, s[28:29], v[5:6]
	s_and_saveexec_b32 s3, s1
	s_cbranch_execz .LBB214_13
; %bb.12:
	v_add_co_u32 v5, s2, v11, v3
	v_add_co_ci_u32_e64 v6, null, v12, v4, s2
	v_add_co_u32 v15, s2, v13, v3
	v_add_co_ci_u32_e64 v16, null, v14, v4, s2
	flat_load_dword v6, v[5:6] offset:64
	v_mul_lo_u32 v5, v9, s4
	s_waitcnt vmcnt(0) lgkmcnt(0)
	v_mad_u64_u32 v[5:6], null, v6, s20, v[5:6]
	flat_store_dword v[15:16], v5 offset:64
.LBB214_13:
	s_or_b32 exec_lo, exec_lo, s3
	v_add_co_u32 v5, s2, v1, 16
	v_add_co_ci_u32_e64 v6, null, 0, v2, s2
	v_cmp_gt_i64_e64 s2, s[30:31], v[5:6]
	s_and_b32 exec_lo, exec_lo, s2
	s_cbranch_execz .LBB214_18
; %bb.14:
	s_lshl_b64 s[2:3], s[14:15], 6
	v_add_co_u32 v5, s2, v11, s2
	v_add_co_ci_u32_e64 v6, null, s3, v12, s2
	s_lshl_b64 s[2:3], s[8:9], 6
	v_add_co_u32 v11, s2, v13, s2
	v_add_co_ci_u32_e64 v12, null, s3, v14, s2
	v_add_co_u32 v5, s2, v5, v3
	v_add_co_ci_u32_e64 v6, null, v6, v4, s2
	;; [unrolled: 2-line block ×3, first 2 shown]
	s_and_saveexec_b32 s2, vcc_lo
	s_cbranch_execz .LBB214_16
; %bb.15:
	flat_load_dword v12, v[5:6]
	v_mul_lo_u32 v11, v8, s4
	s_waitcnt vmcnt(0) lgkmcnt(0)
	v_mad_u64_u32 v[11:12], null, v12, s20, v[11:12]
	flat_store_dword v[3:4], v11
.LBB214_16:
	s_or_b32 exec_lo, exec_lo, s2
	s_and_b32 exec_lo, exec_lo, s1
	s_cbranch_execz .LBB214_18
; %bb.17:
	flat_load_dword v6, v[5:6] offset:64
	v_mul_lo_u32 v5, v7, s4
	s_waitcnt vmcnt(0) lgkmcnt(0)
	v_mad_u64_u32 v[5:6], null, v6, s20, v[5:6]
	flat_store_dword v[3:4], v5 offset:64
.LBB214_18:
	s_or_b32 exec_lo, exec_lo, s11
	s_cbranch_execz .LBB214_21
.LBB214_19:
	s_endpgm
.LBB214_20:
.LBB214_21:
	s_and_saveexec_b32 s1, s0
	s_cbranch_execz .LBB214_19
; %bb.22:
	v_mul_lo_u32 v5, v2, s8
	v_mul_lo_u32 v6, v1, s9
	v_mad_u64_u32 v[3:4], null, v1, s8, 0
	v_add3_u32 v4, v4, v6, v5
	v_add_co_u32 v5, s0, s6, v0
	v_add_co_ci_u32_e64 v6, null, s7, 0, s0
	v_lshlrev_b64 v[11:12], 2, v[3:4]
	v_cmp_gt_i64_e32 vcc_lo, s[28:29], v[5:6]
	v_lshlrev_b64 v[3:4], 2, v[5:6]
	v_add_co_u32 v0, s0, s5, v11
	v_add_co_ci_u32_e64 v11, null, s10, v12, s0
	s_and_saveexec_b32 s1, vcc_lo
	s_cbranch_execz .LBB214_24
; %bb.23:
	v_mul_lo_u32 v10, v10, s4
	v_add_co_u32 v12, s0, v0, v3
	v_add_co_ci_u32_e64 v13, null, v11, v4, s0
	flat_store_dword v[12:13], v10
.LBB214_24:
	s_or_b32 exec_lo, exec_lo, s1
	v_add_co_u32 v5, s0, v5, 16
	v_add_co_ci_u32_e64 v6, null, 0, v6, s0
	v_cmp_gt_i64_e64 s0, s[28:29], v[5:6]
	s_and_saveexec_b32 s2, s0
	s_cbranch_execz .LBB214_26
; %bb.25:
	v_mul_lo_u32 v9, v9, s4
	v_add_co_u32 v5, s1, v0, v3
	v_add_co_ci_u32_e64 v6, null, v11, v4, s1
	flat_store_dword v[5:6], v9 offset:64
.LBB214_26:
	s_or_b32 exec_lo, exec_lo, s2
	v_add_co_u32 v1, s1, v1, 16
	v_add_co_ci_u32_e64 v2, null, 0, v2, s1
	v_cmp_gt_i64_e64 s1, s[30:31], v[1:2]
	s_and_b32 exec_lo, exec_lo, s1
	s_cbranch_execz .LBB214_19
; %bb.27:
	s_lshl_b64 s[2:3], s[8:9], 6
	v_add_co_u32 v0, s1, v0, s2
	v_add_co_ci_u32_e64 v1, null, s3, v11, s1
	v_add_co_u32 v0, s1, v0, v3
	v_add_co_ci_u32_e64 v1, null, v1, v4, s1
	s_and_saveexec_b32 s1, vcc_lo
	s_cbranch_execz .LBB214_29
; %bb.28:
	v_mul_lo_u32 v2, v8, s4
	flat_store_dword v[0:1], v2
.LBB214_29:
	s_or_b32 exec_lo, exec_lo, s1
	s_and_b32 exec_lo, exec_lo, s0
	s_cbranch_execz .LBB214_19
; %bb.30:
	v_mul_lo_u32 v2, v7, s4
	flat_store_dword v[0:1], v2 offset:64
	s_endpgm
	.section	.rodata,"a",@progbits
	.p2align	6, 0x0
	.amdhsa_kernel _ZN12_GLOBAL__N_135rocblas_gemm_batched_general_kernelIiLi16ELi16ELi32ELi32ELi8ELi32ELi8ELi8ELi32ELc84ELc78EKPKaKPKiKPiEEvlllT_PT11_llSB_llS9_PT12_llPT13_lli
		.amdhsa_group_segment_fixed_size 2048
		.amdhsa_private_segment_fixed_size 0
		.amdhsa_kernarg_size 140
		.amdhsa_user_sgpr_count 6
		.amdhsa_user_sgpr_private_segment_buffer 1
		.amdhsa_user_sgpr_dispatch_ptr 0
		.amdhsa_user_sgpr_queue_ptr 0
		.amdhsa_user_sgpr_kernarg_segment_ptr 1
		.amdhsa_user_sgpr_dispatch_id 0
		.amdhsa_user_sgpr_flat_scratch_init 0
		.amdhsa_user_sgpr_private_segment_size 0
		.amdhsa_wavefront_size32 1
		.amdhsa_uses_dynamic_stack 0
		.amdhsa_system_sgpr_private_segment_wavefront_offset 0
		.amdhsa_system_sgpr_workgroup_id_x 1
		.amdhsa_system_sgpr_workgroup_id_y 1
		.amdhsa_system_sgpr_workgroup_id_z 1
		.amdhsa_system_sgpr_workgroup_info 0
		.amdhsa_system_vgpr_workitem_id 1
		.amdhsa_next_free_vgpr 45
		.amdhsa_next_free_sgpr 42
		.amdhsa_reserve_vcc 1
		.amdhsa_reserve_flat_scratch 0
		.amdhsa_float_round_mode_32 0
		.amdhsa_float_round_mode_16_64 0
		.amdhsa_float_denorm_mode_32 3
		.amdhsa_float_denorm_mode_16_64 3
		.amdhsa_dx10_clamp 1
		.amdhsa_ieee_mode 1
		.amdhsa_fp16_overflow 0
		.amdhsa_workgroup_processor_mode 1
		.amdhsa_memory_ordered 1
		.amdhsa_forward_progress 1
		.amdhsa_shared_vgpr_count 0
		.amdhsa_exception_fp_ieee_invalid_op 0
		.amdhsa_exception_fp_denorm_src 0
		.amdhsa_exception_fp_ieee_div_zero 0
		.amdhsa_exception_fp_ieee_overflow 0
		.amdhsa_exception_fp_ieee_underflow 0
		.amdhsa_exception_fp_ieee_inexact 0
		.amdhsa_exception_int_div_zero 0
	.end_amdhsa_kernel
	.section	.text._ZN12_GLOBAL__N_135rocblas_gemm_batched_general_kernelIiLi16ELi16ELi32ELi32ELi8ELi32ELi8ELi8ELi32ELc84ELc78EKPKaKPKiKPiEEvlllT_PT11_llSB_llS9_PT12_llPT13_lli,"axG",@progbits,_ZN12_GLOBAL__N_135rocblas_gemm_batched_general_kernelIiLi16ELi16ELi32ELi32ELi8ELi32ELi8ELi8ELi32ELc84ELc78EKPKaKPKiKPiEEvlllT_PT11_llSB_llS9_PT12_llPT13_lli,comdat
.Lfunc_end214:
	.size	_ZN12_GLOBAL__N_135rocblas_gemm_batched_general_kernelIiLi16ELi16ELi32ELi32ELi8ELi32ELi8ELi8ELi32ELc84ELc78EKPKaKPKiKPiEEvlllT_PT11_llSB_llS9_PT12_llPT13_lli, .Lfunc_end214-_ZN12_GLOBAL__N_135rocblas_gemm_batched_general_kernelIiLi16ELi16ELi32ELi32ELi8ELi32ELi8ELi8ELi32ELc84ELc78EKPKaKPKiKPiEEvlllT_PT11_llSB_llS9_PT12_llPT13_lli
                                        ; -- End function
	.set _ZN12_GLOBAL__N_135rocblas_gemm_batched_general_kernelIiLi16ELi16ELi32ELi32ELi8ELi32ELi8ELi8ELi32ELc84ELc78EKPKaKPKiKPiEEvlllT_PT11_llSB_llS9_PT12_llPT13_lli.num_vgpr, 45
	.set _ZN12_GLOBAL__N_135rocblas_gemm_batched_general_kernelIiLi16ELi16ELi32ELi32ELi8ELi32ELi8ELi8ELi32ELc84ELc78EKPKaKPKiKPiEEvlllT_PT11_llSB_llS9_PT12_llPT13_lli.num_agpr, 0
	.set _ZN12_GLOBAL__N_135rocblas_gemm_batched_general_kernelIiLi16ELi16ELi32ELi32ELi8ELi32ELi8ELi8ELi32ELc84ELc78EKPKaKPKiKPiEEvlllT_PT11_llSB_llS9_PT12_llPT13_lli.numbered_sgpr, 42
	.set _ZN12_GLOBAL__N_135rocblas_gemm_batched_general_kernelIiLi16ELi16ELi32ELi32ELi8ELi32ELi8ELi8ELi32ELc84ELc78EKPKaKPKiKPiEEvlllT_PT11_llSB_llS9_PT12_llPT13_lli.num_named_barrier, 0
	.set _ZN12_GLOBAL__N_135rocblas_gemm_batched_general_kernelIiLi16ELi16ELi32ELi32ELi8ELi32ELi8ELi8ELi32ELc84ELc78EKPKaKPKiKPiEEvlllT_PT11_llSB_llS9_PT12_llPT13_lli.private_seg_size, 0
	.set _ZN12_GLOBAL__N_135rocblas_gemm_batched_general_kernelIiLi16ELi16ELi32ELi32ELi8ELi32ELi8ELi8ELi32ELc84ELc78EKPKaKPKiKPiEEvlllT_PT11_llSB_llS9_PT12_llPT13_lli.uses_vcc, 1
	.set _ZN12_GLOBAL__N_135rocblas_gemm_batched_general_kernelIiLi16ELi16ELi32ELi32ELi8ELi32ELi8ELi8ELi32ELc84ELc78EKPKaKPKiKPiEEvlllT_PT11_llSB_llS9_PT12_llPT13_lli.uses_flat_scratch, 0
	.set _ZN12_GLOBAL__N_135rocblas_gemm_batched_general_kernelIiLi16ELi16ELi32ELi32ELi8ELi32ELi8ELi8ELi32ELc84ELc78EKPKaKPKiKPiEEvlllT_PT11_llSB_llS9_PT12_llPT13_lli.has_dyn_sized_stack, 0
	.set _ZN12_GLOBAL__N_135rocblas_gemm_batched_general_kernelIiLi16ELi16ELi32ELi32ELi8ELi32ELi8ELi8ELi32ELc84ELc78EKPKaKPKiKPiEEvlllT_PT11_llSB_llS9_PT12_llPT13_lli.has_recursion, 0
	.set _ZN12_GLOBAL__N_135rocblas_gemm_batched_general_kernelIiLi16ELi16ELi32ELi32ELi8ELi32ELi8ELi8ELi32ELc84ELc78EKPKaKPKiKPiEEvlllT_PT11_llSB_llS9_PT12_llPT13_lli.has_indirect_call, 0
	.section	.AMDGPU.csdata,"",@progbits
; Kernel info:
; codeLenInByte = 2144
; TotalNumSgprs: 44
; NumVgprs: 45
; ScratchSize: 0
; MemoryBound: 0
; FloatMode: 240
; IeeeMode: 1
; LDSByteSize: 2048 bytes/workgroup (compile time only)
; SGPRBlocks: 0
; VGPRBlocks: 5
; NumSGPRsForWavesPerEU: 44
; NumVGPRsForWavesPerEU: 45
; Occupancy: 16
; WaveLimiterHint : 1
; COMPUTE_PGM_RSRC2:SCRATCH_EN: 0
; COMPUTE_PGM_RSRC2:USER_SGPR: 6
; COMPUTE_PGM_RSRC2:TRAP_HANDLER: 0
; COMPUTE_PGM_RSRC2:TGID_X_EN: 1
; COMPUTE_PGM_RSRC2:TGID_Y_EN: 1
; COMPUTE_PGM_RSRC2:TGID_Z_EN: 1
; COMPUTE_PGM_RSRC2:TIDIG_COMP_CNT: 1
	.section	.text._ZN12_GLOBAL__N_135rocblas_gemm_batched_general_kernelIiLi16ELi16ELi32ELi32ELi8ELi32ELi8ELi8ELi32ELc78ELc84EKPKaKPKiKPiEEvlllT_PT11_llSB_llS9_PT12_llPT13_lli,"axG",@progbits,_ZN12_GLOBAL__N_135rocblas_gemm_batched_general_kernelIiLi16ELi16ELi32ELi32ELi8ELi32ELi8ELi8ELi32ELc78ELc84EKPKaKPKiKPiEEvlllT_PT11_llSB_llS9_PT12_llPT13_lli,comdat
	.globl	_ZN12_GLOBAL__N_135rocblas_gemm_batched_general_kernelIiLi16ELi16ELi32ELi32ELi8ELi32ELi8ELi8ELi32ELc78ELc84EKPKaKPKiKPiEEvlllT_PT11_llSB_llS9_PT12_llPT13_lli ; -- Begin function _ZN12_GLOBAL__N_135rocblas_gemm_batched_general_kernelIiLi16ELi16ELi32ELi32ELi8ELi32ELi8ELi8ELi32ELc78ELc84EKPKaKPKiKPiEEvlllT_PT11_llSB_llS9_PT12_llPT13_lli
	.p2align	8
	.type	_ZN12_GLOBAL__N_135rocblas_gemm_batched_general_kernelIiLi16ELi16ELi32ELi32ELi8ELi32ELi8ELi8ELi32ELc78ELc84EKPKaKPKiKPiEEvlllT_PT11_llSB_llS9_PT12_llPT13_lli,@function
_ZN12_GLOBAL__N_135rocblas_gemm_batched_general_kernelIiLi16ELi16ELi32ELi32ELi8ELi32ELi8ELi8ELi32ELc78ELc84EKPKaKPKiKPiEEvlllT_PT11_llSB_llS9_PT12_llPT13_lli: ; @_ZN12_GLOBAL__N_135rocblas_gemm_batched_general_kernelIiLi16ELi16ELi32ELi32ELi8ELi32ELi8ELi8ELi32ELc78ELc84EKPKaKPKiKPiEEvlllT_PT11_llSB_llS9_PT12_llPT13_lli
; %bb.0:
	s_clause 0x1
	s_load_dwordx8 s[12:19], s[4:5], 0x58
	s_load_dwordx2 s[34:35], s[4:5], 0x10
	s_mov_b32 s9, 0
	s_load_dwordx4 s[28:31], s[4:5], 0x0
	s_lshl_b64 s[0:1], s[8:9], 3
	s_load_dwordx4 s[8:11], s[4:5], 0x78
	s_mov_b32 s20, s7
	v_mov_b32_e32 v10, 0
	v_mov_b32_e32 v9, 0
	;; [unrolled: 1-line block ×4, first 2 shown]
	s_waitcnt lgkmcnt(0)
	s_add_u32 s2, s12, s0
	s_addc_u32 s3, s13, s1
	s_add_u32 s12, s18, s0
	s_addc_u32 s13, s19, s1
	s_load_dwordx2 s[2:3], s[2:3], 0x0
	s_load_dwordx2 s[12:13], s[12:13], 0x0
	v_cmp_lt_i64_e64 s18, s[34:35], 1
	s_ashr_i32 s7, s6, 31
	s_ashr_i32 s21, s20, 31
	s_lshl_b64 s[6:7], s[6:7], 5
	s_and_b32 vcc_lo, exec_lo, s18
	s_lshl_b64 s[18:19], s[20:21], 5
	s_cbranch_vccnz .LBB215_7
; %bb.1:
	s_clause 0x1
	s_load_dwordx8 s[20:27], s[4:5], 0x20
	s_load_dwordx4 s[36:39], s[4:5], 0x40
	v_lshl_add_u32 v2, v1, 4, v0
	v_and_b32_e32 v6, 7, v0
	v_mov_b32_e32 v3, s7
	v_lshlrev_b32_e32 v11, 2, v0
	v_mov_b32_e32 v7, 0
	v_lshrrev_b32_e32 v10, 3, v2
	v_lshrrev_b32_e32 v13, 5, v2
	v_and_b32_e32 v22, 31, v2
	v_lshlrev_b32_e32 v14, 2, v6
	v_lshl_add_u32 v12, v1, 5, 0x400
	v_mov_b32_e32 v8, 0
	v_mov_b32_e32 v9, 0
	v_or_b32_e32 v2, s6, v22
	v_lshl_or_b32 v23, v10, 5, v14
	v_lshlrev_b32_e32 v15, 2, v22
	s_waitcnt lgkmcnt(0)
	s_add_u32 s26, s26, s0
	s_addc_u32 s27, s27, s1
	s_add_u32 s0, s20, s0
	s_load_dwordx2 s[26:27], s[26:27], 0x0
	s_addc_u32 s1, s21, s1
	v_add_co_u32 v4, s33, s38, v10
	v_add_co_ci_u32_e64 v5, null, s39, 0, s33
	v_lshl_or_b32 v14, v13, 7, v15
	v_add_nc_u32_e32 v15, 0x400, v23
	v_mad_u64_u32 v[4:5], null, s36, v6, v[4:5]
	s_waitcnt lgkmcnt(0)
	s_add_u32 s26, s26, s18
	s_addc_u32 s27, s27, s19
	s_lshl_b64 s[20:21], s[36:37], 3
	s_add_u32 s24, s6, s24
	s_addc_u32 s25, s7, s25
	v_mad_u64_u32 v[16:17], null, s22, v13, s[24:25]
	v_add_co_u32 v18, s24, v10, s18
	v_add_co_ci_u32_e64 v19, null, 0, s19, s24
	s_load_dwordx2 s[24:25], s[0:1], 0x0
	v_cmp_gt_i64_e64 s0, s[28:29], v[2:3]
	v_mov_b32_e32 v10, v17
	v_mov_b32_e32 v2, v5
	v_cmp_gt_i64_e64 s1, s[30:31], v[18:19]
	v_add_co_u32 v5, vcc_lo, v16, v22
	v_mad_u64_u32 v[20:21], null, s23, v13, v[10:11]
	v_mad_u64_u32 v[17:18], null, s37, v6, v[2:3]
	s_lshl_b64 s[22:23], s[22:23], 3
	v_add_co_ci_u32_e64 v10, null, 0, v20, vcc_lo
	v_add_co_u32 v2, vcc_lo, s26, v4
	v_add_co_ci_u32_e64 v3, null, s27, v17, vcc_lo
	s_waitcnt lgkmcnt(0)
	v_add_co_u32 v4, vcc_lo, s24, v5
	v_add_co_ci_u32_e64 v5, null, s25, v10, vcc_lo
	v_mov_b32_e32 v10, 0
	s_mov_b64 s[24:25], 0
	s_branch .LBB215_3
.LBB215_2:                              ;   in Loop: Header=BB215_3 Depth=1
	s_or_b32 exec_lo, exec_lo, s26
	s_waitcnt vmcnt(0) lgkmcnt(0)
	ds_write_b32 v15, v17
	s_waitcnt lgkmcnt(0)
	s_barrier
	buffer_gl0_inv
	ds_read_b128 v[16:19], v12
	ds_read2_b32 v[32:33], v11 offset1:16
	ds_read_b128 v[20:23], v12 offset:512
	ds_read2_b32 v[34:35], v11 offset0:32 offset1:48
	ds_read2_b32 v[36:37], v11 offset0:64 offset1:80
	;; [unrolled: 1-line block ×3, first 2 shown]
	ds_read_b128 v[24:27], v12 offset:16
	ds_read2_b32 v[40:41], v11 offset0:128 offset1:144
	ds_read_b128 v[28:31], v12 offset:528
	ds_read2_b32 v[42:43], v11 offset0:160 offset1:176
	s_add_u32 s24, s24, 8
	s_addc_u32 s25, s25, 0
	v_add_co_u32 v2, vcc_lo, v2, s20
	v_cmp_lt_i64_e64 s26, s[24:25], s[34:35]
	v_add_co_ci_u32_e64 v3, null, s21, v3, vcc_lo
	v_add_co_u32 v4, vcc_lo, v4, s22
	v_add_co_ci_u32_e64 v5, null, s23, v5, vcc_lo
	s_waitcnt lgkmcnt(8)
	v_mul_lo_u32 v44, v16, v32
	v_mul_lo_u32 v16, v16, v33
	s_waitcnt lgkmcnt(7)
	v_mul_lo_u32 v32, v20, v32
	v_mul_lo_u32 v20, v20, v33
	;; [unrolled: 3-line block ×3, first 2 shown]
	v_mul_lo_u32 v34, v21, v34
	v_mul_lo_u32 v21, v21, v35
	s_waitcnt lgkmcnt(5)
	v_mul_lo_u32 v35, v18, v36
	v_mul_lo_u32 v18, v18, v37
	;; [unrolled: 1-line block ×4, first 2 shown]
	v_add3_u32 v33, v10, v44, v33
	v_add3_u32 v44, v9, v16, v17
	ds_read2_b32 v[9:10], v11 offset0:192 offset1:208
	ds_read2_b32 v[16:17], v11 offset0:224 offset1:240
	s_waitcnt lgkmcnt(6)
	v_mul_lo_u32 v37, v19, v38
	v_mul_lo_u32 v19, v19, v39
	;; [unrolled: 1-line block ×4, first 2 shown]
	v_add3_u32 v7, v7, v20, v21
	s_waitcnt lgkmcnt(4)
	v_mul_lo_u32 v20, v24, v40
	s_waitcnt lgkmcnt(2)
	v_mul_lo_u32 v21, v25, v42
	v_add3_u32 v8, v8, v32, v34
	v_add3_u32 v32, v33, v35, v37
	v_add3_u32 v18, v44, v18, v19
	v_mul_lo_u32 v19, v24, v41
	v_add3_u32 v7, v7, v22, v23
	v_mul_lo_u32 v22, v28, v40
	v_mul_lo_u32 v23, v28, v41
	v_add3_u32 v20, v32, v20, v21
	v_mul_lo_u32 v21, v25, v43
	v_mul_lo_u32 v24, v29, v42
	;; [unrolled: 1-line block ×3, first 2 shown]
	v_add3_u32 v8, v8, v36, v38
	s_waitcnt lgkmcnt(1)
	v_mul_lo_u32 v28, v26, v9
	v_mul_lo_u32 v26, v26, v10
	;; [unrolled: 1-line block ×4, first 2 shown]
	s_waitcnt lgkmcnt(0)
	v_mul_lo_u32 v9, v27, v16
	v_mul_lo_u32 v27, v27, v17
	;; [unrolled: 1-line block ×4, first 2 shown]
	v_add3_u32 v18, v18, v19, v21
	v_add3_u32 v8, v8, v22, v24
	;; [unrolled: 1-line block ×3, first 2 shown]
	s_and_b32 vcc_lo, exec_lo, s26
	v_add3_u32 v10, v20, v28, v9
	v_add3_u32 v9, v18, v26, v27
	;; [unrolled: 1-line block ×4, first 2 shown]
	s_barrier
	buffer_gl0_inv
	s_cbranch_vccz .LBB215_7
.LBB215_3:                              ; =>This Inner Loop Header: Depth=1
	v_add_co_u32 v16, s26, v13, s24
	v_add_co_ci_u32_e64 v17, null, 0, s25, s26
	v_cmp_gt_i64_e32 vcc_lo, s[34:35], v[16:17]
	v_mov_b32_e32 v16, 0
	s_and_b32 s27, s0, vcc_lo
	s_and_saveexec_b32 s26, s27
	s_cbranch_execz .LBB215_5
; %bb.4:                                ;   in Loop: Header=BB215_3 Depth=1
	flat_load_sbyte v16, v[4:5]
.LBB215_5:                              ;   in Loop: Header=BB215_3 Depth=1
	s_or_b32 exec_lo, exec_lo, s26
	v_add_co_u32 v17, s26, v6, s24
	v_add_co_ci_u32_e64 v18, null, 0, s25, s26
	s_waitcnt vmcnt(0) lgkmcnt(0)
	ds_write_b32 v14, v16
	v_cmp_gt_i64_e32 vcc_lo, s[34:35], v[17:18]
	v_mov_b32_e32 v17, 0
	s_and_b32 s27, vcc_lo, s1
	s_and_saveexec_b32 s26, s27
	s_cbranch_execz .LBB215_2
; %bb.6:                                ;   in Loop: Header=BB215_3 Depth=1
	flat_load_sbyte v17, v[2:3]
	s_branch .LBB215_2
.LBB215_7:
	s_clause 0x1
	s_load_dword s20, s[4:5], 0x50
	s_load_dword s4, s[4:5], 0x18
	v_add_co_u32 v1, s0, s18, v1
	v_add_co_ci_u32_e64 v2, null, s19, 0, s0
	s_lshl_b64 s[10:11], s[10:11], 2
	s_waitcnt lgkmcnt(0)
	s_add_u32 s5, s12, s10
	v_cmp_gt_i64_e64 s0, s[30:31], v[1:2]
	s_addc_u32 s10, s13, s11
	s_cmp_eq_u32 s20, 0
	s_cbranch_scc1 .LBB215_20
; %bb.8:
	s_and_saveexec_b32 s11, s0
	s_cbranch_execz .LBB215_18
; %bb.9:
	v_mul_lo_u32 v5, v2, s14
	v_mul_lo_u32 v6, v1, s15
	v_mad_u64_u32 v[3:4], null, v1, s14, 0
	v_mul_lo_u32 v13, v2, s8
	v_mul_lo_u32 v14, v1, s9
	v_mad_u64_u32 v[11:12], null, v1, s8, 0
	s_lshl_b64 s[12:13], s[16:17], 2
	v_add3_u32 v4, v4, v6, v5
	v_add_co_u32 v5, s1, s6, v0
	v_add_co_ci_u32_e64 v6, null, s7, 0, s1
	v_add3_u32 v12, v12, v14, v13
	v_lshlrev_b64 v[3:4], 2, v[3:4]
	s_add_u32 s1, s2, s12
	s_addc_u32 s2, s3, s13
	v_cmp_gt_i64_e32 vcc_lo, s[28:29], v[5:6]
	v_lshlrev_b64 v[13:14], 2, v[11:12]
	v_add_co_u32 v11, s1, s1, v3
	v_add_co_ci_u32_e64 v12, null, s2, v4, s1
	v_add_co_u32 v13, s1, s5, v13
	v_lshlrev_b64 v[3:4], 2, v[5:6]
	v_add_co_ci_u32_e64 v14, null, s10, v14, s1
	s_and_saveexec_b32 s2, vcc_lo
	s_cbranch_execz .LBB215_11
; %bb.10:
	v_add_co_u32 v15, s1, v11, v3
	v_add_co_ci_u32_e64 v16, null, v12, v4, s1
	flat_load_dword v16, v[15:16]
	v_mul_lo_u32 v15, v10, s4
	s_waitcnt vmcnt(0) lgkmcnt(0)
	v_mad_u64_u32 v[15:16], null, v16, s20, v[15:16]
	v_add_co_u32 v16, s1, v13, v3
	v_add_co_ci_u32_e64 v17, null, v14, v4, s1
	flat_store_dword v[16:17], v15
.LBB215_11:
	s_or_b32 exec_lo, exec_lo, s2
	v_add_co_u32 v5, s1, v5, 16
	v_add_co_ci_u32_e64 v6, null, 0, v6, s1
	v_cmp_gt_i64_e64 s1, s[28:29], v[5:6]
	s_and_saveexec_b32 s3, s1
	s_cbranch_execz .LBB215_13
; %bb.12:
	v_add_co_u32 v5, s2, v11, v3
	v_add_co_ci_u32_e64 v6, null, v12, v4, s2
	v_add_co_u32 v15, s2, v13, v3
	v_add_co_ci_u32_e64 v16, null, v14, v4, s2
	flat_load_dword v6, v[5:6] offset:64
	v_mul_lo_u32 v5, v9, s4
	s_waitcnt vmcnt(0) lgkmcnt(0)
	v_mad_u64_u32 v[5:6], null, v6, s20, v[5:6]
	flat_store_dword v[15:16], v5 offset:64
.LBB215_13:
	s_or_b32 exec_lo, exec_lo, s3
	v_add_co_u32 v5, s2, v1, 16
	v_add_co_ci_u32_e64 v6, null, 0, v2, s2
	v_cmp_gt_i64_e64 s2, s[30:31], v[5:6]
	s_and_b32 exec_lo, exec_lo, s2
	s_cbranch_execz .LBB215_18
; %bb.14:
	s_lshl_b64 s[2:3], s[14:15], 6
	v_add_co_u32 v5, s2, v11, s2
	v_add_co_ci_u32_e64 v6, null, s3, v12, s2
	s_lshl_b64 s[2:3], s[8:9], 6
	v_add_co_u32 v11, s2, v13, s2
	v_add_co_ci_u32_e64 v12, null, s3, v14, s2
	v_add_co_u32 v5, s2, v5, v3
	v_add_co_ci_u32_e64 v6, null, v6, v4, s2
	;; [unrolled: 2-line block ×3, first 2 shown]
	s_and_saveexec_b32 s2, vcc_lo
	s_cbranch_execz .LBB215_16
; %bb.15:
	flat_load_dword v12, v[5:6]
	v_mul_lo_u32 v11, v8, s4
	s_waitcnt vmcnt(0) lgkmcnt(0)
	v_mad_u64_u32 v[11:12], null, v12, s20, v[11:12]
	flat_store_dword v[3:4], v11
.LBB215_16:
	s_or_b32 exec_lo, exec_lo, s2
	s_and_b32 exec_lo, exec_lo, s1
	s_cbranch_execz .LBB215_18
; %bb.17:
	flat_load_dword v6, v[5:6] offset:64
	v_mul_lo_u32 v5, v7, s4
	s_waitcnt vmcnt(0) lgkmcnt(0)
	v_mad_u64_u32 v[5:6], null, v6, s20, v[5:6]
	flat_store_dword v[3:4], v5 offset:64
.LBB215_18:
	s_or_b32 exec_lo, exec_lo, s11
	s_cbranch_execz .LBB215_21
.LBB215_19:
	s_endpgm
.LBB215_20:
.LBB215_21:
	s_and_saveexec_b32 s1, s0
	s_cbranch_execz .LBB215_19
; %bb.22:
	v_mul_lo_u32 v5, v2, s8
	v_mul_lo_u32 v6, v1, s9
	v_mad_u64_u32 v[3:4], null, v1, s8, 0
	v_add3_u32 v4, v4, v6, v5
	v_add_co_u32 v5, s0, s6, v0
	v_add_co_ci_u32_e64 v6, null, s7, 0, s0
	v_lshlrev_b64 v[11:12], 2, v[3:4]
	v_cmp_gt_i64_e32 vcc_lo, s[28:29], v[5:6]
	v_lshlrev_b64 v[3:4], 2, v[5:6]
	v_add_co_u32 v0, s0, s5, v11
	v_add_co_ci_u32_e64 v11, null, s10, v12, s0
	s_and_saveexec_b32 s1, vcc_lo
	s_cbranch_execz .LBB215_24
; %bb.23:
	v_mul_lo_u32 v10, v10, s4
	v_add_co_u32 v12, s0, v0, v3
	v_add_co_ci_u32_e64 v13, null, v11, v4, s0
	flat_store_dword v[12:13], v10
.LBB215_24:
	s_or_b32 exec_lo, exec_lo, s1
	v_add_co_u32 v5, s0, v5, 16
	v_add_co_ci_u32_e64 v6, null, 0, v6, s0
	v_cmp_gt_i64_e64 s0, s[28:29], v[5:6]
	s_and_saveexec_b32 s2, s0
	s_cbranch_execz .LBB215_26
; %bb.25:
	v_mul_lo_u32 v9, v9, s4
	v_add_co_u32 v5, s1, v0, v3
	v_add_co_ci_u32_e64 v6, null, v11, v4, s1
	flat_store_dword v[5:6], v9 offset:64
.LBB215_26:
	s_or_b32 exec_lo, exec_lo, s2
	v_add_co_u32 v1, s1, v1, 16
	v_add_co_ci_u32_e64 v2, null, 0, v2, s1
	v_cmp_gt_i64_e64 s1, s[30:31], v[1:2]
	s_and_b32 exec_lo, exec_lo, s1
	s_cbranch_execz .LBB215_19
; %bb.27:
	s_lshl_b64 s[2:3], s[8:9], 6
	v_add_co_u32 v0, s1, v0, s2
	v_add_co_ci_u32_e64 v1, null, s3, v11, s1
	v_add_co_u32 v0, s1, v0, v3
	v_add_co_ci_u32_e64 v1, null, v1, v4, s1
	s_and_saveexec_b32 s1, vcc_lo
	s_cbranch_execz .LBB215_29
; %bb.28:
	v_mul_lo_u32 v2, v8, s4
	flat_store_dword v[0:1], v2
.LBB215_29:
	s_or_b32 exec_lo, exec_lo, s1
	s_and_b32 exec_lo, exec_lo, s0
	s_cbranch_execz .LBB215_19
; %bb.30:
	v_mul_lo_u32 v2, v7, s4
	flat_store_dword v[0:1], v2 offset:64
	s_endpgm
	.section	.rodata,"a",@progbits
	.p2align	6, 0x0
	.amdhsa_kernel _ZN12_GLOBAL__N_135rocblas_gemm_batched_general_kernelIiLi16ELi16ELi32ELi32ELi8ELi32ELi8ELi8ELi32ELc78ELc84EKPKaKPKiKPiEEvlllT_PT11_llSB_llS9_PT12_llPT13_lli
		.amdhsa_group_segment_fixed_size 2048
		.amdhsa_private_segment_fixed_size 0
		.amdhsa_kernarg_size 140
		.amdhsa_user_sgpr_count 6
		.amdhsa_user_sgpr_private_segment_buffer 1
		.amdhsa_user_sgpr_dispatch_ptr 0
		.amdhsa_user_sgpr_queue_ptr 0
		.amdhsa_user_sgpr_kernarg_segment_ptr 1
		.amdhsa_user_sgpr_dispatch_id 0
		.amdhsa_user_sgpr_flat_scratch_init 0
		.amdhsa_user_sgpr_private_segment_size 0
		.amdhsa_wavefront_size32 1
		.amdhsa_uses_dynamic_stack 0
		.amdhsa_system_sgpr_private_segment_wavefront_offset 0
		.amdhsa_system_sgpr_workgroup_id_x 1
		.amdhsa_system_sgpr_workgroup_id_y 1
		.amdhsa_system_sgpr_workgroup_id_z 1
		.amdhsa_system_sgpr_workgroup_info 0
		.amdhsa_system_vgpr_workitem_id 1
		.amdhsa_next_free_vgpr 45
		.amdhsa_next_free_sgpr 40
		.amdhsa_reserve_vcc 1
		.amdhsa_reserve_flat_scratch 0
		.amdhsa_float_round_mode_32 0
		.amdhsa_float_round_mode_16_64 0
		.amdhsa_float_denorm_mode_32 3
		.amdhsa_float_denorm_mode_16_64 3
		.amdhsa_dx10_clamp 1
		.amdhsa_ieee_mode 1
		.amdhsa_fp16_overflow 0
		.amdhsa_workgroup_processor_mode 1
		.amdhsa_memory_ordered 1
		.amdhsa_forward_progress 1
		.amdhsa_shared_vgpr_count 0
		.amdhsa_exception_fp_ieee_invalid_op 0
		.amdhsa_exception_fp_denorm_src 0
		.amdhsa_exception_fp_ieee_div_zero 0
		.amdhsa_exception_fp_ieee_overflow 0
		.amdhsa_exception_fp_ieee_underflow 0
		.amdhsa_exception_fp_ieee_inexact 0
		.amdhsa_exception_int_div_zero 0
	.end_amdhsa_kernel
	.section	.text._ZN12_GLOBAL__N_135rocblas_gemm_batched_general_kernelIiLi16ELi16ELi32ELi32ELi8ELi32ELi8ELi8ELi32ELc78ELc84EKPKaKPKiKPiEEvlllT_PT11_llSB_llS9_PT12_llPT13_lli,"axG",@progbits,_ZN12_GLOBAL__N_135rocblas_gemm_batched_general_kernelIiLi16ELi16ELi32ELi32ELi8ELi32ELi8ELi8ELi32ELc78ELc84EKPKaKPKiKPiEEvlllT_PT11_llSB_llS9_PT12_llPT13_lli,comdat
.Lfunc_end215:
	.size	_ZN12_GLOBAL__N_135rocblas_gemm_batched_general_kernelIiLi16ELi16ELi32ELi32ELi8ELi32ELi8ELi8ELi32ELc78ELc84EKPKaKPKiKPiEEvlllT_PT11_llSB_llS9_PT12_llPT13_lli, .Lfunc_end215-_ZN12_GLOBAL__N_135rocblas_gemm_batched_general_kernelIiLi16ELi16ELi32ELi32ELi8ELi32ELi8ELi8ELi32ELc78ELc84EKPKaKPKiKPiEEvlllT_PT11_llSB_llS9_PT12_llPT13_lli
                                        ; -- End function
	.set _ZN12_GLOBAL__N_135rocblas_gemm_batched_general_kernelIiLi16ELi16ELi32ELi32ELi8ELi32ELi8ELi8ELi32ELc78ELc84EKPKaKPKiKPiEEvlllT_PT11_llSB_llS9_PT12_llPT13_lli.num_vgpr, 45
	.set _ZN12_GLOBAL__N_135rocblas_gemm_batched_general_kernelIiLi16ELi16ELi32ELi32ELi8ELi32ELi8ELi8ELi32ELc78ELc84EKPKaKPKiKPiEEvlllT_PT11_llSB_llS9_PT12_llPT13_lli.num_agpr, 0
	.set _ZN12_GLOBAL__N_135rocblas_gemm_batched_general_kernelIiLi16ELi16ELi32ELi32ELi8ELi32ELi8ELi8ELi32ELc78ELc84EKPKaKPKiKPiEEvlllT_PT11_llSB_llS9_PT12_llPT13_lli.numbered_sgpr, 40
	.set _ZN12_GLOBAL__N_135rocblas_gemm_batched_general_kernelIiLi16ELi16ELi32ELi32ELi8ELi32ELi8ELi8ELi32ELc78ELc84EKPKaKPKiKPiEEvlllT_PT11_llSB_llS9_PT12_llPT13_lli.num_named_barrier, 0
	.set _ZN12_GLOBAL__N_135rocblas_gemm_batched_general_kernelIiLi16ELi16ELi32ELi32ELi8ELi32ELi8ELi8ELi32ELc78ELc84EKPKaKPKiKPiEEvlllT_PT11_llSB_llS9_PT12_llPT13_lli.private_seg_size, 0
	.set _ZN12_GLOBAL__N_135rocblas_gemm_batched_general_kernelIiLi16ELi16ELi32ELi32ELi8ELi32ELi8ELi8ELi32ELc78ELc84EKPKaKPKiKPiEEvlllT_PT11_llSB_llS9_PT12_llPT13_lli.uses_vcc, 1
	.set _ZN12_GLOBAL__N_135rocblas_gemm_batched_general_kernelIiLi16ELi16ELi32ELi32ELi8ELi32ELi8ELi8ELi32ELc78ELc84EKPKaKPKiKPiEEvlllT_PT11_llSB_llS9_PT12_llPT13_lli.uses_flat_scratch, 0
	.set _ZN12_GLOBAL__N_135rocblas_gemm_batched_general_kernelIiLi16ELi16ELi32ELi32ELi8ELi32ELi8ELi8ELi32ELc78ELc84EKPKaKPKiKPiEEvlllT_PT11_llSB_llS9_PT12_llPT13_lli.has_dyn_sized_stack, 0
	.set _ZN12_GLOBAL__N_135rocblas_gemm_batched_general_kernelIiLi16ELi16ELi32ELi32ELi8ELi32ELi8ELi8ELi32ELc78ELc84EKPKaKPKiKPiEEvlllT_PT11_llSB_llS9_PT12_llPT13_lli.has_recursion, 0
	.set _ZN12_GLOBAL__N_135rocblas_gemm_batched_general_kernelIiLi16ELi16ELi32ELi32ELi8ELi32ELi8ELi8ELi32ELc78ELc84EKPKaKPKiKPiEEvlllT_PT11_llSB_llS9_PT12_llPT13_lli.has_indirect_call, 0
	.section	.AMDGPU.csdata,"",@progbits
; Kernel info:
; codeLenInByte = 2132
; TotalNumSgprs: 42
; NumVgprs: 45
; ScratchSize: 0
; MemoryBound: 0
; FloatMode: 240
; IeeeMode: 1
; LDSByteSize: 2048 bytes/workgroup (compile time only)
; SGPRBlocks: 0
; VGPRBlocks: 5
; NumSGPRsForWavesPerEU: 42
; NumVGPRsForWavesPerEU: 45
; Occupancy: 16
; WaveLimiterHint : 1
; COMPUTE_PGM_RSRC2:SCRATCH_EN: 0
; COMPUTE_PGM_RSRC2:USER_SGPR: 6
; COMPUTE_PGM_RSRC2:TRAP_HANDLER: 0
; COMPUTE_PGM_RSRC2:TGID_X_EN: 1
; COMPUTE_PGM_RSRC2:TGID_Y_EN: 1
; COMPUTE_PGM_RSRC2:TGID_Z_EN: 1
; COMPUTE_PGM_RSRC2:TIDIG_COMP_CNT: 1
	.section	.text._ZN12_GLOBAL__N_135rocblas_gemm_batched_general_kernelIiLi16ELi16ELi32ELi32ELi8ELi32ELi8ELi8ELi32ELc84ELc84EKPKaKPKiKPiEEvlllT_PT11_llSB_llS9_PT12_llPT13_lli,"axG",@progbits,_ZN12_GLOBAL__N_135rocblas_gemm_batched_general_kernelIiLi16ELi16ELi32ELi32ELi8ELi32ELi8ELi8ELi32ELc84ELc84EKPKaKPKiKPiEEvlllT_PT11_llSB_llS9_PT12_llPT13_lli,comdat
	.globl	_ZN12_GLOBAL__N_135rocblas_gemm_batched_general_kernelIiLi16ELi16ELi32ELi32ELi8ELi32ELi8ELi8ELi32ELc84ELc84EKPKaKPKiKPiEEvlllT_PT11_llSB_llS9_PT12_llPT13_lli ; -- Begin function _ZN12_GLOBAL__N_135rocblas_gemm_batched_general_kernelIiLi16ELi16ELi32ELi32ELi8ELi32ELi8ELi8ELi32ELc84ELc84EKPKaKPKiKPiEEvlllT_PT11_llSB_llS9_PT12_llPT13_lli
	.p2align	8
	.type	_ZN12_GLOBAL__N_135rocblas_gemm_batched_general_kernelIiLi16ELi16ELi32ELi32ELi8ELi32ELi8ELi8ELi32ELc84ELc84EKPKaKPKiKPiEEvlllT_PT11_llSB_llS9_PT12_llPT13_lli,@function
_ZN12_GLOBAL__N_135rocblas_gemm_batched_general_kernelIiLi16ELi16ELi32ELi32ELi8ELi32ELi8ELi8ELi32ELc84ELc84EKPKaKPKiKPiEEvlllT_PT11_llSB_llS9_PT12_llPT13_lli: ; @_ZN12_GLOBAL__N_135rocblas_gemm_batched_general_kernelIiLi16ELi16ELi32ELi32ELi8ELi32ELi8ELi8ELi32ELc84ELc84EKPKaKPKiKPiEEvlllT_PT11_llSB_llS9_PT12_llPT13_lli
; %bb.0:
	s_clause 0x1
	s_load_dwordx8 s[12:19], s[4:5], 0x58
	s_load_dwordx2 s[34:35], s[4:5], 0x10
	s_mov_b32 s9, 0
	s_load_dwordx4 s[28:31], s[4:5], 0x0
	s_lshl_b64 s[40:41], s[8:9], 3
	s_load_dwordx4 s[8:11], s[4:5], 0x78
	s_mov_b32 s0, s7
	v_mov_b32_e32 v10, 0
	v_mov_b32_e32 v9, 0
	;; [unrolled: 1-line block ×4, first 2 shown]
	s_waitcnt lgkmcnt(0)
	s_add_u32 s2, s12, s40
	s_addc_u32 s3, s13, s41
	s_add_u32 s12, s18, s40
	s_addc_u32 s13, s19, s41
	s_load_dwordx2 s[2:3], s[2:3], 0x0
	s_load_dwordx2 s[12:13], s[12:13], 0x0
	v_cmp_lt_i64_e64 s18, s[34:35], 1
	s_ashr_i32 s7, s6, 31
	s_ashr_i32 s1, s0, 31
	s_lshl_b64 s[6:7], s[6:7], 5
	s_and_b32 vcc_lo, exec_lo, s18
	s_lshl_b64 s[18:19], s[0:1], 5
	s_cbranch_vccnz .LBB216_7
; %bb.1:
	s_clause 0x1
	s_load_dwordx8 s[20:27], s[4:5], 0x20
	s_load_dwordx4 s[36:39], s[4:5], 0x40
	v_lshl_add_u32 v2, v1, 4, v0
	v_mov_b32_e32 v3, s7
	v_and_b32_e32 v4, 7, v0
	v_mov_b32_e32 v7, 0
	v_and_b32_e32 v10, 31, v2
	v_lshrrev_b32_e32 v11, 3, v2
	v_lshrrev_b32_e32 v5, 5, v2
	v_lshlrev_b32_e32 v12, 2, v4
	v_or_b32_e32 v2, s6, v10
	v_add_co_u32 v8, s0, v11, s18
	v_add_co_ci_u32_e64 v9, null, 0, s19, s0
	v_cmp_gt_i64_e64 s0, s[28:29], v[2:3]
	v_lshlrev_b32_e32 v6, 2, v10
	s_waitcnt lgkmcnt(0)
	s_add_u32 s26, s26, s40
	s_addc_u32 s27, s27, s41
	s_add_u32 s20, s20, s40
	s_addc_u32 s21, s21, s41
	v_add_co_u32 v2, s1, s38, v11
	s_load_dwordx2 s[26:27], s[26:27], 0x0
	s_load_dwordx2 s[20:21], s[20:21], 0x0
	v_add_co_ci_u32_e64 v3, null, s39, 0, s1
	v_cmp_gt_i64_e64 s1, s[30:31], v[8:9]
	v_add_co_u32 v8, s24, s24, v5
	v_add_co_ci_u32_e64 v9, null, s25, 0, s24
	v_add_co_u32 v10, s24, s6, v10
	v_mad_u64_u32 v[2:3], null, s36, v4, v[2:3]
	v_add_co_ci_u32_e64 v13, null, s7, 0, s24
	v_mad_u64_u32 v[8:9], null, s22, v10, v[8:9]
	v_mul_lo_u32 v10, s23, v10
	v_mul_lo_u32 v16, s22, v13
	v_mad_u64_u32 v[14:15], null, s37, v4, v[3:4]
	s_waitcnt lgkmcnt(0)
	s_add_u32 s22, s26, s18
	v_lshl_or_b32 v11, v11, 5, v12
	s_addc_u32 s23, s27, s19
	v_add_co_u32 v2, vcc_lo, s22, v2
	v_add3_u32 v9, v10, v9, v16
	v_add_co_ci_u32_e64 v3, null, s23, v14, vcc_lo
	v_add_co_u32 v14, vcc_lo, s20, v8
	v_lshl_or_b32 v6, v5, 7, v6
	v_add_nc_u32_e32 v11, 0x400, v11
	v_lshlrev_b32_e32 v12, 2, v0
	v_lshl_add_u32 v13, v1, 5, 0x400
	v_add_co_ci_u32_e64 v15, null, s21, v9, vcc_lo
	v_mov_b32_e32 v8, 0
	v_mov_b32_e32 v9, 0
	;; [unrolled: 1-line block ×3, first 2 shown]
	s_lshl_b64 s[20:21], s[36:37], 3
	s_mov_b64 s[22:23], 0
	s_branch .LBB216_3
.LBB216_2:                              ;   in Loop: Header=BB216_3 Depth=1
	s_or_b32 exec_lo, exec_lo, s24
	s_waitcnt vmcnt(0) lgkmcnt(0)
	ds_write_b32 v11, v17
	s_waitcnt lgkmcnt(0)
	s_barrier
	buffer_gl0_inv
	ds_read_b128 v[16:19], v13
	ds_read2_b32 v[32:33], v12 offset1:16
	ds_read_b128 v[20:23], v13 offset:512
	ds_read2_b32 v[34:35], v12 offset0:32 offset1:48
	ds_read2_b32 v[36:37], v12 offset0:64 offset1:80
	;; [unrolled: 1-line block ×3, first 2 shown]
	ds_read_b128 v[24:27], v13 offset:16
	ds_read2_b32 v[40:41], v12 offset0:128 offset1:144
	ds_read_b128 v[28:31], v13 offset:528
	ds_read2_b32 v[42:43], v12 offset0:160 offset1:176
	s_add_u32 s22, s22, 8
	s_addc_u32 s23, s23, 0
	v_add_co_u32 v2, vcc_lo, v2, s20
	v_cmp_lt_i64_e64 s24, s[22:23], s[34:35]
	v_add_co_ci_u32_e64 v3, null, s21, v3, vcc_lo
	s_and_b32 vcc_lo, exec_lo, s24
	s_waitcnt lgkmcnt(8)
	v_mul_lo_u32 v44, v16, v32
	v_mul_lo_u32 v16, v16, v33
	s_waitcnt lgkmcnt(7)
	v_mul_lo_u32 v32, v20, v32
	v_mul_lo_u32 v20, v20, v33
	;; [unrolled: 3-line block ×3, first 2 shown]
	v_mul_lo_u32 v34, v21, v34
	v_mul_lo_u32 v21, v21, v35
	s_waitcnt lgkmcnt(5)
	v_mul_lo_u32 v35, v18, v36
	v_mul_lo_u32 v18, v18, v37
	;; [unrolled: 1-line block ×4, first 2 shown]
	v_add3_u32 v33, v10, v44, v33
	v_add3_u32 v44, v9, v16, v17
	ds_read2_b32 v[9:10], v12 offset0:192 offset1:208
	ds_read2_b32 v[16:17], v12 offset0:224 offset1:240
	s_waitcnt lgkmcnt(6)
	v_mul_lo_u32 v37, v19, v38
	v_mul_lo_u32 v19, v19, v39
	;; [unrolled: 1-line block ×4, first 2 shown]
	v_add3_u32 v7, v7, v20, v21
	s_waitcnt lgkmcnt(4)
	v_mul_lo_u32 v20, v24, v40
	s_waitcnt lgkmcnt(2)
	v_mul_lo_u32 v21, v25, v42
	v_add3_u32 v8, v8, v32, v34
	v_add3_u32 v32, v33, v35, v37
	;; [unrolled: 1-line block ×3, first 2 shown]
	v_mul_lo_u32 v19, v24, v41
	v_add3_u32 v7, v7, v22, v23
	v_mul_lo_u32 v22, v28, v40
	v_mul_lo_u32 v23, v28, v41
	v_add3_u32 v20, v32, v20, v21
	v_mul_lo_u32 v21, v25, v43
	v_mul_lo_u32 v24, v29, v42
	v_mul_lo_u32 v25, v29, v43
	v_add3_u32 v8, v8, v36, v38
	s_waitcnt lgkmcnt(1)
	v_mul_lo_u32 v28, v26, v9
	v_mul_lo_u32 v26, v26, v10
	v_mul_lo_u32 v29, v30, v9
	v_mul_lo_u32 v30, v30, v10
	s_waitcnt lgkmcnt(0)
	v_mul_lo_u32 v9, v27, v16
	v_mul_lo_u32 v27, v27, v17
	;; [unrolled: 1-line block ×4, first 2 shown]
	v_add3_u32 v18, v18, v19, v21
	v_add3_u32 v8, v8, v22, v24
	;; [unrolled: 1-line block ×7, first 2 shown]
	s_barrier
	buffer_gl0_inv
	s_cbranch_vccz .LBB216_7
.LBB216_3:                              ; =>This Inner Loop Header: Depth=1
	v_add_co_u32 v16, s24, v5, s22
	v_add_co_ci_u32_e64 v17, null, 0, s23, s24
	v_cmp_gt_i64_e32 vcc_lo, s[34:35], v[16:17]
	v_mov_b32_e32 v16, 0
	s_and_b32 s25, s0, vcc_lo
	s_and_saveexec_b32 s24, s25
	s_cbranch_execz .LBB216_5
; %bb.4:                                ;   in Loop: Header=BB216_3 Depth=1
	v_add_co_u32 v16, vcc_lo, v14, s22
	v_add_co_ci_u32_e64 v17, null, s23, v15, vcc_lo
	flat_load_sbyte v16, v[16:17]
.LBB216_5:                              ;   in Loop: Header=BB216_3 Depth=1
	s_or_b32 exec_lo, exec_lo, s24
	v_add_co_u32 v17, s24, v4, s22
	v_add_co_ci_u32_e64 v18, null, 0, s23, s24
	s_waitcnt vmcnt(0) lgkmcnt(0)
	ds_write_b32 v6, v16
	v_cmp_gt_i64_e32 vcc_lo, s[34:35], v[17:18]
	v_mov_b32_e32 v17, 0
	s_and_b32 s25, vcc_lo, s1
	s_and_saveexec_b32 s24, s25
	s_cbranch_execz .LBB216_2
; %bb.6:                                ;   in Loop: Header=BB216_3 Depth=1
	flat_load_sbyte v17, v[2:3]
	s_branch .LBB216_2
.LBB216_7:
	s_clause 0x1
	s_load_dword s20, s[4:5], 0x50
	s_load_dword s4, s[4:5], 0x18
	v_add_co_u32 v1, s0, s18, v1
	v_add_co_ci_u32_e64 v2, null, s19, 0, s0
	s_lshl_b64 s[10:11], s[10:11], 2
	s_waitcnt lgkmcnt(0)
	s_add_u32 s5, s12, s10
	v_cmp_gt_i64_e64 s0, s[30:31], v[1:2]
	s_addc_u32 s10, s13, s11
	s_cmp_eq_u32 s20, 0
	s_cbranch_scc1 .LBB216_20
; %bb.8:
	s_and_saveexec_b32 s11, s0
	s_cbranch_execz .LBB216_18
; %bb.9:
	v_mul_lo_u32 v5, v2, s14
	v_mul_lo_u32 v6, v1, s15
	v_mad_u64_u32 v[3:4], null, v1, s14, 0
	v_mul_lo_u32 v13, v2, s8
	v_mul_lo_u32 v14, v1, s9
	v_mad_u64_u32 v[11:12], null, v1, s8, 0
	s_lshl_b64 s[12:13], s[16:17], 2
	v_add3_u32 v4, v4, v6, v5
	v_add_co_u32 v5, s1, s6, v0
	v_add_co_ci_u32_e64 v6, null, s7, 0, s1
	v_add3_u32 v12, v12, v14, v13
	v_lshlrev_b64 v[3:4], 2, v[3:4]
	s_add_u32 s1, s2, s12
	s_addc_u32 s2, s3, s13
	v_cmp_gt_i64_e32 vcc_lo, s[28:29], v[5:6]
	v_lshlrev_b64 v[13:14], 2, v[11:12]
	v_add_co_u32 v11, s1, s1, v3
	v_add_co_ci_u32_e64 v12, null, s2, v4, s1
	v_add_co_u32 v13, s1, s5, v13
	v_lshlrev_b64 v[3:4], 2, v[5:6]
	v_add_co_ci_u32_e64 v14, null, s10, v14, s1
	s_and_saveexec_b32 s2, vcc_lo
	s_cbranch_execz .LBB216_11
; %bb.10:
	v_add_co_u32 v15, s1, v11, v3
	v_add_co_ci_u32_e64 v16, null, v12, v4, s1
	flat_load_dword v16, v[15:16]
	v_mul_lo_u32 v15, v10, s4
	s_waitcnt vmcnt(0) lgkmcnt(0)
	v_mad_u64_u32 v[15:16], null, v16, s20, v[15:16]
	v_add_co_u32 v16, s1, v13, v3
	v_add_co_ci_u32_e64 v17, null, v14, v4, s1
	flat_store_dword v[16:17], v15
.LBB216_11:
	s_or_b32 exec_lo, exec_lo, s2
	v_add_co_u32 v5, s1, v5, 16
	v_add_co_ci_u32_e64 v6, null, 0, v6, s1
	v_cmp_gt_i64_e64 s1, s[28:29], v[5:6]
	s_and_saveexec_b32 s3, s1
	s_cbranch_execz .LBB216_13
; %bb.12:
	v_add_co_u32 v5, s2, v11, v3
	v_add_co_ci_u32_e64 v6, null, v12, v4, s2
	v_add_co_u32 v15, s2, v13, v3
	v_add_co_ci_u32_e64 v16, null, v14, v4, s2
	flat_load_dword v6, v[5:6] offset:64
	v_mul_lo_u32 v5, v9, s4
	s_waitcnt vmcnt(0) lgkmcnt(0)
	v_mad_u64_u32 v[5:6], null, v6, s20, v[5:6]
	flat_store_dword v[15:16], v5 offset:64
.LBB216_13:
	s_or_b32 exec_lo, exec_lo, s3
	v_add_co_u32 v5, s2, v1, 16
	v_add_co_ci_u32_e64 v6, null, 0, v2, s2
	v_cmp_gt_i64_e64 s2, s[30:31], v[5:6]
	s_and_b32 exec_lo, exec_lo, s2
	s_cbranch_execz .LBB216_18
; %bb.14:
	s_lshl_b64 s[2:3], s[14:15], 6
	v_add_co_u32 v5, s2, v11, s2
	v_add_co_ci_u32_e64 v6, null, s3, v12, s2
	s_lshl_b64 s[2:3], s[8:9], 6
	v_add_co_u32 v11, s2, v13, s2
	v_add_co_ci_u32_e64 v12, null, s3, v14, s2
	v_add_co_u32 v5, s2, v5, v3
	v_add_co_ci_u32_e64 v6, null, v6, v4, s2
	;; [unrolled: 2-line block ×3, first 2 shown]
	s_and_saveexec_b32 s2, vcc_lo
	s_cbranch_execz .LBB216_16
; %bb.15:
	flat_load_dword v12, v[5:6]
	v_mul_lo_u32 v11, v8, s4
	s_waitcnt vmcnt(0) lgkmcnt(0)
	v_mad_u64_u32 v[11:12], null, v12, s20, v[11:12]
	flat_store_dword v[3:4], v11
.LBB216_16:
	s_or_b32 exec_lo, exec_lo, s2
	s_and_b32 exec_lo, exec_lo, s1
	s_cbranch_execz .LBB216_18
; %bb.17:
	flat_load_dword v6, v[5:6] offset:64
	v_mul_lo_u32 v5, v7, s4
	s_waitcnt vmcnt(0) lgkmcnt(0)
	v_mad_u64_u32 v[5:6], null, v6, s20, v[5:6]
	flat_store_dword v[3:4], v5 offset:64
.LBB216_18:
	s_or_b32 exec_lo, exec_lo, s11
	s_cbranch_execz .LBB216_21
.LBB216_19:
	s_endpgm
.LBB216_20:
.LBB216_21:
	s_and_saveexec_b32 s1, s0
	s_cbranch_execz .LBB216_19
; %bb.22:
	v_mul_lo_u32 v5, v2, s8
	v_mul_lo_u32 v6, v1, s9
	v_mad_u64_u32 v[3:4], null, v1, s8, 0
	v_add3_u32 v4, v4, v6, v5
	v_add_co_u32 v5, s0, s6, v0
	v_add_co_ci_u32_e64 v6, null, s7, 0, s0
	v_lshlrev_b64 v[11:12], 2, v[3:4]
	v_cmp_gt_i64_e32 vcc_lo, s[28:29], v[5:6]
	v_lshlrev_b64 v[3:4], 2, v[5:6]
	v_add_co_u32 v0, s0, s5, v11
	v_add_co_ci_u32_e64 v11, null, s10, v12, s0
	s_and_saveexec_b32 s1, vcc_lo
	s_cbranch_execz .LBB216_24
; %bb.23:
	v_mul_lo_u32 v10, v10, s4
	v_add_co_u32 v12, s0, v0, v3
	v_add_co_ci_u32_e64 v13, null, v11, v4, s0
	flat_store_dword v[12:13], v10
.LBB216_24:
	s_or_b32 exec_lo, exec_lo, s1
	v_add_co_u32 v5, s0, v5, 16
	v_add_co_ci_u32_e64 v6, null, 0, v6, s0
	v_cmp_gt_i64_e64 s0, s[28:29], v[5:6]
	s_and_saveexec_b32 s2, s0
	s_cbranch_execz .LBB216_26
; %bb.25:
	v_mul_lo_u32 v9, v9, s4
	v_add_co_u32 v5, s1, v0, v3
	v_add_co_ci_u32_e64 v6, null, v11, v4, s1
	flat_store_dword v[5:6], v9 offset:64
.LBB216_26:
	s_or_b32 exec_lo, exec_lo, s2
	v_add_co_u32 v1, s1, v1, 16
	v_add_co_ci_u32_e64 v2, null, 0, v2, s1
	v_cmp_gt_i64_e64 s1, s[30:31], v[1:2]
	s_and_b32 exec_lo, exec_lo, s1
	s_cbranch_execz .LBB216_19
; %bb.27:
	s_lshl_b64 s[2:3], s[8:9], 6
	v_add_co_u32 v0, s1, v0, s2
	v_add_co_ci_u32_e64 v1, null, s3, v11, s1
	v_add_co_u32 v0, s1, v0, v3
	v_add_co_ci_u32_e64 v1, null, v1, v4, s1
	s_and_saveexec_b32 s1, vcc_lo
	s_cbranch_execz .LBB216_29
; %bb.28:
	v_mul_lo_u32 v2, v8, s4
	flat_store_dword v[0:1], v2
.LBB216_29:
	s_or_b32 exec_lo, exec_lo, s1
	s_and_b32 exec_lo, exec_lo, s0
	s_cbranch_execz .LBB216_19
; %bb.30:
	v_mul_lo_u32 v2, v7, s4
	flat_store_dword v[0:1], v2 offset:64
	s_endpgm
	.section	.rodata,"a",@progbits
	.p2align	6, 0x0
	.amdhsa_kernel _ZN12_GLOBAL__N_135rocblas_gemm_batched_general_kernelIiLi16ELi16ELi32ELi32ELi8ELi32ELi8ELi8ELi32ELc84ELc84EKPKaKPKiKPiEEvlllT_PT11_llSB_llS9_PT12_llPT13_lli
		.amdhsa_group_segment_fixed_size 2048
		.amdhsa_private_segment_fixed_size 0
		.amdhsa_kernarg_size 140
		.amdhsa_user_sgpr_count 6
		.amdhsa_user_sgpr_private_segment_buffer 1
		.amdhsa_user_sgpr_dispatch_ptr 0
		.amdhsa_user_sgpr_queue_ptr 0
		.amdhsa_user_sgpr_kernarg_segment_ptr 1
		.amdhsa_user_sgpr_dispatch_id 0
		.amdhsa_user_sgpr_flat_scratch_init 0
		.amdhsa_user_sgpr_private_segment_size 0
		.amdhsa_wavefront_size32 1
		.amdhsa_uses_dynamic_stack 0
		.amdhsa_system_sgpr_private_segment_wavefront_offset 0
		.amdhsa_system_sgpr_workgroup_id_x 1
		.amdhsa_system_sgpr_workgroup_id_y 1
		.amdhsa_system_sgpr_workgroup_id_z 1
		.amdhsa_system_sgpr_workgroup_info 0
		.amdhsa_system_vgpr_workitem_id 1
		.amdhsa_next_free_vgpr 45
		.amdhsa_next_free_sgpr 42
		.amdhsa_reserve_vcc 1
		.amdhsa_reserve_flat_scratch 0
		.amdhsa_float_round_mode_32 0
		.amdhsa_float_round_mode_16_64 0
		.amdhsa_float_denorm_mode_32 3
		.amdhsa_float_denorm_mode_16_64 3
		.amdhsa_dx10_clamp 1
		.amdhsa_ieee_mode 1
		.amdhsa_fp16_overflow 0
		.amdhsa_workgroup_processor_mode 1
		.amdhsa_memory_ordered 1
		.amdhsa_forward_progress 1
		.amdhsa_shared_vgpr_count 0
		.amdhsa_exception_fp_ieee_invalid_op 0
		.amdhsa_exception_fp_denorm_src 0
		.amdhsa_exception_fp_ieee_div_zero 0
		.amdhsa_exception_fp_ieee_overflow 0
		.amdhsa_exception_fp_ieee_underflow 0
		.amdhsa_exception_fp_ieee_inexact 0
		.amdhsa_exception_int_div_zero 0
	.end_amdhsa_kernel
	.section	.text._ZN12_GLOBAL__N_135rocblas_gemm_batched_general_kernelIiLi16ELi16ELi32ELi32ELi8ELi32ELi8ELi8ELi32ELc84ELc84EKPKaKPKiKPiEEvlllT_PT11_llSB_llS9_PT12_llPT13_lli,"axG",@progbits,_ZN12_GLOBAL__N_135rocblas_gemm_batched_general_kernelIiLi16ELi16ELi32ELi32ELi8ELi32ELi8ELi8ELi32ELc84ELc84EKPKaKPKiKPiEEvlllT_PT11_llSB_llS9_PT12_llPT13_lli,comdat
.Lfunc_end216:
	.size	_ZN12_GLOBAL__N_135rocblas_gemm_batched_general_kernelIiLi16ELi16ELi32ELi32ELi8ELi32ELi8ELi8ELi32ELc84ELc84EKPKaKPKiKPiEEvlllT_PT11_llSB_llS9_PT12_llPT13_lli, .Lfunc_end216-_ZN12_GLOBAL__N_135rocblas_gemm_batched_general_kernelIiLi16ELi16ELi32ELi32ELi8ELi32ELi8ELi8ELi32ELc84ELc84EKPKaKPKiKPiEEvlllT_PT11_llSB_llS9_PT12_llPT13_lli
                                        ; -- End function
	.set _ZN12_GLOBAL__N_135rocblas_gemm_batched_general_kernelIiLi16ELi16ELi32ELi32ELi8ELi32ELi8ELi8ELi32ELc84ELc84EKPKaKPKiKPiEEvlllT_PT11_llSB_llS9_PT12_llPT13_lli.num_vgpr, 45
	.set _ZN12_GLOBAL__N_135rocblas_gemm_batched_general_kernelIiLi16ELi16ELi32ELi32ELi8ELi32ELi8ELi8ELi32ELc84ELc84EKPKaKPKiKPiEEvlllT_PT11_llSB_llS9_PT12_llPT13_lli.num_agpr, 0
	.set _ZN12_GLOBAL__N_135rocblas_gemm_batched_general_kernelIiLi16ELi16ELi32ELi32ELi8ELi32ELi8ELi8ELi32ELc84ELc84EKPKaKPKiKPiEEvlllT_PT11_llSB_llS9_PT12_llPT13_lli.numbered_sgpr, 42
	.set _ZN12_GLOBAL__N_135rocblas_gemm_batched_general_kernelIiLi16ELi16ELi32ELi32ELi8ELi32ELi8ELi8ELi32ELc84ELc84EKPKaKPKiKPiEEvlllT_PT11_llSB_llS9_PT12_llPT13_lli.num_named_barrier, 0
	.set _ZN12_GLOBAL__N_135rocblas_gemm_batched_general_kernelIiLi16ELi16ELi32ELi32ELi8ELi32ELi8ELi8ELi32ELc84ELc84EKPKaKPKiKPiEEvlllT_PT11_llSB_llS9_PT12_llPT13_lli.private_seg_size, 0
	.set _ZN12_GLOBAL__N_135rocblas_gemm_batched_general_kernelIiLi16ELi16ELi32ELi32ELi8ELi32ELi8ELi8ELi32ELc84ELc84EKPKaKPKiKPiEEvlllT_PT11_llSB_llS9_PT12_llPT13_lli.uses_vcc, 1
	.set _ZN12_GLOBAL__N_135rocblas_gemm_batched_general_kernelIiLi16ELi16ELi32ELi32ELi8ELi32ELi8ELi8ELi32ELc84ELc84EKPKaKPKiKPiEEvlllT_PT11_llSB_llS9_PT12_llPT13_lli.uses_flat_scratch, 0
	.set _ZN12_GLOBAL__N_135rocblas_gemm_batched_general_kernelIiLi16ELi16ELi32ELi32ELi8ELi32ELi8ELi8ELi32ELc84ELc84EKPKaKPKiKPiEEvlllT_PT11_llSB_llS9_PT12_llPT13_lli.has_dyn_sized_stack, 0
	.set _ZN12_GLOBAL__N_135rocblas_gemm_batched_general_kernelIiLi16ELi16ELi32ELi32ELi8ELi32ELi8ELi8ELi32ELc84ELc84EKPKaKPKiKPiEEvlllT_PT11_llSB_llS9_PT12_llPT13_lli.has_recursion, 0
	.set _ZN12_GLOBAL__N_135rocblas_gemm_batched_general_kernelIiLi16ELi16ELi32ELi32ELi8ELi32ELi8ELi8ELi32ELc84ELc84EKPKaKPKiKPiEEvlllT_PT11_llSB_llS9_PT12_llPT13_lli.has_indirect_call, 0
	.section	.AMDGPU.csdata,"",@progbits
; Kernel info:
; codeLenInByte = 2140
; TotalNumSgprs: 44
; NumVgprs: 45
; ScratchSize: 0
; MemoryBound: 0
; FloatMode: 240
; IeeeMode: 1
; LDSByteSize: 2048 bytes/workgroup (compile time only)
; SGPRBlocks: 0
; VGPRBlocks: 5
; NumSGPRsForWavesPerEU: 44
; NumVGPRsForWavesPerEU: 45
; Occupancy: 16
; WaveLimiterHint : 1
; COMPUTE_PGM_RSRC2:SCRATCH_EN: 0
; COMPUTE_PGM_RSRC2:USER_SGPR: 6
; COMPUTE_PGM_RSRC2:TRAP_HANDLER: 0
; COMPUTE_PGM_RSRC2:TGID_X_EN: 1
; COMPUTE_PGM_RSRC2:TGID_Y_EN: 1
; COMPUTE_PGM_RSRC2:TGID_Z_EN: 1
; COMPUTE_PGM_RSRC2:TIDIG_COMP_CNT: 1
	.section	.text._ZN12_GLOBAL__N_135rocblas_gemm_batched_general_kernelIiLi16ELi16ELi32ELi32ELi8ELi32ELi8ELi8ELi32ELc67ELc67EKPKaKPKiKPiEEvlllT_PT11_llSB_llS9_PT12_llPT13_lli,"axG",@progbits,_ZN12_GLOBAL__N_135rocblas_gemm_batched_general_kernelIiLi16ELi16ELi32ELi32ELi8ELi32ELi8ELi8ELi32ELc67ELc67EKPKaKPKiKPiEEvlllT_PT11_llSB_llS9_PT12_llPT13_lli,comdat
	.globl	_ZN12_GLOBAL__N_135rocblas_gemm_batched_general_kernelIiLi16ELi16ELi32ELi32ELi8ELi32ELi8ELi8ELi32ELc67ELc67EKPKaKPKiKPiEEvlllT_PT11_llSB_llS9_PT12_llPT13_lli ; -- Begin function _ZN12_GLOBAL__N_135rocblas_gemm_batched_general_kernelIiLi16ELi16ELi32ELi32ELi8ELi32ELi8ELi8ELi32ELc67ELc67EKPKaKPKiKPiEEvlllT_PT11_llSB_llS9_PT12_llPT13_lli
	.p2align	8
	.type	_ZN12_GLOBAL__N_135rocblas_gemm_batched_general_kernelIiLi16ELi16ELi32ELi32ELi8ELi32ELi8ELi8ELi32ELc67ELc67EKPKaKPKiKPiEEvlllT_PT11_llSB_llS9_PT12_llPT13_lli,@function
_ZN12_GLOBAL__N_135rocblas_gemm_batched_general_kernelIiLi16ELi16ELi32ELi32ELi8ELi32ELi8ELi8ELi32ELc67ELc67EKPKaKPKiKPiEEvlllT_PT11_llSB_llS9_PT12_llPT13_lli: ; @_ZN12_GLOBAL__N_135rocblas_gemm_batched_general_kernelIiLi16ELi16ELi32ELi32ELi8ELi32ELi8ELi8ELi32ELc67ELc67EKPKaKPKiKPiEEvlllT_PT11_llSB_llS9_PT12_llPT13_lli
; %bb.0:
	s_clause 0x1
	s_load_dwordx8 s[12:19], s[4:5], 0x58
	s_load_dwordx2 s[34:35], s[4:5], 0x10
	s_mov_b32 s9, 0
	s_load_dwordx4 s[28:31], s[4:5], 0x0
	s_lshl_b64 s[40:41], s[8:9], 3
	s_load_dwordx4 s[8:11], s[4:5], 0x78
	s_mov_b32 s0, s7
	v_mov_b32_e32 v10, 0
	v_mov_b32_e32 v9, 0
	;; [unrolled: 1-line block ×4, first 2 shown]
	s_waitcnt lgkmcnt(0)
	s_add_u32 s2, s12, s40
	s_addc_u32 s3, s13, s41
	s_add_u32 s12, s18, s40
	s_addc_u32 s13, s19, s41
	s_load_dwordx2 s[2:3], s[2:3], 0x0
	s_load_dwordx2 s[12:13], s[12:13], 0x0
	v_cmp_lt_i64_e64 s18, s[34:35], 1
	s_ashr_i32 s7, s6, 31
	s_ashr_i32 s1, s0, 31
	s_lshl_b64 s[6:7], s[6:7], 5
	s_and_b32 vcc_lo, exec_lo, s18
	s_lshl_b64 s[18:19], s[0:1], 5
	s_cbranch_vccnz .LBB217_7
; %bb.1:
	s_clause 0x1
	s_load_dwordx8 s[20:27], s[4:5], 0x20
	s_load_dwordx4 s[36:39], s[4:5], 0x40
	v_lshl_add_u32 v2, v1, 4, v0
	v_mov_b32_e32 v3, s7
	v_and_b32_e32 v4, 7, v0
	v_mov_b32_e32 v7, 0
	v_and_b32_e32 v10, 31, v2
	v_lshrrev_b32_e32 v11, 3, v2
	v_lshrrev_b32_e32 v5, 5, v2
	v_lshlrev_b32_e32 v12, 2, v4
	v_or_b32_e32 v2, s6, v10
	v_add_co_u32 v8, s0, v11, s18
	v_add_co_ci_u32_e64 v9, null, 0, s19, s0
	v_cmp_gt_i64_e64 s0, s[28:29], v[2:3]
	v_lshlrev_b32_e32 v6, 2, v10
	s_waitcnt lgkmcnt(0)
	s_add_u32 s26, s26, s40
	s_addc_u32 s27, s27, s41
	s_add_u32 s20, s20, s40
	s_addc_u32 s21, s21, s41
	v_add_co_u32 v2, s1, s38, v11
	s_load_dwordx2 s[26:27], s[26:27], 0x0
	s_load_dwordx2 s[20:21], s[20:21], 0x0
	v_add_co_ci_u32_e64 v3, null, s39, 0, s1
	v_cmp_gt_i64_e64 s1, s[30:31], v[8:9]
	v_add_co_u32 v8, s24, s24, v5
	v_add_co_ci_u32_e64 v9, null, s25, 0, s24
	v_add_co_u32 v10, s24, s6, v10
	v_mad_u64_u32 v[2:3], null, s36, v4, v[2:3]
	v_add_co_ci_u32_e64 v13, null, s7, 0, s24
	v_mad_u64_u32 v[8:9], null, s22, v10, v[8:9]
	v_mul_lo_u32 v10, s23, v10
	v_mul_lo_u32 v16, s22, v13
	v_mad_u64_u32 v[14:15], null, s37, v4, v[3:4]
	s_waitcnt lgkmcnt(0)
	s_add_u32 s22, s26, s18
	v_lshl_or_b32 v11, v11, 5, v12
	s_addc_u32 s23, s27, s19
	v_add_co_u32 v2, vcc_lo, s22, v2
	v_add3_u32 v9, v10, v9, v16
	v_add_co_ci_u32_e64 v3, null, s23, v14, vcc_lo
	v_add_co_u32 v14, vcc_lo, s20, v8
	v_lshl_or_b32 v6, v5, 7, v6
	v_add_nc_u32_e32 v11, 0x400, v11
	v_lshlrev_b32_e32 v12, 2, v0
	v_lshl_add_u32 v13, v1, 5, 0x400
	v_add_co_ci_u32_e64 v15, null, s21, v9, vcc_lo
	v_mov_b32_e32 v8, 0
	v_mov_b32_e32 v9, 0
	;; [unrolled: 1-line block ×3, first 2 shown]
	s_lshl_b64 s[20:21], s[36:37], 3
	s_mov_b64 s[22:23], 0
	s_branch .LBB217_3
.LBB217_2:                              ;   in Loop: Header=BB217_3 Depth=1
	s_or_b32 exec_lo, exec_lo, s24
	s_waitcnt vmcnt(0) lgkmcnt(0)
	ds_write_b32 v11, v17
	s_waitcnt lgkmcnt(0)
	s_barrier
	buffer_gl0_inv
	ds_read_b128 v[16:19], v13
	ds_read2_b32 v[32:33], v12 offset1:16
	ds_read_b128 v[20:23], v13 offset:512
	ds_read2_b32 v[34:35], v12 offset0:32 offset1:48
	ds_read2_b32 v[36:37], v12 offset0:64 offset1:80
	;; [unrolled: 1-line block ×3, first 2 shown]
	ds_read_b128 v[24:27], v13 offset:16
	ds_read2_b32 v[40:41], v12 offset0:128 offset1:144
	ds_read_b128 v[28:31], v13 offset:528
	ds_read2_b32 v[42:43], v12 offset0:160 offset1:176
	s_add_u32 s22, s22, 8
	s_addc_u32 s23, s23, 0
	v_add_co_u32 v2, vcc_lo, v2, s20
	v_cmp_lt_i64_e64 s24, s[22:23], s[34:35]
	v_add_co_ci_u32_e64 v3, null, s21, v3, vcc_lo
	s_and_b32 vcc_lo, exec_lo, s24
	s_waitcnt lgkmcnt(8)
	v_mul_lo_u32 v44, v16, v32
	v_mul_lo_u32 v16, v16, v33
	s_waitcnt lgkmcnt(7)
	v_mul_lo_u32 v32, v20, v32
	v_mul_lo_u32 v20, v20, v33
	;; [unrolled: 3-line block ×3, first 2 shown]
	v_mul_lo_u32 v34, v21, v34
	v_mul_lo_u32 v21, v21, v35
	s_waitcnt lgkmcnt(5)
	v_mul_lo_u32 v35, v18, v36
	v_mul_lo_u32 v18, v18, v37
	;; [unrolled: 1-line block ×4, first 2 shown]
	v_add3_u32 v33, v10, v44, v33
	v_add3_u32 v44, v9, v16, v17
	ds_read2_b32 v[9:10], v12 offset0:192 offset1:208
	ds_read2_b32 v[16:17], v12 offset0:224 offset1:240
	s_waitcnt lgkmcnt(6)
	v_mul_lo_u32 v37, v19, v38
	v_mul_lo_u32 v19, v19, v39
	;; [unrolled: 1-line block ×4, first 2 shown]
	v_add3_u32 v7, v7, v20, v21
	s_waitcnt lgkmcnt(4)
	v_mul_lo_u32 v20, v24, v40
	s_waitcnt lgkmcnt(2)
	v_mul_lo_u32 v21, v25, v42
	v_add3_u32 v8, v8, v32, v34
	v_add3_u32 v32, v33, v35, v37
	;; [unrolled: 1-line block ×3, first 2 shown]
	v_mul_lo_u32 v19, v24, v41
	v_add3_u32 v7, v7, v22, v23
	v_mul_lo_u32 v22, v28, v40
	v_mul_lo_u32 v23, v28, v41
	v_add3_u32 v20, v32, v20, v21
	v_mul_lo_u32 v21, v25, v43
	v_mul_lo_u32 v24, v29, v42
	;; [unrolled: 1-line block ×3, first 2 shown]
	v_add3_u32 v8, v8, v36, v38
	s_waitcnt lgkmcnt(1)
	v_mul_lo_u32 v28, v26, v9
	v_mul_lo_u32 v26, v26, v10
	;; [unrolled: 1-line block ×4, first 2 shown]
	s_waitcnt lgkmcnt(0)
	v_mul_lo_u32 v9, v27, v16
	v_mul_lo_u32 v27, v27, v17
	;; [unrolled: 1-line block ×4, first 2 shown]
	v_add3_u32 v18, v18, v19, v21
	v_add3_u32 v8, v8, v22, v24
	;; [unrolled: 1-line block ×7, first 2 shown]
	s_barrier
	buffer_gl0_inv
	s_cbranch_vccz .LBB217_7
.LBB217_3:                              ; =>This Inner Loop Header: Depth=1
	v_add_co_u32 v16, s24, v5, s22
	v_add_co_ci_u32_e64 v17, null, 0, s23, s24
	v_cmp_gt_i64_e32 vcc_lo, s[34:35], v[16:17]
	v_mov_b32_e32 v16, 0
	s_and_b32 s25, s0, vcc_lo
	s_and_saveexec_b32 s24, s25
	s_cbranch_execz .LBB217_5
; %bb.4:                                ;   in Loop: Header=BB217_3 Depth=1
	v_add_co_u32 v16, vcc_lo, v14, s22
	v_add_co_ci_u32_e64 v17, null, s23, v15, vcc_lo
	flat_load_sbyte v16, v[16:17]
.LBB217_5:                              ;   in Loop: Header=BB217_3 Depth=1
	s_or_b32 exec_lo, exec_lo, s24
	v_add_co_u32 v17, s24, v4, s22
	v_add_co_ci_u32_e64 v18, null, 0, s23, s24
	s_waitcnt vmcnt(0) lgkmcnt(0)
	ds_write_b32 v6, v16
	v_cmp_gt_i64_e32 vcc_lo, s[34:35], v[17:18]
	v_mov_b32_e32 v17, 0
	s_and_b32 s25, vcc_lo, s1
	s_and_saveexec_b32 s24, s25
	s_cbranch_execz .LBB217_2
; %bb.6:                                ;   in Loop: Header=BB217_3 Depth=1
	flat_load_sbyte v17, v[2:3]
	s_branch .LBB217_2
.LBB217_7:
	s_clause 0x1
	s_load_dword s20, s[4:5], 0x50
	s_load_dword s4, s[4:5], 0x18
	v_add_co_u32 v1, s0, s18, v1
	v_add_co_ci_u32_e64 v2, null, s19, 0, s0
	s_lshl_b64 s[10:11], s[10:11], 2
	s_waitcnt lgkmcnt(0)
	s_add_u32 s5, s12, s10
	v_cmp_gt_i64_e64 s0, s[30:31], v[1:2]
	s_addc_u32 s10, s13, s11
	s_cmp_eq_u32 s20, 0
	s_cbranch_scc1 .LBB217_20
; %bb.8:
	s_and_saveexec_b32 s11, s0
	s_cbranch_execz .LBB217_18
; %bb.9:
	v_mul_lo_u32 v5, v2, s14
	v_mul_lo_u32 v6, v1, s15
	v_mad_u64_u32 v[3:4], null, v1, s14, 0
	v_mul_lo_u32 v13, v2, s8
	v_mul_lo_u32 v14, v1, s9
	v_mad_u64_u32 v[11:12], null, v1, s8, 0
	s_lshl_b64 s[12:13], s[16:17], 2
	v_add3_u32 v4, v4, v6, v5
	v_add_co_u32 v5, s1, s6, v0
	v_add_co_ci_u32_e64 v6, null, s7, 0, s1
	v_add3_u32 v12, v12, v14, v13
	v_lshlrev_b64 v[3:4], 2, v[3:4]
	s_add_u32 s1, s2, s12
	s_addc_u32 s2, s3, s13
	v_cmp_gt_i64_e32 vcc_lo, s[28:29], v[5:6]
	v_lshlrev_b64 v[13:14], 2, v[11:12]
	v_add_co_u32 v11, s1, s1, v3
	v_add_co_ci_u32_e64 v12, null, s2, v4, s1
	v_add_co_u32 v13, s1, s5, v13
	v_lshlrev_b64 v[3:4], 2, v[5:6]
	v_add_co_ci_u32_e64 v14, null, s10, v14, s1
	s_and_saveexec_b32 s2, vcc_lo
	s_cbranch_execz .LBB217_11
; %bb.10:
	v_add_co_u32 v15, s1, v11, v3
	v_add_co_ci_u32_e64 v16, null, v12, v4, s1
	flat_load_dword v16, v[15:16]
	v_mul_lo_u32 v15, v10, s4
	s_waitcnt vmcnt(0) lgkmcnt(0)
	v_mad_u64_u32 v[15:16], null, v16, s20, v[15:16]
	v_add_co_u32 v16, s1, v13, v3
	v_add_co_ci_u32_e64 v17, null, v14, v4, s1
	flat_store_dword v[16:17], v15
.LBB217_11:
	s_or_b32 exec_lo, exec_lo, s2
	v_add_co_u32 v5, s1, v5, 16
	v_add_co_ci_u32_e64 v6, null, 0, v6, s1
	v_cmp_gt_i64_e64 s1, s[28:29], v[5:6]
	s_and_saveexec_b32 s3, s1
	s_cbranch_execz .LBB217_13
; %bb.12:
	v_add_co_u32 v5, s2, v11, v3
	v_add_co_ci_u32_e64 v6, null, v12, v4, s2
	v_add_co_u32 v15, s2, v13, v3
	v_add_co_ci_u32_e64 v16, null, v14, v4, s2
	flat_load_dword v6, v[5:6] offset:64
	v_mul_lo_u32 v5, v9, s4
	s_waitcnt vmcnt(0) lgkmcnt(0)
	v_mad_u64_u32 v[5:6], null, v6, s20, v[5:6]
	flat_store_dword v[15:16], v5 offset:64
.LBB217_13:
	s_or_b32 exec_lo, exec_lo, s3
	v_add_co_u32 v5, s2, v1, 16
	v_add_co_ci_u32_e64 v6, null, 0, v2, s2
	v_cmp_gt_i64_e64 s2, s[30:31], v[5:6]
	s_and_b32 exec_lo, exec_lo, s2
	s_cbranch_execz .LBB217_18
; %bb.14:
	s_lshl_b64 s[2:3], s[14:15], 6
	v_add_co_u32 v5, s2, v11, s2
	v_add_co_ci_u32_e64 v6, null, s3, v12, s2
	s_lshl_b64 s[2:3], s[8:9], 6
	v_add_co_u32 v11, s2, v13, s2
	v_add_co_ci_u32_e64 v12, null, s3, v14, s2
	v_add_co_u32 v5, s2, v5, v3
	v_add_co_ci_u32_e64 v6, null, v6, v4, s2
	;; [unrolled: 2-line block ×3, first 2 shown]
	s_and_saveexec_b32 s2, vcc_lo
	s_cbranch_execz .LBB217_16
; %bb.15:
	flat_load_dword v12, v[5:6]
	v_mul_lo_u32 v11, v8, s4
	s_waitcnt vmcnt(0) lgkmcnt(0)
	v_mad_u64_u32 v[11:12], null, v12, s20, v[11:12]
	flat_store_dword v[3:4], v11
.LBB217_16:
	s_or_b32 exec_lo, exec_lo, s2
	s_and_b32 exec_lo, exec_lo, s1
	s_cbranch_execz .LBB217_18
; %bb.17:
	flat_load_dword v6, v[5:6] offset:64
	v_mul_lo_u32 v5, v7, s4
	s_waitcnt vmcnt(0) lgkmcnt(0)
	v_mad_u64_u32 v[5:6], null, v6, s20, v[5:6]
	flat_store_dword v[3:4], v5 offset:64
.LBB217_18:
	s_or_b32 exec_lo, exec_lo, s11
	s_cbranch_execz .LBB217_21
.LBB217_19:
	s_endpgm
.LBB217_20:
.LBB217_21:
	s_and_saveexec_b32 s1, s0
	s_cbranch_execz .LBB217_19
; %bb.22:
	v_mul_lo_u32 v5, v2, s8
	v_mul_lo_u32 v6, v1, s9
	v_mad_u64_u32 v[3:4], null, v1, s8, 0
	v_add3_u32 v4, v4, v6, v5
	v_add_co_u32 v5, s0, s6, v0
	v_add_co_ci_u32_e64 v6, null, s7, 0, s0
	v_lshlrev_b64 v[11:12], 2, v[3:4]
	v_cmp_gt_i64_e32 vcc_lo, s[28:29], v[5:6]
	v_lshlrev_b64 v[3:4], 2, v[5:6]
	v_add_co_u32 v0, s0, s5, v11
	v_add_co_ci_u32_e64 v11, null, s10, v12, s0
	s_and_saveexec_b32 s1, vcc_lo
	s_cbranch_execz .LBB217_24
; %bb.23:
	v_mul_lo_u32 v10, v10, s4
	v_add_co_u32 v12, s0, v0, v3
	v_add_co_ci_u32_e64 v13, null, v11, v4, s0
	flat_store_dword v[12:13], v10
.LBB217_24:
	s_or_b32 exec_lo, exec_lo, s1
	v_add_co_u32 v5, s0, v5, 16
	v_add_co_ci_u32_e64 v6, null, 0, v6, s0
	v_cmp_gt_i64_e64 s0, s[28:29], v[5:6]
	s_and_saveexec_b32 s2, s0
	s_cbranch_execz .LBB217_26
; %bb.25:
	v_mul_lo_u32 v9, v9, s4
	v_add_co_u32 v5, s1, v0, v3
	v_add_co_ci_u32_e64 v6, null, v11, v4, s1
	flat_store_dword v[5:6], v9 offset:64
.LBB217_26:
	s_or_b32 exec_lo, exec_lo, s2
	v_add_co_u32 v1, s1, v1, 16
	v_add_co_ci_u32_e64 v2, null, 0, v2, s1
	v_cmp_gt_i64_e64 s1, s[30:31], v[1:2]
	s_and_b32 exec_lo, exec_lo, s1
	s_cbranch_execz .LBB217_19
; %bb.27:
	s_lshl_b64 s[2:3], s[8:9], 6
	v_add_co_u32 v0, s1, v0, s2
	v_add_co_ci_u32_e64 v1, null, s3, v11, s1
	v_add_co_u32 v0, s1, v0, v3
	v_add_co_ci_u32_e64 v1, null, v1, v4, s1
	s_and_saveexec_b32 s1, vcc_lo
	s_cbranch_execz .LBB217_29
; %bb.28:
	v_mul_lo_u32 v2, v8, s4
	flat_store_dword v[0:1], v2
.LBB217_29:
	s_or_b32 exec_lo, exec_lo, s1
	s_and_b32 exec_lo, exec_lo, s0
	s_cbranch_execz .LBB217_19
; %bb.30:
	v_mul_lo_u32 v2, v7, s4
	flat_store_dword v[0:1], v2 offset:64
	s_endpgm
	.section	.rodata,"a",@progbits
	.p2align	6, 0x0
	.amdhsa_kernel _ZN12_GLOBAL__N_135rocblas_gemm_batched_general_kernelIiLi16ELi16ELi32ELi32ELi8ELi32ELi8ELi8ELi32ELc67ELc67EKPKaKPKiKPiEEvlllT_PT11_llSB_llS9_PT12_llPT13_lli
		.amdhsa_group_segment_fixed_size 2048
		.amdhsa_private_segment_fixed_size 0
		.amdhsa_kernarg_size 140
		.amdhsa_user_sgpr_count 6
		.amdhsa_user_sgpr_private_segment_buffer 1
		.amdhsa_user_sgpr_dispatch_ptr 0
		.amdhsa_user_sgpr_queue_ptr 0
		.amdhsa_user_sgpr_kernarg_segment_ptr 1
		.amdhsa_user_sgpr_dispatch_id 0
		.amdhsa_user_sgpr_flat_scratch_init 0
		.amdhsa_user_sgpr_private_segment_size 0
		.amdhsa_wavefront_size32 1
		.amdhsa_uses_dynamic_stack 0
		.amdhsa_system_sgpr_private_segment_wavefront_offset 0
		.amdhsa_system_sgpr_workgroup_id_x 1
		.amdhsa_system_sgpr_workgroup_id_y 1
		.amdhsa_system_sgpr_workgroup_id_z 1
		.amdhsa_system_sgpr_workgroup_info 0
		.amdhsa_system_vgpr_workitem_id 1
		.amdhsa_next_free_vgpr 45
		.amdhsa_next_free_sgpr 42
		.amdhsa_reserve_vcc 1
		.amdhsa_reserve_flat_scratch 0
		.amdhsa_float_round_mode_32 0
		.amdhsa_float_round_mode_16_64 0
		.amdhsa_float_denorm_mode_32 3
		.amdhsa_float_denorm_mode_16_64 3
		.amdhsa_dx10_clamp 1
		.amdhsa_ieee_mode 1
		.amdhsa_fp16_overflow 0
		.amdhsa_workgroup_processor_mode 1
		.amdhsa_memory_ordered 1
		.amdhsa_forward_progress 1
		.amdhsa_shared_vgpr_count 0
		.amdhsa_exception_fp_ieee_invalid_op 0
		.amdhsa_exception_fp_denorm_src 0
		.amdhsa_exception_fp_ieee_div_zero 0
		.amdhsa_exception_fp_ieee_overflow 0
		.amdhsa_exception_fp_ieee_underflow 0
		.amdhsa_exception_fp_ieee_inexact 0
		.amdhsa_exception_int_div_zero 0
	.end_amdhsa_kernel
	.section	.text._ZN12_GLOBAL__N_135rocblas_gemm_batched_general_kernelIiLi16ELi16ELi32ELi32ELi8ELi32ELi8ELi8ELi32ELc67ELc67EKPKaKPKiKPiEEvlllT_PT11_llSB_llS9_PT12_llPT13_lli,"axG",@progbits,_ZN12_GLOBAL__N_135rocblas_gemm_batched_general_kernelIiLi16ELi16ELi32ELi32ELi8ELi32ELi8ELi8ELi32ELc67ELc67EKPKaKPKiKPiEEvlllT_PT11_llSB_llS9_PT12_llPT13_lli,comdat
.Lfunc_end217:
	.size	_ZN12_GLOBAL__N_135rocblas_gemm_batched_general_kernelIiLi16ELi16ELi32ELi32ELi8ELi32ELi8ELi8ELi32ELc67ELc67EKPKaKPKiKPiEEvlllT_PT11_llSB_llS9_PT12_llPT13_lli, .Lfunc_end217-_ZN12_GLOBAL__N_135rocblas_gemm_batched_general_kernelIiLi16ELi16ELi32ELi32ELi8ELi32ELi8ELi8ELi32ELc67ELc67EKPKaKPKiKPiEEvlllT_PT11_llSB_llS9_PT12_llPT13_lli
                                        ; -- End function
	.set _ZN12_GLOBAL__N_135rocblas_gemm_batched_general_kernelIiLi16ELi16ELi32ELi32ELi8ELi32ELi8ELi8ELi32ELc67ELc67EKPKaKPKiKPiEEvlllT_PT11_llSB_llS9_PT12_llPT13_lli.num_vgpr, 45
	.set _ZN12_GLOBAL__N_135rocblas_gemm_batched_general_kernelIiLi16ELi16ELi32ELi32ELi8ELi32ELi8ELi8ELi32ELc67ELc67EKPKaKPKiKPiEEvlllT_PT11_llSB_llS9_PT12_llPT13_lli.num_agpr, 0
	.set _ZN12_GLOBAL__N_135rocblas_gemm_batched_general_kernelIiLi16ELi16ELi32ELi32ELi8ELi32ELi8ELi8ELi32ELc67ELc67EKPKaKPKiKPiEEvlllT_PT11_llSB_llS9_PT12_llPT13_lli.numbered_sgpr, 42
	.set _ZN12_GLOBAL__N_135rocblas_gemm_batched_general_kernelIiLi16ELi16ELi32ELi32ELi8ELi32ELi8ELi8ELi32ELc67ELc67EKPKaKPKiKPiEEvlllT_PT11_llSB_llS9_PT12_llPT13_lli.num_named_barrier, 0
	.set _ZN12_GLOBAL__N_135rocblas_gemm_batched_general_kernelIiLi16ELi16ELi32ELi32ELi8ELi32ELi8ELi8ELi32ELc67ELc67EKPKaKPKiKPiEEvlllT_PT11_llSB_llS9_PT12_llPT13_lli.private_seg_size, 0
	.set _ZN12_GLOBAL__N_135rocblas_gemm_batched_general_kernelIiLi16ELi16ELi32ELi32ELi8ELi32ELi8ELi8ELi32ELc67ELc67EKPKaKPKiKPiEEvlllT_PT11_llSB_llS9_PT12_llPT13_lli.uses_vcc, 1
	.set _ZN12_GLOBAL__N_135rocblas_gemm_batched_general_kernelIiLi16ELi16ELi32ELi32ELi8ELi32ELi8ELi8ELi32ELc67ELc67EKPKaKPKiKPiEEvlllT_PT11_llSB_llS9_PT12_llPT13_lli.uses_flat_scratch, 0
	.set _ZN12_GLOBAL__N_135rocblas_gemm_batched_general_kernelIiLi16ELi16ELi32ELi32ELi8ELi32ELi8ELi8ELi32ELc67ELc67EKPKaKPKiKPiEEvlllT_PT11_llSB_llS9_PT12_llPT13_lli.has_dyn_sized_stack, 0
	.set _ZN12_GLOBAL__N_135rocblas_gemm_batched_general_kernelIiLi16ELi16ELi32ELi32ELi8ELi32ELi8ELi8ELi32ELc67ELc67EKPKaKPKiKPiEEvlllT_PT11_llSB_llS9_PT12_llPT13_lli.has_recursion, 0
	.set _ZN12_GLOBAL__N_135rocblas_gemm_batched_general_kernelIiLi16ELi16ELi32ELi32ELi8ELi32ELi8ELi8ELi32ELc67ELc67EKPKaKPKiKPiEEvlllT_PT11_llSB_llS9_PT12_llPT13_lli.has_indirect_call, 0
	.section	.AMDGPU.csdata,"",@progbits
; Kernel info:
; codeLenInByte = 2140
; TotalNumSgprs: 44
; NumVgprs: 45
; ScratchSize: 0
; MemoryBound: 0
; FloatMode: 240
; IeeeMode: 1
; LDSByteSize: 2048 bytes/workgroup (compile time only)
; SGPRBlocks: 0
; VGPRBlocks: 5
; NumSGPRsForWavesPerEU: 44
; NumVGPRsForWavesPerEU: 45
; Occupancy: 16
; WaveLimiterHint : 1
; COMPUTE_PGM_RSRC2:SCRATCH_EN: 0
; COMPUTE_PGM_RSRC2:USER_SGPR: 6
; COMPUTE_PGM_RSRC2:TRAP_HANDLER: 0
; COMPUTE_PGM_RSRC2:TGID_X_EN: 1
; COMPUTE_PGM_RSRC2:TGID_Y_EN: 1
; COMPUTE_PGM_RSRC2:TGID_Z_EN: 1
; COMPUTE_PGM_RSRC2:TIDIG_COMP_CNT: 1
	.section	.text._ZN12_GLOBAL__N_135rocblas_gemm_batched_general_kernelIiLi16ELi16ELi32ELi32ELi8ELi32ELi8ELi8ELi32ELc67ELc78EKPKaKPKiKPiEEvlllT_PT11_llSB_llS9_PT12_llPT13_lli,"axG",@progbits,_ZN12_GLOBAL__N_135rocblas_gemm_batched_general_kernelIiLi16ELi16ELi32ELi32ELi8ELi32ELi8ELi8ELi32ELc67ELc78EKPKaKPKiKPiEEvlllT_PT11_llSB_llS9_PT12_llPT13_lli,comdat
	.globl	_ZN12_GLOBAL__N_135rocblas_gemm_batched_general_kernelIiLi16ELi16ELi32ELi32ELi8ELi32ELi8ELi8ELi32ELc67ELc78EKPKaKPKiKPiEEvlllT_PT11_llSB_llS9_PT12_llPT13_lli ; -- Begin function _ZN12_GLOBAL__N_135rocblas_gemm_batched_general_kernelIiLi16ELi16ELi32ELi32ELi8ELi32ELi8ELi8ELi32ELc67ELc78EKPKaKPKiKPiEEvlllT_PT11_llSB_llS9_PT12_llPT13_lli
	.p2align	8
	.type	_ZN12_GLOBAL__N_135rocblas_gemm_batched_general_kernelIiLi16ELi16ELi32ELi32ELi8ELi32ELi8ELi8ELi32ELc67ELc78EKPKaKPKiKPiEEvlllT_PT11_llSB_llS9_PT12_llPT13_lli,@function
_ZN12_GLOBAL__N_135rocblas_gemm_batched_general_kernelIiLi16ELi16ELi32ELi32ELi8ELi32ELi8ELi8ELi32ELc67ELc78EKPKaKPKiKPiEEvlllT_PT11_llSB_llS9_PT12_llPT13_lli: ; @_ZN12_GLOBAL__N_135rocblas_gemm_batched_general_kernelIiLi16ELi16ELi32ELi32ELi8ELi32ELi8ELi8ELi32ELc67ELc78EKPKaKPKiKPiEEvlllT_PT11_llSB_llS9_PT12_llPT13_lli
; %bb.0:
	s_clause 0x1
	s_load_dwordx8 s[12:19], s[4:5], 0x58
	s_load_dwordx2 s[34:35], s[4:5], 0x10
	s_mov_b32 s9, 0
	s_load_dwordx4 s[28:31], s[4:5], 0x0
	s_lshl_b64 s[40:41], s[8:9], 3
	s_load_dwordx4 s[8:11], s[4:5], 0x78
	s_mov_b32 s0, s7
	v_mov_b32_e32 v10, 0
	v_mov_b32_e32 v9, 0
	;; [unrolled: 1-line block ×4, first 2 shown]
	s_waitcnt lgkmcnt(0)
	s_add_u32 s2, s12, s40
	s_addc_u32 s3, s13, s41
	s_add_u32 s12, s18, s40
	s_addc_u32 s13, s19, s41
	s_load_dwordx2 s[2:3], s[2:3], 0x0
	s_load_dwordx2 s[12:13], s[12:13], 0x0
	v_cmp_lt_i64_e64 s18, s[34:35], 1
	s_ashr_i32 s7, s6, 31
	s_ashr_i32 s1, s0, 31
	s_lshl_b64 s[6:7], s[6:7], 5
	s_and_b32 vcc_lo, exec_lo, s18
	s_lshl_b64 s[18:19], s[0:1], 5
	s_cbranch_vccnz .LBB218_7
; %bb.1:
	s_clause 0x1
	s_load_dwordx8 s[20:27], s[4:5], 0x20
	s_load_dwordx4 s[36:39], s[4:5], 0x40
	v_lshl_add_u32 v4, v1, 4, v0
	v_and_b32_e32 v2, 7, v0
	v_mov_b32_e32 v5, s7
	v_mov_b32_e32 v7, 0
	v_and_b32_e32 v6, 31, v4
	v_lshrrev_b32_e32 v10, 3, v4
	v_lshrrev_b32_e32 v3, 5, v4
	v_lshlrev_b32_e32 v11, 2, v2
	v_or_b32_e32 v4, s6, v6
	v_lshlrev_b32_e32 v12, 2, v6
	v_add_co_u32 v8, s0, v10, s18
	v_add_co_ci_u32_e64 v9, null, 0, s19, s0
	v_cmp_gt_i64_e64 s0, s[28:29], v[4:5]
	v_lshl_or_b32 v4, v3, 7, v12
	s_waitcnt lgkmcnt(0)
	s_add_u32 s26, s26, s40
	s_addc_u32 s27, s27, s41
	s_add_u32 s20, s20, s40
	s_addc_u32 s21, s21, s41
	s_load_dwordx2 s[26:27], s[26:27], 0x0
	s_load_dwordx2 s[20:21], s[20:21], 0x0
	v_add_co_u32 v12, s1, s24, v3
	v_lshl_or_b32 v14, v10, 5, v11
	v_mul_lo_u32 v15, s36, v9
	v_mul_lo_u32 v16, s37, v8
	v_mad_u64_u32 v[10:11], null, s36, v8, s[38:39]
	v_add_co_ci_u32_e64 v13, null, s25, 0, s1
	v_add_co_u32 v6, s1, s6, v6
	v_add_co_ci_u32_e64 v17, null, s7, 0, s1
	v_cmp_gt_i64_e64 s1, s[30:31], v[8:9]
	v_mad_u64_u32 v[8:9], null, s22, v6, v[12:13]
	v_mul_lo_u32 v12, s22, v17
	v_mul_lo_u32 v13, s23, v6
	v_add_nc_u32_e32 v5, 0x400, v14
	v_add3_u32 v14, v16, v11, v15
	v_add_co_u32 v10, vcc_lo, v10, v2
	v_lshlrev_b32_e32 v6, 2, v0
	v_lshl_add_u32 v11, v1, 5, 0x400
	v_add_co_ci_u32_e64 v14, null, 0, v14, vcc_lo
	v_add3_u32 v9, v13, v9, v12
	s_waitcnt lgkmcnt(0)
	v_add_co_u32 v12, vcc_lo, s26, v10
	v_add_co_ci_u32_e64 v13, null, s27, v14, vcc_lo
	v_add_co_u32 v14, vcc_lo, s20, v8
	v_add_co_ci_u32_e64 v15, null, s21, v9, vcc_lo
	v_mov_b32_e32 v8, 0
	v_mov_b32_e32 v9, 0
	;; [unrolled: 1-line block ×3, first 2 shown]
	s_mov_b64 s[20:21], 0
	s_branch .LBB218_3
.LBB218_2:                              ;   in Loop: Header=BB218_3 Depth=1
	s_or_b32 exec_lo, exec_lo, s22
	s_waitcnt vmcnt(0) lgkmcnt(0)
	ds_write_b32 v5, v17
	s_waitcnt lgkmcnt(0)
	s_barrier
	buffer_gl0_inv
	ds_read_b128 v[16:19], v11
	ds_read2_b32 v[32:33], v6 offset1:16
	ds_read_b128 v[20:23], v11 offset:512
	ds_read2_b32 v[34:35], v6 offset0:32 offset1:48
	ds_read2_b32 v[36:37], v6 offset0:64 offset1:80
	ds_read_b128 v[24:27], v11 offset:16
	ds_read2_b32 v[38:39], v6 offset0:96 offset1:112
	ds_read2_b32 v[40:41], v6 offset0:128 offset1:144
	ds_read_b128 v[28:31], v11 offset:528
	ds_read2_b32 v[42:43], v6 offset0:160 offset1:176
	s_add_u32 s20, s20, 8
	s_addc_u32 s21, s21, 0
	v_cmp_lt_i64_e64 s22, s[20:21], s[34:35]
	s_and_b32 vcc_lo, exec_lo, s22
	s_waitcnt lgkmcnt(8)
	v_mul_lo_u32 v44, v16, v32
	v_mul_lo_u32 v16, v16, v33
	s_waitcnt lgkmcnt(7)
	v_mul_lo_u32 v32, v20, v32
	v_mul_lo_u32 v20, v20, v33
	;; [unrolled: 3-line block ×3, first 2 shown]
	v_mul_lo_u32 v34, v21, v34
	v_mul_lo_u32 v21, v21, v35
	s_waitcnt lgkmcnt(5)
	v_mul_lo_u32 v35, v18, v36
	v_mul_lo_u32 v18, v18, v37
	;; [unrolled: 1-line block ×3, first 2 shown]
	v_add3_u32 v33, v10, v44, v33
	v_add3_u32 v16, v9, v16, v17
	;; [unrolled: 1-line block ×4, first 2 shown]
	ds_read2_b32 v[7:8], v6 offset0:192 offset1:208
	ds_read2_b32 v[9:10], v6 offset0:224 offset1:240
	v_mul_lo_u32 v21, v22, v37
	s_waitcnt lgkmcnt(5)
	v_mul_lo_u32 v22, v19, v38
	v_mul_lo_u32 v19, v19, v39
	;; [unrolled: 1-line block ×4, first 2 shown]
	s_waitcnt lgkmcnt(4)
	v_mul_lo_u32 v34, v24, v40
	v_mul_lo_u32 v24, v24, v41
	s_waitcnt lgkmcnt(2)
	v_mul_lo_u32 v38, v25, v42
	v_mul_lo_u32 v25, v25, v43
	v_mul_lo_u32 v37, v28, v40
	v_mul_lo_u32 v39, v29, v42
	v_add3_u32 v22, v33, v35, v22
	v_add3_u32 v16, v16, v18, v19
	;; [unrolled: 1-line block ×3, first 2 shown]
	v_mul_lo_u32 v19, v28, v41
	v_mul_lo_u32 v21, v29, v43
	v_add3_u32 v17, v17, v36, v32
	v_add3_u32 v20, v22, v34, v38
	;; [unrolled: 1-line block ×3, first 2 shown]
	s_waitcnt lgkmcnt(1)
	v_mul_lo_u32 v22, v26, v7
	v_mul_lo_u32 v23, v26, v8
	;; [unrolled: 1-line block ×3, first 2 shown]
	s_waitcnt lgkmcnt(0)
	v_mul_lo_u32 v24, v27, v9
	v_mul_lo_u32 v25, v30, v8
	;; [unrolled: 1-line block ×5, first 2 shown]
	v_add3_u32 v17, v17, v37, v39
	v_add3_u32 v18, v18, v19, v21
	;; [unrolled: 1-line block ×3, first 2 shown]
	s_barrier
	v_add3_u32 v9, v16, v23, v8
	v_add3_u32 v8, v17, v7, v26
	;; [unrolled: 1-line block ×3, first 2 shown]
	buffer_gl0_inv
	s_cbranch_vccz .LBB218_7
.LBB218_3:                              ; =>This Inner Loop Header: Depth=1
	v_add_co_u32 v16, s22, v3, s20
	v_add_co_ci_u32_e64 v17, null, 0, s21, s22
	v_cmp_gt_i64_e32 vcc_lo, s[34:35], v[16:17]
	v_mov_b32_e32 v16, 0
	s_and_b32 s23, s0, vcc_lo
	s_and_saveexec_b32 s22, s23
	s_cbranch_execz .LBB218_5
; %bb.4:                                ;   in Loop: Header=BB218_3 Depth=1
	v_add_co_u32 v16, vcc_lo, v14, s20
	v_add_co_ci_u32_e64 v17, null, s21, v15, vcc_lo
	flat_load_sbyte v16, v[16:17]
.LBB218_5:                              ;   in Loop: Header=BB218_3 Depth=1
	s_or_b32 exec_lo, exec_lo, s22
	v_add_co_u32 v17, s22, v2, s20
	v_add_co_ci_u32_e64 v18, null, 0, s21, s22
	s_waitcnt vmcnt(0) lgkmcnt(0)
	ds_write_b32 v4, v16
	v_cmp_gt_i64_e32 vcc_lo, s[34:35], v[17:18]
	v_mov_b32_e32 v17, 0
	s_and_b32 s23, vcc_lo, s1
	s_and_saveexec_b32 s22, s23
	s_cbranch_execz .LBB218_2
; %bb.6:                                ;   in Loop: Header=BB218_3 Depth=1
	v_add_co_u32 v16, vcc_lo, v12, s20
	v_add_co_ci_u32_e64 v17, null, s21, v13, vcc_lo
	flat_load_sbyte v17, v[16:17]
	s_branch .LBB218_2
.LBB218_7:
	s_clause 0x1
	s_load_dword s20, s[4:5], 0x50
	s_load_dword s4, s[4:5], 0x18
	v_add_co_u32 v1, s0, s18, v1
	v_add_co_ci_u32_e64 v2, null, s19, 0, s0
	s_lshl_b64 s[10:11], s[10:11], 2
	s_waitcnt lgkmcnt(0)
	s_add_u32 s5, s12, s10
	v_cmp_gt_i64_e64 s0, s[30:31], v[1:2]
	s_addc_u32 s10, s13, s11
	s_cmp_eq_u32 s20, 0
	s_cbranch_scc1 .LBB218_20
; %bb.8:
	s_and_saveexec_b32 s11, s0
	s_cbranch_execz .LBB218_18
; %bb.9:
	v_mul_lo_u32 v5, v2, s14
	v_mul_lo_u32 v6, v1, s15
	v_mad_u64_u32 v[3:4], null, v1, s14, 0
	v_mul_lo_u32 v13, v2, s8
	v_mul_lo_u32 v14, v1, s9
	v_mad_u64_u32 v[11:12], null, v1, s8, 0
	s_lshl_b64 s[12:13], s[16:17], 2
	v_add3_u32 v4, v4, v6, v5
	v_add_co_u32 v5, s1, s6, v0
	v_add_co_ci_u32_e64 v6, null, s7, 0, s1
	v_add3_u32 v12, v12, v14, v13
	v_lshlrev_b64 v[3:4], 2, v[3:4]
	s_add_u32 s1, s2, s12
	s_addc_u32 s2, s3, s13
	v_cmp_gt_i64_e32 vcc_lo, s[28:29], v[5:6]
	v_lshlrev_b64 v[13:14], 2, v[11:12]
	v_add_co_u32 v11, s1, s1, v3
	v_add_co_ci_u32_e64 v12, null, s2, v4, s1
	v_add_co_u32 v13, s1, s5, v13
	v_lshlrev_b64 v[3:4], 2, v[5:6]
	v_add_co_ci_u32_e64 v14, null, s10, v14, s1
	s_and_saveexec_b32 s2, vcc_lo
	s_cbranch_execz .LBB218_11
; %bb.10:
	v_add_co_u32 v15, s1, v11, v3
	v_add_co_ci_u32_e64 v16, null, v12, v4, s1
	flat_load_dword v16, v[15:16]
	v_mul_lo_u32 v15, v10, s4
	s_waitcnt vmcnt(0) lgkmcnt(0)
	v_mad_u64_u32 v[15:16], null, v16, s20, v[15:16]
	v_add_co_u32 v16, s1, v13, v3
	v_add_co_ci_u32_e64 v17, null, v14, v4, s1
	flat_store_dword v[16:17], v15
.LBB218_11:
	s_or_b32 exec_lo, exec_lo, s2
	v_add_co_u32 v5, s1, v5, 16
	v_add_co_ci_u32_e64 v6, null, 0, v6, s1
	v_cmp_gt_i64_e64 s1, s[28:29], v[5:6]
	s_and_saveexec_b32 s3, s1
	s_cbranch_execz .LBB218_13
; %bb.12:
	v_add_co_u32 v5, s2, v11, v3
	v_add_co_ci_u32_e64 v6, null, v12, v4, s2
	v_add_co_u32 v15, s2, v13, v3
	v_add_co_ci_u32_e64 v16, null, v14, v4, s2
	flat_load_dword v6, v[5:6] offset:64
	v_mul_lo_u32 v5, v9, s4
	s_waitcnt vmcnt(0) lgkmcnt(0)
	v_mad_u64_u32 v[5:6], null, v6, s20, v[5:6]
	flat_store_dword v[15:16], v5 offset:64
.LBB218_13:
	s_or_b32 exec_lo, exec_lo, s3
	v_add_co_u32 v5, s2, v1, 16
	v_add_co_ci_u32_e64 v6, null, 0, v2, s2
	v_cmp_gt_i64_e64 s2, s[30:31], v[5:6]
	s_and_b32 exec_lo, exec_lo, s2
	s_cbranch_execz .LBB218_18
; %bb.14:
	s_lshl_b64 s[2:3], s[14:15], 6
	v_add_co_u32 v5, s2, v11, s2
	v_add_co_ci_u32_e64 v6, null, s3, v12, s2
	s_lshl_b64 s[2:3], s[8:9], 6
	v_add_co_u32 v11, s2, v13, s2
	v_add_co_ci_u32_e64 v12, null, s3, v14, s2
	v_add_co_u32 v5, s2, v5, v3
	v_add_co_ci_u32_e64 v6, null, v6, v4, s2
	v_add_co_u32 v3, s2, v11, v3
	v_add_co_ci_u32_e64 v4, null, v12, v4, s2
	s_and_saveexec_b32 s2, vcc_lo
	s_cbranch_execz .LBB218_16
; %bb.15:
	flat_load_dword v12, v[5:6]
	v_mul_lo_u32 v11, v8, s4
	s_waitcnt vmcnt(0) lgkmcnt(0)
	v_mad_u64_u32 v[11:12], null, v12, s20, v[11:12]
	flat_store_dword v[3:4], v11
.LBB218_16:
	s_or_b32 exec_lo, exec_lo, s2
	s_and_b32 exec_lo, exec_lo, s1
	s_cbranch_execz .LBB218_18
; %bb.17:
	flat_load_dword v6, v[5:6] offset:64
	v_mul_lo_u32 v5, v7, s4
	s_waitcnt vmcnt(0) lgkmcnt(0)
	v_mad_u64_u32 v[5:6], null, v6, s20, v[5:6]
	flat_store_dword v[3:4], v5 offset:64
.LBB218_18:
	s_or_b32 exec_lo, exec_lo, s11
	s_cbranch_execz .LBB218_21
.LBB218_19:
	s_endpgm
.LBB218_20:
.LBB218_21:
	s_and_saveexec_b32 s1, s0
	s_cbranch_execz .LBB218_19
; %bb.22:
	v_mul_lo_u32 v5, v2, s8
	v_mul_lo_u32 v6, v1, s9
	v_mad_u64_u32 v[3:4], null, v1, s8, 0
	v_add3_u32 v4, v4, v6, v5
	v_add_co_u32 v5, s0, s6, v0
	v_add_co_ci_u32_e64 v6, null, s7, 0, s0
	v_lshlrev_b64 v[11:12], 2, v[3:4]
	v_cmp_gt_i64_e32 vcc_lo, s[28:29], v[5:6]
	v_lshlrev_b64 v[3:4], 2, v[5:6]
	v_add_co_u32 v0, s0, s5, v11
	v_add_co_ci_u32_e64 v11, null, s10, v12, s0
	s_and_saveexec_b32 s1, vcc_lo
	s_cbranch_execz .LBB218_24
; %bb.23:
	v_mul_lo_u32 v10, v10, s4
	v_add_co_u32 v12, s0, v0, v3
	v_add_co_ci_u32_e64 v13, null, v11, v4, s0
	flat_store_dword v[12:13], v10
.LBB218_24:
	s_or_b32 exec_lo, exec_lo, s1
	v_add_co_u32 v5, s0, v5, 16
	v_add_co_ci_u32_e64 v6, null, 0, v6, s0
	v_cmp_gt_i64_e64 s0, s[28:29], v[5:6]
	s_and_saveexec_b32 s2, s0
	s_cbranch_execz .LBB218_26
; %bb.25:
	v_mul_lo_u32 v9, v9, s4
	v_add_co_u32 v5, s1, v0, v3
	v_add_co_ci_u32_e64 v6, null, v11, v4, s1
	flat_store_dword v[5:6], v9 offset:64
.LBB218_26:
	s_or_b32 exec_lo, exec_lo, s2
	v_add_co_u32 v1, s1, v1, 16
	v_add_co_ci_u32_e64 v2, null, 0, v2, s1
	v_cmp_gt_i64_e64 s1, s[30:31], v[1:2]
	s_and_b32 exec_lo, exec_lo, s1
	s_cbranch_execz .LBB218_19
; %bb.27:
	s_lshl_b64 s[2:3], s[8:9], 6
	v_add_co_u32 v0, s1, v0, s2
	v_add_co_ci_u32_e64 v1, null, s3, v11, s1
	v_add_co_u32 v0, s1, v0, v3
	v_add_co_ci_u32_e64 v1, null, v1, v4, s1
	s_and_saveexec_b32 s1, vcc_lo
	s_cbranch_execz .LBB218_29
; %bb.28:
	v_mul_lo_u32 v2, v8, s4
	flat_store_dword v[0:1], v2
.LBB218_29:
	s_or_b32 exec_lo, exec_lo, s1
	s_and_b32 exec_lo, exec_lo, s0
	s_cbranch_execz .LBB218_19
; %bb.30:
	v_mul_lo_u32 v2, v7, s4
	flat_store_dword v[0:1], v2 offset:64
	s_endpgm
	.section	.rodata,"a",@progbits
	.p2align	6, 0x0
	.amdhsa_kernel _ZN12_GLOBAL__N_135rocblas_gemm_batched_general_kernelIiLi16ELi16ELi32ELi32ELi8ELi32ELi8ELi8ELi32ELc67ELc78EKPKaKPKiKPiEEvlllT_PT11_llSB_llS9_PT12_llPT13_lli
		.amdhsa_group_segment_fixed_size 2048
		.amdhsa_private_segment_fixed_size 0
		.amdhsa_kernarg_size 140
		.amdhsa_user_sgpr_count 6
		.amdhsa_user_sgpr_private_segment_buffer 1
		.amdhsa_user_sgpr_dispatch_ptr 0
		.amdhsa_user_sgpr_queue_ptr 0
		.amdhsa_user_sgpr_kernarg_segment_ptr 1
		.amdhsa_user_sgpr_dispatch_id 0
		.amdhsa_user_sgpr_flat_scratch_init 0
		.amdhsa_user_sgpr_private_segment_size 0
		.amdhsa_wavefront_size32 1
		.amdhsa_uses_dynamic_stack 0
		.amdhsa_system_sgpr_private_segment_wavefront_offset 0
		.amdhsa_system_sgpr_workgroup_id_x 1
		.amdhsa_system_sgpr_workgroup_id_y 1
		.amdhsa_system_sgpr_workgroup_id_z 1
		.amdhsa_system_sgpr_workgroup_info 0
		.amdhsa_system_vgpr_workitem_id 1
		.amdhsa_next_free_vgpr 45
		.amdhsa_next_free_sgpr 42
		.amdhsa_reserve_vcc 1
		.amdhsa_reserve_flat_scratch 0
		.amdhsa_float_round_mode_32 0
		.amdhsa_float_round_mode_16_64 0
		.amdhsa_float_denorm_mode_32 3
		.amdhsa_float_denorm_mode_16_64 3
		.amdhsa_dx10_clamp 1
		.amdhsa_ieee_mode 1
		.amdhsa_fp16_overflow 0
		.amdhsa_workgroup_processor_mode 1
		.amdhsa_memory_ordered 1
		.amdhsa_forward_progress 1
		.amdhsa_shared_vgpr_count 0
		.amdhsa_exception_fp_ieee_invalid_op 0
		.amdhsa_exception_fp_denorm_src 0
		.amdhsa_exception_fp_ieee_div_zero 0
		.amdhsa_exception_fp_ieee_overflow 0
		.amdhsa_exception_fp_ieee_underflow 0
		.amdhsa_exception_fp_ieee_inexact 0
		.amdhsa_exception_int_div_zero 0
	.end_amdhsa_kernel
	.section	.text._ZN12_GLOBAL__N_135rocblas_gemm_batched_general_kernelIiLi16ELi16ELi32ELi32ELi8ELi32ELi8ELi8ELi32ELc67ELc78EKPKaKPKiKPiEEvlllT_PT11_llSB_llS9_PT12_llPT13_lli,"axG",@progbits,_ZN12_GLOBAL__N_135rocblas_gemm_batched_general_kernelIiLi16ELi16ELi32ELi32ELi8ELi32ELi8ELi8ELi32ELc67ELc78EKPKaKPKiKPiEEvlllT_PT11_llSB_llS9_PT12_llPT13_lli,comdat
.Lfunc_end218:
	.size	_ZN12_GLOBAL__N_135rocblas_gemm_batched_general_kernelIiLi16ELi16ELi32ELi32ELi8ELi32ELi8ELi8ELi32ELc67ELc78EKPKaKPKiKPiEEvlllT_PT11_llSB_llS9_PT12_llPT13_lli, .Lfunc_end218-_ZN12_GLOBAL__N_135rocblas_gemm_batched_general_kernelIiLi16ELi16ELi32ELi32ELi8ELi32ELi8ELi8ELi32ELc67ELc78EKPKaKPKiKPiEEvlllT_PT11_llSB_llS9_PT12_llPT13_lli
                                        ; -- End function
	.set _ZN12_GLOBAL__N_135rocblas_gemm_batched_general_kernelIiLi16ELi16ELi32ELi32ELi8ELi32ELi8ELi8ELi32ELc67ELc78EKPKaKPKiKPiEEvlllT_PT11_llSB_llS9_PT12_llPT13_lli.num_vgpr, 45
	.set _ZN12_GLOBAL__N_135rocblas_gemm_batched_general_kernelIiLi16ELi16ELi32ELi32ELi8ELi32ELi8ELi8ELi32ELc67ELc78EKPKaKPKiKPiEEvlllT_PT11_llSB_llS9_PT12_llPT13_lli.num_agpr, 0
	.set _ZN12_GLOBAL__N_135rocblas_gemm_batched_general_kernelIiLi16ELi16ELi32ELi32ELi8ELi32ELi8ELi8ELi32ELc67ELc78EKPKaKPKiKPiEEvlllT_PT11_llSB_llS9_PT12_llPT13_lli.numbered_sgpr, 42
	.set _ZN12_GLOBAL__N_135rocblas_gemm_batched_general_kernelIiLi16ELi16ELi32ELi32ELi8ELi32ELi8ELi8ELi32ELc67ELc78EKPKaKPKiKPiEEvlllT_PT11_llSB_llS9_PT12_llPT13_lli.num_named_barrier, 0
	.set _ZN12_GLOBAL__N_135rocblas_gemm_batched_general_kernelIiLi16ELi16ELi32ELi32ELi8ELi32ELi8ELi8ELi32ELc67ELc78EKPKaKPKiKPiEEvlllT_PT11_llSB_llS9_PT12_llPT13_lli.private_seg_size, 0
	.set _ZN12_GLOBAL__N_135rocblas_gemm_batched_general_kernelIiLi16ELi16ELi32ELi32ELi8ELi32ELi8ELi8ELi32ELc67ELc78EKPKaKPKiKPiEEvlllT_PT11_llSB_llS9_PT12_llPT13_lli.uses_vcc, 1
	.set _ZN12_GLOBAL__N_135rocblas_gemm_batched_general_kernelIiLi16ELi16ELi32ELi32ELi8ELi32ELi8ELi8ELi32ELc67ELc78EKPKaKPKiKPiEEvlllT_PT11_llSB_llS9_PT12_llPT13_lli.uses_flat_scratch, 0
	.set _ZN12_GLOBAL__N_135rocblas_gemm_batched_general_kernelIiLi16ELi16ELi32ELi32ELi8ELi32ELi8ELi8ELi32ELc67ELc78EKPKaKPKiKPiEEvlllT_PT11_llSB_llS9_PT12_llPT13_lli.has_dyn_sized_stack, 0
	.set _ZN12_GLOBAL__N_135rocblas_gemm_batched_general_kernelIiLi16ELi16ELi32ELi32ELi8ELi32ELi8ELi8ELi32ELc67ELc78EKPKaKPKiKPiEEvlllT_PT11_llSB_llS9_PT12_llPT13_lli.has_recursion, 0
	.set _ZN12_GLOBAL__N_135rocblas_gemm_batched_general_kernelIiLi16ELi16ELi32ELi32ELi8ELi32ELi8ELi8ELi32ELc67ELc78EKPKaKPKiKPiEEvlllT_PT11_llSB_llS9_PT12_llPT13_lli.has_indirect_call, 0
	.section	.AMDGPU.csdata,"",@progbits
; Kernel info:
; codeLenInByte = 2144
; TotalNumSgprs: 44
; NumVgprs: 45
; ScratchSize: 0
; MemoryBound: 0
; FloatMode: 240
; IeeeMode: 1
; LDSByteSize: 2048 bytes/workgroup (compile time only)
; SGPRBlocks: 0
; VGPRBlocks: 5
; NumSGPRsForWavesPerEU: 44
; NumVGPRsForWavesPerEU: 45
; Occupancy: 16
; WaveLimiterHint : 1
; COMPUTE_PGM_RSRC2:SCRATCH_EN: 0
; COMPUTE_PGM_RSRC2:USER_SGPR: 6
; COMPUTE_PGM_RSRC2:TRAP_HANDLER: 0
; COMPUTE_PGM_RSRC2:TGID_X_EN: 1
; COMPUTE_PGM_RSRC2:TGID_Y_EN: 1
; COMPUTE_PGM_RSRC2:TGID_Z_EN: 1
; COMPUTE_PGM_RSRC2:TIDIG_COMP_CNT: 1
	.section	.text._ZN12_GLOBAL__N_135rocblas_gemm_batched_general_kernelIiLi16ELi16ELi32ELi32ELi8ELi32ELi8ELi8ELi32ELc67ELc84EKPKaKPKiKPiEEvlllT_PT11_llSB_llS9_PT12_llPT13_lli,"axG",@progbits,_ZN12_GLOBAL__N_135rocblas_gemm_batched_general_kernelIiLi16ELi16ELi32ELi32ELi8ELi32ELi8ELi8ELi32ELc67ELc84EKPKaKPKiKPiEEvlllT_PT11_llSB_llS9_PT12_llPT13_lli,comdat
	.globl	_ZN12_GLOBAL__N_135rocblas_gemm_batched_general_kernelIiLi16ELi16ELi32ELi32ELi8ELi32ELi8ELi8ELi32ELc67ELc84EKPKaKPKiKPiEEvlllT_PT11_llSB_llS9_PT12_llPT13_lli ; -- Begin function _ZN12_GLOBAL__N_135rocblas_gemm_batched_general_kernelIiLi16ELi16ELi32ELi32ELi8ELi32ELi8ELi8ELi32ELc67ELc84EKPKaKPKiKPiEEvlllT_PT11_llSB_llS9_PT12_llPT13_lli
	.p2align	8
	.type	_ZN12_GLOBAL__N_135rocblas_gemm_batched_general_kernelIiLi16ELi16ELi32ELi32ELi8ELi32ELi8ELi8ELi32ELc67ELc84EKPKaKPKiKPiEEvlllT_PT11_llSB_llS9_PT12_llPT13_lli,@function
_ZN12_GLOBAL__N_135rocblas_gemm_batched_general_kernelIiLi16ELi16ELi32ELi32ELi8ELi32ELi8ELi8ELi32ELc67ELc84EKPKaKPKiKPiEEvlllT_PT11_llSB_llS9_PT12_llPT13_lli: ; @_ZN12_GLOBAL__N_135rocblas_gemm_batched_general_kernelIiLi16ELi16ELi32ELi32ELi8ELi32ELi8ELi8ELi32ELc67ELc84EKPKaKPKiKPiEEvlllT_PT11_llSB_llS9_PT12_llPT13_lli
; %bb.0:
	s_clause 0x1
	s_load_dwordx8 s[12:19], s[4:5], 0x58
	s_load_dwordx2 s[34:35], s[4:5], 0x10
	s_mov_b32 s9, 0
	s_load_dwordx4 s[28:31], s[4:5], 0x0
	s_lshl_b64 s[40:41], s[8:9], 3
	s_load_dwordx4 s[8:11], s[4:5], 0x78
	s_mov_b32 s0, s7
	v_mov_b32_e32 v10, 0
	v_mov_b32_e32 v9, 0
	v_mov_b32_e32 v8, 0
	v_mov_b32_e32 v7, 0
	s_waitcnt lgkmcnt(0)
	s_add_u32 s2, s12, s40
	s_addc_u32 s3, s13, s41
	s_add_u32 s12, s18, s40
	s_addc_u32 s13, s19, s41
	s_load_dwordx2 s[2:3], s[2:3], 0x0
	s_load_dwordx2 s[12:13], s[12:13], 0x0
	v_cmp_lt_i64_e64 s18, s[34:35], 1
	s_ashr_i32 s7, s6, 31
	s_ashr_i32 s1, s0, 31
	s_lshl_b64 s[6:7], s[6:7], 5
	s_and_b32 vcc_lo, exec_lo, s18
	s_lshl_b64 s[18:19], s[0:1], 5
	s_cbranch_vccnz .LBB219_7
; %bb.1:
	s_clause 0x1
	s_load_dwordx8 s[20:27], s[4:5], 0x20
	s_load_dwordx4 s[36:39], s[4:5], 0x40
	v_lshl_add_u32 v2, v1, 4, v0
	v_mov_b32_e32 v3, s7
	v_and_b32_e32 v4, 7, v0
	v_mov_b32_e32 v7, 0
	v_and_b32_e32 v10, 31, v2
	v_lshrrev_b32_e32 v11, 3, v2
	v_lshrrev_b32_e32 v5, 5, v2
	v_lshlrev_b32_e32 v12, 2, v4
	v_or_b32_e32 v2, s6, v10
	v_add_co_u32 v8, s0, v11, s18
	v_add_co_ci_u32_e64 v9, null, 0, s19, s0
	v_cmp_gt_i64_e64 s0, s[28:29], v[2:3]
	v_lshlrev_b32_e32 v6, 2, v10
	s_waitcnt lgkmcnt(0)
	s_add_u32 s26, s26, s40
	s_addc_u32 s27, s27, s41
	s_add_u32 s20, s20, s40
	s_addc_u32 s21, s21, s41
	v_add_co_u32 v2, s1, s38, v11
	s_load_dwordx2 s[26:27], s[26:27], 0x0
	s_load_dwordx2 s[20:21], s[20:21], 0x0
	v_add_co_ci_u32_e64 v3, null, s39, 0, s1
	v_cmp_gt_i64_e64 s1, s[30:31], v[8:9]
	v_add_co_u32 v8, s24, s24, v5
	v_add_co_ci_u32_e64 v9, null, s25, 0, s24
	v_add_co_u32 v10, s24, s6, v10
	v_mad_u64_u32 v[2:3], null, s36, v4, v[2:3]
	v_add_co_ci_u32_e64 v13, null, s7, 0, s24
	v_mad_u64_u32 v[8:9], null, s22, v10, v[8:9]
	v_mul_lo_u32 v10, s23, v10
	v_mul_lo_u32 v16, s22, v13
	v_mad_u64_u32 v[14:15], null, s37, v4, v[3:4]
	s_waitcnt lgkmcnt(0)
	s_add_u32 s22, s26, s18
	v_lshl_or_b32 v11, v11, 5, v12
	s_addc_u32 s23, s27, s19
	v_add_co_u32 v2, vcc_lo, s22, v2
	v_add3_u32 v9, v10, v9, v16
	v_add_co_ci_u32_e64 v3, null, s23, v14, vcc_lo
	v_add_co_u32 v14, vcc_lo, s20, v8
	v_lshl_or_b32 v6, v5, 7, v6
	v_add_nc_u32_e32 v11, 0x400, v11
	v_lshlrev_b32_e32 v12, 2, v0
	v_lshl_add_u32 v13, v1, 5, 0x400
	v_add_co_ci_u32_e64 v15, null, s21, v9, vcc_lo
	v_mov_b32_e32 v8, 0
	v_mov_b32_e32 v9, 0
	;; [unrolled: 1-line block ×3, first 2 shown]
	s_lshl_b64 s[20:21], s[36:37], 3
	s_mov_b64 s[22:23], 0
	s_branch .LBB219_3
.LBB219_2:                              ;   in Loop: Header=BB219_3 Depth=1
	s_or_b32 exec_lo, exec_lo, s24
	s_waitcnt vmcnt(0) lgkmcnt(0)
	ds_write_b32 v11, v17
	s_waitcnt lgkmcnt(0)
	s_barrier
	buffer_gl0_inv
	ds_read_b128 v[16:19], v13
	ds_read2_b32 v[32:33], v12 offset1:16
	ds_read_b128 v[20:23], v13 offset:512
	ds_read2_b32 v[34:35], v12 offset0:32 offset1:48
	ds_read2_b32 v[36:37], v12 offset0:64 offset1:80
	;; [unrolled: 1-line block ×3, first 2 shown]
	ds_read_b128 v[24:27], v13 offset:16
	ds_read2_b32 v[40:41], v12 offset0:128 offset1:144
	ds_read_b128 v[28:31], v13 offset:528
	ds_read2_b32 v[42:43], v12 offset0:160 offset1:176
	s_add_u32 s22, s22, 8
	s_addc_u32 s23, s23, 0
	v_add_co_u32 v2, vcc_lo, v2, s20
	v_cmp_lt_i64_e64 s24, s[22:23], s[34:35]
	v_add_co_ci_u32_e64 v3, null, s21, v3, vcc_lo
	s_and_b32 vcc_lo, exec_lo, s24
	s_waitcnt lgkmcnt(8)
	v_mul_lo_u32 v44, v16, v32
	v_mul_lo_u32 v16, v16, v33
	s_waitcnt lgkmcnt(7)
	v_mul_lo_u32 v32, v20, v32
	v_mul_lo_u32 v20, v20, v33
	;; [unrolled: 3-line block ×3, first 2 shown]
	v_mul_lo_u32 v34, v21, v34
	v_mul_lo_u32 v21, v21, v35
	s_waitcnt lgkmcnt(5)
	v_mul_lo_u32 v35, v18, v36
	v_mul_lo_u32 v18, v18, v37
	;; [unrolled: 1-line block ×4, first 2 shown]
	v_add3_u32 v33, v10, v44, v33
	v_add3_u32 v44, v9, v16, v17
	ds_read2_b32 v[9:10], v12 offset0:192 offset1:208
	ds_read2_b32 v[16:17], v12 offset0:224 offset1:240
	s_waitcnt lgkmcnt(6)
	v_mul_lo_u32 v37, v19, v38
	v_mul_lo_u32 v19, v19, v39
	;; [unrolled: 1-line block ×4, first 2 shown]
	v_add3_u32 v7, v7, v20, v21
	s_waitcnt lgkmcnt(4)
	v_mul_lo_u32 v20, v24, v40
	s_waitcnt lgkmcnt(2)
	v_mul_lo_u32 v21, v25, v42
	v_add3_u32 v8, v8, v32, v34
	v_add3_u32 v32, v33, v35, v37
	;; [unrolled: 1-line block ×3, first 2 shown]
	v_mul_lo_u32 v19, v24, v41
	v_add3_u32 v7, v7, v22, v23
	v_mul_lo_u32 v22, v28, v40
	v_mul_lo_u32 v23, v28, v41
	v_add3_u32 v20, v32, v20, v21
	v_mul_lo_u32 v21, v25, v43
	v_mul_lo_u32 v24, v29, v42
	;; [unrolled: 1-line block ×3, first 2 shown]
	v_add3_u32 v8, v8, v36, v38
	s_waitcnt lgkmcnt(1)
	v_mul_lo_u32 v28, v26, v9
	v_mul_lo_u32 v26, v26, v10
	;; [unrolled: 1-line block ×4, first 2 shown]
	s_waitcnt lgkmcnt(0)
	v_mul_lo_u32 v9, v27, v16
	v_mul_lo_u32 v27, v27, v17
	;; [unrolled: 1-line block ×4, first 2 shown]
	v_add3_u32 v18, v18, v19, v21
	v_add3_u32 v8, v8, v22, v24
	;; [unrolled: 1-line block ×7, first 2 shown]
	s_barrier
	buffer_gl0_inv
	s_cbranch_vccz .LBB219_7
.LBB219_3:                              ; =>This Inner Loop Header: Depth=1
	v_add_co_u32 v16, s24, v5, s22
	v_add_co_ci_u32_e64 v17, null, 0, s23, s24
	v_cmp_gt_i64_e32 vcc_lo, s[34:35], v[16:17]
	v_mov_b32_e32 v16, 0
	s_and_b32 s25, s0, vcc_lo
	s_and_saveexec_b32 s24, s25
	s_cbranch_execz .LBB219_5
; %bb.4:                                ;   in Loop: Header=BB219_3 Depth=1
	v_add_co_u32 v16, vcc_lo, v14, s22
	v_add_co_ci_u32_e64 v17, null, s23, v15, vcc_lo
	flat_load_sbyte v16, v[16:17]
.LBB219_5:                              ;   in Loop: Header=BB219_3 Depth=1
	s_or_b32 exec_lo, exec_lo, s24
	v_add_co_u32 v17, s24, v4, s22
	v_add_co_ci_u32_e64 v18, null, 0, s23, s24
	s_waitcnt vmcnt(0) lgkmcnt(0)
	ds_write_b32 v6, v16
	v_cmp_gt_i64_e32 vcc_lo, s[34:35], v[17:18]
	v_mov_b32_e32 v17, 0
	s_and_b32 s25, vcc_lo, s1
	s_and_saveexec_b32 s24, s25
	s_cbranch_execz .LBB219_2
; %bb.6:                                ;   in Loop: Header=BB219_3 Depth=1
	flat_load_sbyte v17, v[2:3]
	s_branch .LBB219_2
.LBB219_7:
	s_clause 0x1
	s_load_dword s20, s[4:5], 0x50
	s_load_dword s4, s[4:5], 0x18
	v_add_co_u32 v1, s0, s18, v1
	v_add_co_ci_u32_e64 v2, null, s19, 0, s0
	s_lshl_b64 s[10:11], s[10:11], 2
	s_waitcnt lgkmcnt(0)
	s_add_u32 s5, s12, s10
	v_cmp_gt_i64_e64 s0, s[30:31], v[1:2]
	s_addc_u32 s10, s13, s11
	s_cmp_eq_u32 s20, 0
	s_cbranch_scc1 .LBB219_20
; %bb.8:
	s_and_saveexec_b32 s11, s0
	s_cbranch_execz .LBB219_18
; %bb.9:
	v_mul_lo_u32 v5, v2, s14
	v_mul_lo_u32 v6, v1, s15
	v_mad_u64_u32 v[3:4], null, v1, s14, 0
	v_mul_lo_u32 v13, v2, s8
	v_mul_lo_u32 v14, v1, s9
	v_mad_u64_u32 v[11:12], null, v1, s8, 0
	s_lshl_b64 s[12:13], s[16:17], 2
	v_add3_u32 v4, v4, v6, v5
	v_add_co_u32 v5, s1, s6, v0
	v_add_co_ci_u32_e64 v6, null, s7, 0, s1
	v_add3_u32 v12, v12, v14, v13
	v_lshlrev_b64 v[3:4], 2, v[3:4]
	s_add_u32 s1, s2, s12
	s_addc_u32 s2, s3, s13
	v_cmp_gt_i64_e32 vcc_lo, s[28:29], v[5:6]
	v_lshlrev_b64 v[13:14], 2, v[11:12]
	v_add_co_u32 v11, s1, s1, v3
	v_add_co_ci_u32_e64 v12, null, s2, v4, s1
	v_add_co_u32 v13, s1, s5, v13
	v_lshlrev_b64 v[3:4], 2, v[5:6]
	v_add_co_ci_u32_e64 v14, null, s10, v14, s1
	s_and_saveexec_b32 s2, vcc_lo
	s_cbranch_execz .LBB219_11
; %bb.10:
	v_add_co_u32 v15, s1, v11, v3
	v_add_co_ci_u32_e64 v16, null, v12, v4, s1
	flat_load_dword v16, v[15:16]
	v_mul_lo_u32 v15, v10, s4
	s_waitcnt vmcnt(0) lgkmcnt(0)
	v_mad_u64_u32 v[15:16], null, v16, s20, v[15:16]
	v_add_co_u32 v16, s1, v13, v3
	v_add_co_ci_u32_e64 v17, null, v14, v4, s1
	flat_store_dword v[16:17], v15
.LBB219_11:
	s_or_b32 exec_lo, exec_lo, s2
	v_add_co_u32 v5, s1, v5, 16
	v_add_co_ci_u32_e64 v6, null, 0, v6, s1
	v_cmp_gt_i64_e64 s1, s[28:29], v[5:6]
	s_and_saveexec_b32 s3, s1
	s_cbranch_execz .LBB219_13
; %bb.12:
	v_add_co_u32 v5, s2, v11, v3
	v_add_co_ci_u32_e64 v6, null, v12, v4, s2
	v_add_co_u32 v15, s2, v13, v3
	v_add_co_ci_u32_e64 v16, null, v14, v4, s2
	flat_load_dword v6, v[5:6] offset:64
	v_mul_lo_u32 v5, v9, s4
	s_waitcnt vmcnt(0) lgkmcnt(0)
	v_mad_u64_u32 v[5:6], null, v6, s20, v[5:6]
	flat_store_dword v[15:16], v5 offset:64
.LBB219_13:
	s_or_b32 exec_lo, exec_lo, s3
	v_add_co_u32 v5, s2, v1, 16
	v_add_co_ci_u32_e64 v6, null, 0, v2, s2
	v_cmp_gt_i64_e64 s2, s[30:31], v[5:6]
	s_and_b32 exec_lo, exec_lo, s2
	s_cbranch_execz .LBB219_18
; %bb.14:
	s_lshl_b64 s[2:3], s[14:15], 6
	v_add_co_u32 v5, s2, v11, s2
	v_add_co_ci_u32_e64 v6, null, s3, v12, s2
	s_lshl_b64 s[2:3], s[8:9], 6
	v_add_co_u32 v11, s2, v13, s2
	v_add_co_ci_u32_e64 v12, null, s3, v14, s2
	v_add_co_u32 v5, s2, v5, v3
	v_add_co_ci_u32_e64 v6, null, v6, v4, s2
	;; [unrolled: 2-line block ×3, first 2 shown]
	s_and_saveexec_b32 s2, vcc_lo
	s_cbranch_execz .LBB219_16
; %bb.15:
	flat_load_dword v12, v[5:6]
	v_mul_lo_u32 v11, v8, s4
	s_waitcnt vmcnt(0) lgkmcnt(0)
	v_mad_u64_u32 v[11:12], null, v12, s20, v[11:12]
	flat_store_dword v[3:4], v11
.LBB219_16:
	s_or_b32 exec_lo, exec_lo, s2
	s_and_b32 exec_lo, exec_lo, s1
	s_cbranch_execz .LBB219_18
; %bb.17:
	flat_load_dword v6, v[5:6] offset:64
	v_mul_lo_u32 v5, v7, s4
	s_waitcnt vmcnt(0) lgkmcnt(0)
	v_mad_u64_u32 v[5:6], null, v6, s20, v[5:6]
	flat_store_dword v[3:4], v5 offset:64
.LBB219_18:
	s_or_b32 exec_lo, exec_lo, s11
	s_cbranch_execz .LBB219_21
.LBB219_19:
	s_endpgm
.LBB219_20:
.LBB219_21:
	s_and_saveexec_b32 s1, s0
	s_cbranch_execz .LBB219_19
; %bb.22:
	v_mul_lo_u32 v5, v2, s8
	v_mul_lo_u32 v6, v1, s9
	v_mad_u64_u32 v[3:4], null, v1, s8, 0
	v_add3_u32 v4, v4, v6, v5
	v_add_co_u32 v5, s0, s6, v0
	v_add_co_ci_u32_e64 v6, null, s7, 0, s0
	v_lshlrev_b64 v[11:12], 2, v[3:4]
	v_cmp_gt_i64_e32 vcc_lo, s[28:29], v[5:6]
	v_lshlrev_b64 v[3:4], 2, v[5:6]
	v_add_co_u32 v0, s0, s5, v11
	v_add_co_ci_u32_e64 v11, null, s10, v12, s0
	s_and_saveexec_b32 s1, vcc_lo
	s_cbranch_execz .LBB219_24
; %bb.23:
	v_mul_lo_u32 v10, v10, s4
	v_add_co_u32 v12, s0, v0, v3
	v_add_co_ci_u32_e64 v13, null, v11, v4, s0
	flat_store_dword v[12:13], v10
.LBB219_24:
	s_or_b32 exec_lo, exec_lo, s1
	v_add_co_u32 v5, s0, v5, 16
	v_add_co_ci_u32_e64 v6, null, 0, v6, s0
	v_cmp_gt_i64_e64 s0, s[28:29], v[5:6]
	s_and_saveexec_b32 s2, s0
	s_cbranch_execz .LBB219_26
; %bb.25:
	v_mul_lo_u32 v9, v9, s4
	v_add_co_u32 v5, s1, v0, v3
	v_add_co_ci_u32_e64 v6, null, v11, v4, s1
	flat_store_dword v[5:6], v9 offset:64
.LBB219_26:
	s_or_b32 exec_lo, exec_lo, s2
	v_add_co_u32 v1, s1, v1, 16
	v_add_co_ci_u32_e64 v2, null, 0, v2, s1
	v_cmp_gt_i64_e64 s1, s[30:31], v[1:2]
	s_and_b32 exec_lo, exec_lo, s1
	s_cbranch_execz .LBB219_19
; %bb.27:
	s_lshl_b64 s[2:3], s[8:9], 6
	v_add_co_u32 v0, s1, v0, s2
	v_add_co_ci_u32_e64 v1, null, s3, v11, s1
	v_add_co_u32 v0, s1, v0, v3
	v_add_co_ci_u32_e64 v1, null, v1, v4, s1
	s_and_saveexec_b32 s1, vcc_lo
	s_cbranch_execz .LBB219_29
; %bb.28:
	v_mul_lo_u32 v2, v8, s4
	flat_store_dword v[0:1], v2
.LBB219_29:
	s_or_b32 exec_lo, exec_lo, s1
	s_and_b32 exec_lo, exec_lo, s0
	s_cbranch_execz .LBB219_19
; %bb.30:
	v_mul_lo_u32 v2, v7, s4
	flat_store_dword v[0:1], v2 offset:64
	s_endpgm
	.section	.rodata,"a",@progbits
	.p2align	6, 0x0
	.amdhsa_kernel _ZN12_GLOBAL__N_135rocblas_gemm_batched_general_kernelIiLi16ELi16ELi32ELi32ELi8ELi32ELi8ELi8ELi32ELc67ELc84EKPKaKPKiKPiEEvlllT_PT11_llSB_llS9_PT12_llPT13_lli
		.amdhsa_group_segment_fixed_size 2048
		.amdhsa_private_segment_fixed_size 0
		.amdhsa_kernarg_size 140
		.amdhsa_user_sgpr_count 6
		.amdhsa_user_sgpr_private_segment_buffer 1
		.amdhsa_user_sgpr_dispatch_ptr 0
		.amdhsa_user_sgpr_queue_ptr 0
		.amdhsa_user_sgpr_kernarg_segment_ptr 1
		.amdhsa_user_sgpr_dispatch_id 0
		.amdhsa_user_sgpr_flat_scratch_init 0
		.amdhsa_user_sgpr_private_segment_size 0
		.amdhsa_wavefront_size32 1
		.amdhsa_uses_dynamic_stack 0
		.amdhsa_system_sgpr_private_segment_wavefront_offset 0
		.amdhsa_system_sgpr_workgroup_id_x 1
		.amdhsa_system_sgpr_workgroup_id_y 1
		.amdhsa_system_sgpr_workgroup_id_z 1
		.amdhsa_system_sgpr_workgroup_info 0
		.amdhsa_system_vgpr_workitem_id 1
		.amdhsa_next_free_vgpr 45
		.amdhsa_next_free_sgpr 42
		.amdhsa_reserve_vcc 1
		.amdhsa_reserve_flat_scratch 0
		.amdhsa_float_round_mode_32 0
		.amdhsa_float_round_mode_16_64 0
		.amdhsa_float_denorm_mode_32 3
		.amdhsa_float_denorm_mode_16_64 3
		.amdhsa_dx10_clamp 1
		.amdhsa_ieee_mode 1
		.amdhsa_fp16_overflow 0
		.amdhsa_workgroup_processor_mode 1
		.amdhsa_memory_ordered 1
		.amdhsa_forward_progress 1
		.amdhsa_shared_vgpr_count 0
		.amdhsa_exception_fp_ieee_invalid_op 0
		.amdhsa_exception_fp_denorm_src 0
		.amdhsa_exception_fp_ieee_div_zero 0
		.amdhsa_exception_fp_ieee_overflow 0
		.amdhsa_exception_fp_ieee_underflow 0
		.amdhsa_exception_fp_ieee_inexact 0
		.amdhsa_exception_int_div_zero 0
	.end_amdhsa_kernel
	.section	.text._ZN12_GLOBAL__N_135rocblas_gemm_batched_general_kernelIiLi16ELi16ELi32ELi32ELi8ELi32ELi8ELi8ELi32ELc67ELc84EKPKaKPKiKPiEEvlllT_PT11_llSB_llS9_PT12_llPT13_lli,"axG",@progbits,_ZN12_GLOBAL__N_135rocblas_gemm_batched_general_kernelIiLi16ELi16ELi32ELi32ELi8ELi32ELi8ELi8ELi32ELc67ELc84EKPKaKPKiKPiEEvlllT_PT11_llSB_llS9_PT12_llPT13_lli,comdat
.Lfunc_end219:
	.size	_ZN12_GLOBAL__N_135rocblas_gemm_batched_general_kernelIiLi16ELi16ELi32ELi32ELi8ELi32ELi8ELi8ELi32ELc67ELc84EKPKaKPKiKPiEEvlllT_PT11_llSB_llS9_PT12_llPT13_lli, .Lfunc_end219-_ZN12_GLOBAL__N_135rocblas_gemm_batched_general_kernelIiLi16ELi16ELi32ELi32ELi8ELi32ELi8ELi8ELi32ELc67ELc84EKPKaKPKiKPiEEvlllT_PT11_llSB_llS9_PT12_llPT13_lli
                                        ; -- End function
	.set _ZN12_GLOBAL__N_135rocblas_gemm_batched_general_kernelIiLi16ELi16ELi32ELi32ELi8ELi32ELi8ELi8ELi32ELc67ELc84EKPKaKPKiKPiEEvlllT_PT11_llSB_llS9_PT12_llPT13_lli.num_vgpr, 45
	.set _ZN12_GLOBAL__N_135rocblas_gemm_batched_general_kernelIiLi16ELi16ELi32ELi32ELi8ELi32ELi8ELi8ELi32ELc67ELc84EKPKaKPKiKPiEEvlllT_PT11_llSB_llS9_PT12_llPT13_lli.num_agpr, 0
	.set _ZN12_GLOBAL__N_135rocblas_gemm_batched_general_kernelIiLi16ELi16ELi32ELi32ELi8ELi32ELi8ELi8ELi32ELc67ELc84EKPKaKPKiKPiEEvlllT_PT11_llSB_llS9_PT12_llPT13_lli.numbered_sgpr, 42
	.set _ZN12_GLOBAL__N_135rocblas_gemm_batched_general_kernelIiLi16ELi16ELi32ELi32ELi8ELi32ELi8ELi8ELi32ELc67ELc84EKPKaKPKiKPiEEvlllT_PT11_llSB_llS9_PT12_llPT13_lli.num_named_barrier, 0
	.set _ZN12_GLOBAL__N_135rocblas_gemm_batched_general_kernelIiLi16ELi16ELi32ELi32ELi8ELi32ELi8ELi8ELi32ELc67ELc84EKPKaKPKiKPiEEvlllT_PT11_llSB_llS9_PT12_llPT13_lli.private_seg_size, 0
	.set _ZN12_GLOBAL__N_135rocblas_gemm_batched_general_kernelIiLi16ELi16ELi32ELi32ELi8ELi32ELi8ELi8ELi32ELc67ELc84EKPKaKPKiKPiEEvlllT_PT11_llSB_llS9_PT12_llPT13_lli.uses_vcc, 1
	.set _ZN12_GLOBAL__N_135rocblas_gemm_batched_general_kernelIiLi16ELi16ELi32ELi32ELi8ELi32ELi8ELi8ELi32ELc67ELc84EKPKaKPKiKPiEEvlllT_PT11_llSB_llS9_PT12_llPT13_lli.uses_flat_scratch, 0
	.set _ZN12_GLOBAL__N_135rocblas_gemm_batched_general_kernelIiLi16ELi16ELi32ELi32ELi8ELi32ELi8ELi8ELi32ELc67ELc84EKPKaKPKiKPiEEvlllT_PT11_llSB_llS9_PT12_llPT13_lli.has_dyn_sized_stack, 0
	.set _ZN12_GLOBAL__N_135rocblas_gemm_batched_general_kernelIiLi16ELi16ELi32ELi32ELi8ELi32ELi8ELi8ELi32ELc67ELc84EKPKaKPKiKPiEEvlllT_PT11_llSB_llS9_PT12_llPT13_lli.has_recursion, 0
	.set _ZN12_GLOBAL__N_135rocblas_gemm_batched_general_kernelIiLi16ELi16ELi32ELi32ELi8ELi32ELi8ELi8ELi32ELc67ELc84EKPKaKPKiKPiEEvlllT_PT11_llSB_llS9_PT12_llPT13_lli.has_indirect_call, 0
	.section	.AMDGPU.csdata,"",@progbits
; Kernel info:
; codeLenInByte = 2140
; TotalNumSgprs: 44
; NumVgprs: 45
; ScratchSize: 0
; MemoryBound: 0
; FloatMode: 240
; IeeeMode: 1
; LDSByteSize: 2048 bytes/workgroup (compile time only)
; SGPRBlocks: 0
; VGPRBlocks: 5
; NumSGPRsForWavesPerEU: 44
; NumVGPRsForWavesPerEU: 45
; Occupancy: 16
; WaveLimiterHint : 1
; COMPUTE_PGM_RSRC2:SCRATCH_EN: 0
; COMPUTE_PGM_RSRC2:USER_SGPR: 6
; COMPUTE_PGM_RSRC2:TRAP_HANDLER: 0
; COMPUTE_PGM_RSRC2:TGID_X_EN: 1
; COMPUTE_PGM_RSRC2:TGID_Y_EN: 1
; COMPUTE_PGM_RSRC2:TGID_Z_EN: 1
; COMPUTE_PGM_RSRC2:TIDIG_COMP_CNT: 1
	.section	.text._ZN12_GLOBAL__N_135rocblas_gemm_batched_general_kernelIiLi16ELi16ELi32ELi32ELi8ELi32ELi8ELi8ELi32ELc78ELc67EKPKaKPKiKPiEEvlllT_PT11_llSB_llS9_PT12_llPT13_lli,"axG",@progbits,_ZN12_GLOBAL__N_135rocblas_gemm_batched_general_kernelIiLi16ELi16ELi32ELi32ELi8ELi32ELi8ELi8ELi32ELc78ELc67EKPKaKPKiKPiEEvlllT_PT11_llSB_llS9_PT12_llPT13_lli,comdat
	.globl	_ZN12_GLOBAL__N_135rocblas_gemm_batched_general_kernelIiLi16ELi16ELi32ELi32ELi8ELi32ELi8ELi8ELi32ELc78ELc67EKPKaKPKiKPiEEvlllT_PT11_llSB_llS9_PT12_llPT13_lli ; -- Begin function _ZN12_GLOBAL__N_135rocblas_gemm_batched_general_kernelIiLi16ELi16ELi32ELi32ELi8ELi32ELi8ELi8ELi32ELc78ELc67EKPKaKPKiKPiEEvlllT_PT11_llSB_llS9_PT12_llPT13_lli
	.p2align	8
	.type	_ZN12_GLOBAL__N_135rocblas_gemm_batched_general_kernelIiLi16ELi16ELi32ELi32ELi8ELi32ELi8ELi8ELi32ELc78ELc67EKPKaKPKiKPiEEvlllT_PT11_llSB_llS9_PT12_llPT13_lli,@function
_ZN12_GLOBAL__N_135rocblas_gemm_batched_general_kernelIiLi16ELi16ELi32ELi32ELi8ELi32ELi8ELi8ELi32ELc78ELc67EKPKaKPKiKPiEEvlllT_PT11_llSB_llS9_PT12_llPT13_lli: ; @_ZN12_GLOBAL__N_135rocblas_gemm_batched_general_kernelIiLi16ELi16ELi32ELi32ELi8ELi32ELi8ELi8ELi32ELc78ELc67EKPKaKPKiKPiEEvlllT_PT11_llSB_llS9_PT12_llPT13_lli
; %bb.0:
	s_clause 0x1
	s_load_dwordx8 s[12:19], s[4:5], 0x58
	s_load_dwordx2 s[34:35], s[4:5], 0x10
	s_mov_b32 s9, 0
	s_load_dwordx4 s[28:31], s[4:5], 0x0
	s_lshl_b64 s[0:1], s[8:9], 3
	s_load_dwordx4 s[8:11], s[4:5], 0x78
	s_mov_b32 s20, s7
	v_mov_b32_e32 v10, 0
	v_mov_b32_e32 v9, 0
	v_mov_b32_e32 v8, 0
	v_mov_b32_e32 v7, 0
	s_waitcnt lgkmcnt(0)
	s_add_u32 s2, s12, s0
	s_addc_u32 s3, s13, s1
	s_add_u32 s12, s18, s0
	s_addc_u32 s13, s19, s1
	s_load_dwordx2 s[2:3], s[2:3], 0x0
	s_load_dwordx2 s[12:13], s[12:13], 0x0
	v_cmp_lt_i64_e64 s18, s[34:35], 1
	s_ashr_i32 s7, s6, 31
	s_ashr_i32 s21, s20, 31
	s_lshl_b64 s[6:7], s[6:7], 5
	s_and_b32 vcc_lo, exec_lo, s18
	s_lshl_b64 s[18:19], s[20:21], 5
	s_cbranch_vccnz .LBB220_7
; %bb.1:
	s_clause 0x1
	s_load_dwordx8 s[20:27], s[4:5], 0x20
	s_load_dwordx4 s[36:39], s[4:5], 0x40
	v_lshl_add_u32 v2, v1, 4, v0
	v_and_b32_e32 v6, 7, v0
	v_mov_b32_e32 v3, s7
	v_lshlrev_b32_e32 v11, 2, v0
	v_mov_b32_e32 v7, 0
	v_lshrrev_b32_e32 v10, 3, v2
	v_lshrrev_b32_e32 v13, 5, v2
	v_and_b32_e32 v22, 31, v2
	v_lshlrev_b32_e32 v14, 2, v6
	v_lshl_add_u32 v12, v1, 5, 0x400
	v_mov_b32_e32 v8, 0
	v_mov_b32_e32 v9, 0
	v_or_b32_e32 v2, s6, v22
	v_lshl_or_b32 v23, v10, 5, v14
	v_lshlrev_b32_e32 v15, 2, v22
	s_waitcnt lgkmcnt(0)
	s_add_u32 s26, s26, s0
	s_addc_u32 s27, s27, s1
	s_add_u32 s0, s20, s0
	s_load_dwordx2 s[26:27], s[26:27], 0x0
	s_addc_u32 s1, s21, s1
	v_add_co_u32 v4, s33, s38, v10
	v_add_co_ci_u32_e64 v5, null, s39, 0, s33
	v_lshl_or_b32 v14, v13, 7, v15
	v_add_nc_u32_e32 v15, 0x400, v23
	v_mad_u64_u32 v[4:5], null, s36, v6, v[4:5]
	s_waitcnt lgkmcnt(0)
	s_add_u32 s26, s26, s18
	s_addc_u32 s27, s27, s19
	s_lshl_b64 s[20:21], s[36:37], 3
	s_add_u32 s24, s6, s24
	s_addc_u32 s25, s7, s25
	v_mad_u64_u32 v[16:17], null, s22, v13, s[24:25]
	v_add_co_u32 v18, s24, v10, s18
	v_add_co_ci_u32_e64 v19, null, 0, s19, s24
	s_load_dwordx2 s[24:25], s[0:1], 0x0
	v_cmp_gt_i64_e64 s0, s[28:29], v[2:3]
	v_mov_b32_e32 v10, v17
	v_mov_b32_e32 v2, v5
	v_cmp_gt_i64_e64 s1, s[30:31], v[18:19]
	v_add_co_u32 v5, vcc_lo, v16, v22
	v_mad_u64_u32 v[20:21], null, s23, v13, v[10:11]
	v_mad_u64_u32 v[17:18], null, s37, v6, v[2:3]
	s_lshl_b64 s[22:23], s[22:23], 3
	v_add_co_ci_u32_e64 v10, null, 0, v20, vcc_lo
	v_add_co_u32 v2, vcc_lo, s26, v4
	v_add_co_ci_u32_e64 v3, null, s27, v17, vcc_lo
	s_waitcnt lgkmcnt(0)
	v_add_co_u32 v4, vcc_lo, s24, v5
	v_add_co_ci_u32_e64 v5, null, s25, v10, vcc_lo
	v_mov_b32_e32 v10, 0
	s_mov_b64 s[24:25], 0
	s_branch .LBB220_3
.LBB220_2:                              ;   in Loop: Header=BB220_3 Depth=1
	s_or_b32 exec_lo, exec_lo, s26
	s_waitcnt vmcnt(0) lgkmcnt(0)
	ds_write_b32 v15, v17
	s_waitcnt lgkmcnt(0)
	s_barrier
	buffer_gl0_inv
	ds_read_b128 v[16:19], v12
	ds_read2_b32 v[32:33], v11 offset1:16
	ds_read_b128 v[20:23], v12 offset:512
	ds_read2_b32 v[34:35], v11 offset0:32 offset1:48
	ds_read2_b32 v[36:37], v11 offset0:64 offset1:80
	;; [unrolled: 1-line block ×3, first 2 shown]
	ds_read_b128 v[24:27], v12 offset:16
	ds_read2_b32 v[40:41], v11 offset0:128 offset1:144
	ds_read_b128 v[28:31], v12 offset:528
	ds_read2_b32 v[42:43], v11 offset0:160 offset1:176
	s_add_u32 s24, s24, 8
	s_addc_u32 s25, s25, 0
	v_add_co_u32 v2, vcc_lo, v2, s20
	v_cmp_lt_i64_e64 s26, s[24:25], s[34:35]
	v_add_co_ci_u32_e64 v3, null, s21, v3, vcc_lo
	v_add_co_u32 v4, vcc_lo, v4, s22
	v_add_co_ci_u32_e64 v5, null, s23, v5, vcc_lo
	s_waitcnt lgkmcnt(8)
	v_mul_lo_u32 v44, v16, v32
	v_mul_lo_u32 v16, v16, v33
	s_waitcnt lgkmcnt(7)
	v_mul_lo_u32 v32, v20, v32
	v_mul_lo_u32 v20, v20, v33
	;; [unrolled: 3-line block ×3, first 2 shown]
	v_mul_lo_u32 v34, v21, v34
	v_mul_lo_u32 v21, v21, v35
	s_waitcnt lgkmcnt(5)
	v_mul_lo_u32 v35, v18, v36
	v_mul_lo_u32 v18, v18, v37
	;; [unrolled: 1-line block ×4, first 2 shown]
	v_add3_u32 v33, v10, v44, v33
	v_add3_u32 v44, v9, v16, v17
	ds_read2_b32 v[9:10], v11 offset0:192 offset1:208
	ds_read2_b32 v[16:17], v11 offset0:224 offset1:240
	s_waitcnt lgkmcnt(6)
	v_mul_lo_u32 v37, v19, v38
	v_mul_lo_u32 v19, v19, v39
	;; [unrolled: 1-line block ×4, first 2 shown]
	v_add3_u32 v7, v7, v20, v21
	s_waitcnt lgkmcnt(4)
	v_mul_lo_u32 v20, v24, v40
	s_waitcnt lgkmcnt(2)
	v_mul_lo_u32 v21, v25, v42
	v_add3_u32 v8, v8, v32, v34
	v_add3_u32 v32, v33, v35, v37
	;; [unrolled: 1-line block ×3, first 2 shown]
	v_mul_lo_u32 v19, v24, v41
	v_add3_u32 v7, v7, v22, v23
	v_mul_lo_u32 v22, v28, v40
	v_mul_lo_u32 v23, v28, v41
	v_add3_u32 v20, v32, v20, v21
	v_mul_lo_u32 v21, v25, v43
	v_mul_lo_u32 v24, v29, v42
	;; [unrolled: 1-line block ×3, first 2 shown]
	v_add3_u32 v8, v8, v36, v38
	s_waitcnt lgkmcnt(1)
	v_mul_lo_u32 v28, v26, v9
	v_mul_lo_u32 v26, v26, v10
	;; [unrolled: 1-line block ×4, first 2 shown]
	s_waitcnt lgkmcnt(0)
	v_mul_lo_u32 v9, v27, v16
	v_mul_lo_u32 v27, v27, v17
	;; [unrolled: 1-line block ×4, first 2 shown]
	v_add3_u32 v18, v18, v19, v21
	v_add3_u32 v8, v8, v22, v24
	;; [unrolled: 1-line block ×3, first 2 shown]
	s_and_b32 vcc_lo, exec_lo, s26
	v_add3_u32 v10, v20, v28, v9
	v_add3_u32 v9, v18, v26, v27
	v_add3_u32 v8, v8, v29, v16
	v_add3_u32 v7, v7, v30, v17
	s_barrier
	buffer_gl0_inv
	s_cbranch_vccz .LBB220_7
.LBB220_3:                              ; =>This Inner Loop Header: Depth=1
	v_add_co_u32 v16, s26, v13, s24
	v_add_co_ci_u32_e64 v17, null, 0, s25, s26
	v_cmp_gt_i64_e32 vcc_lo, s[34:35], v[16:17]
	v_mov_b32_e32 v16, 0
	s_and_b32 s27, s0, vcc_lo
	s_and_saveexec_b32 s26, s27
	s_cbranch_execz .LBB220_5
; %bb.4:                                ;   in Loop: Header=BB220_3 Depth=1
	flat_load_sbyte v16, v[4:5]
.LBB220_5:                              ;   in Loop: Header=BB220_3 Depth=1
	s_or_b32 exec_lo, exec_lo, s26
	v_add_co_u32 v17, s26, v6, s24
	v_add_co_ci_u32_e64 v18, null, 0, s25, s26
	s_waitcnt vmcnt(0) lgkmcnt(0)
	ds_write_b32 v14, v16
	v_cmp_gt_i64_e32 vcc_lo, s[34:35], v[17:18]
	v_mov_b32_e32 v17, 0
	s_and_b32 s27, vcc_lo, s1
	s_and_saveexec_b32 s26, s27
	s_cbranch_execz .LBB220_2
; %bb.6:                                ;   in Loop: Header=BB220_3 Depth=1
	flat_load_sbyte v17, v[2:3]
	s_branch .LBB220_2
.LBB220_7:
	s_clause 0x1
	s_load_dword s20, s[4:5], 0x50
	s_load_dword s4, s[4:5], 0x18
	v_add_co_u32 v1, s0, s18, v1
	v_add_co_ci_u32_e64 v2, null, s19, 0, s0
	s_lshl_b64 s[10:11], s[10:11], 2
	s_waitcnt lgkmcnt(0)
	s_add_u32 s5, s12, s10
	v_cmp_gt_i64_e64 s0, s[30:31], v[1:2]
	s_addc_u32 s10, s13, s11
	s_cmp_eq_u32 s20, 0
	s_cbranch_scc1 .LBB220_20
; %bb.8:
	s_and_saveexec_b32 s11, s0
	s_cbranch_execz .LBB220_18
; %bb.9:
	v_mul_lo_u32 v5, v2, s14
	v_mul_lo_u32 v6, v1, s15
	v_mad_u64_u32 v[3:4], null, v1, s14, 0
	v_mul_lo_u32 v13, v2, s8
	v_mul_lo_u32 v14, v1, s9
	v_mad_u64_u32 v[11:12], null, v1, s8, 0
	s_lshl_b64 s[12:13], s[16:17], 2
	v_add3_u32 v4, v4, v6, v5
	v_add_co_u32 v5, s1, s6, v0
	v_add_co_ci_u32_e64 v6, null, s7, 0, s1
	v_add3_u32 v12, v12, v14, v13
	v_lshlrev_b64 v[3:4], 2, v[3:4]
	s_add_u32 s1, s2, s12
	s_addc_u32 s2, s3, s13
	v_cmp_gt_i64_e32 vcc_lo, s[28:29], v[5:6]
	v_lshlrev_b64 v[13:14], 2, v[11:12]
	v_add_co_u32 v11, s1, s1, v3
	v_add_co_ci_u32_e64 v12, null, s2, v4, s1
	v_add_co_u32 v13, s1, s5, v13
	v_lshlrev_b64 v[3:4], 2, v[5:6]
	v_add_co_ci_u32_e64 v14, null, s10, v14, s1
	s_and_saveexec_b32 s2, vcc_lo
	s_cbranch_execz .LBB220_11
; %bb.10:
	v_add_co_u32 v15, s1, v11, v3
	v_add_co_ci_u32_e64 v16, null, v12, v4, s1
	flat_load_dword v16, v[15:16]
	v_mul_lo_u32 v15, v10, s4
	s_waitcnt vmcnt(0) lgkmcnt(0)
	v_mad_u64_u32 v[15:16], null, v16, s20, v[15:16]
	v_add_co_u32 v16, s1, v13, v3
	v_add_co_ci_u32_e64 v17, null, v14, v4, s1
	flat_store_dword v[16:17], v15
.LBB220_11:
	s_or_b32 exec_lo, exec_lo, s2
	v_add_co_u32 v5, s1, v5, 16
	v_add_co_ci_u32_e64 v6, null, 0, v6, s1
	v_cmp_gt_i64_e64 s1, s[28:29], v[5:6]
	s_and_saveexec_b32 s3, s1
	s_cbranch_execz .LBB220_13
; %bb.12:
	v_add_co_u32 v5, s2, v11, v3
	v_add_co_ci_u32_e64 v6, null, v12, v4, s2
	v_add_co_u32 v15, s2, v13, v3
	v_add_co_ci_u32_e64 v16, null, v14, v4, s2
	flat_load_dword v6, v[5:6] offset:64
	v_mul_lo_u32 v5, v9, s4
	s_waitcnt vmcnt(0) lgkmcnt(0)
	v_mad_u64_u32 v[5:6], null, v6, s20, v[5:6]
	flat_store_dword v[15:16], v5 offset:64
.LBB220_13:
	s_or_b32 exec_lo, exec_lo, s3
	v_add_co_u32 v5, s2, v1, 16
	v_add_co_ci_u32_e64 v6, null, 0, v2, s2
	v_cmp_gt_i64_e64 s2, s[30:31], v[5:6]
	s_and_b32 exec_lo, exec_lo, s2
	s_cbranch_execz .LBB220_18
; %bb.14:
	s_lshl_b64 s[2:3], s[14:15], 6
	v_add_co_u32 v5, s2, v11, s2
	v_add_co_ci_u32_e64 v6, null, s3, v12, s2
	s_lshl_b64 s[2:3], s[8:9], 6
	v_add_co_u32 v11, s2, v13, s2
	v_add_co_ci_u32_e64 v12, null, s3, v14, s2
	v_add_co_u32 v5, s2, v5, v3
	v_add_co_ci_u32_e64 v6, null, v6, v4, s2
	v_add_co_u32 v3, s2, v11, v3
	v_add_co_ci_u32_e64 v4, null, v12, v4, s2
	s_and_saveexec_b32 s2, vcc_lo
	s_cbranch_execz .LBB220_16
; %bb.15:
	flat_load_dword v12, v[5:6]
	v_mul_lo_u32 v11, v8, s4
	s_waitcnt vmcnt(0) lgkmcnt(0)
	v_mad_u64_u32 v[11:12], null, v12, s20, v[11:12]
	flat_store_dword v[3:4], v11
.LBB220_16:
	s_or_b32 exec_lo, exec_lo, s2
	s_and_b32 exec_lo, exec_lo, s1
	s_cbranch_execz .LBB220_18
; %bb.17:
	flat_load_dword v6, v[5:6] offset:64
	v_mul_lo_u32 v5, v7, s4
	s_waitcnt vmcnt(0) lgkmcnt(0)
	v_mad_u64_u32 v[5:6], null, v6, s20, v[5:6]
	flat_store_dword v[3:4], v5 offset:64
.LBB220_18:
	s_or_b32 exec_lo, exec_lo, s11
	s_cbranch_execz .LBB220_21
.LBB220_19:
	s_endpgm
.LBB220_20:
.LBB220_21:
	s_and_saveexec_b32 s1, s0
	s_cbranch_execz .LBB220_19
; %bb.22:
	v_mul_lo_u32 v5, v2, s8
	v_mul_lo_u32 v6, v1, s9
	v_mad_u64_u32 v[3:4], null, v1, s8, 0
	v_add3_u32 v4, v4, v6, v5
	v_add_co_u32 v5, s0, s6, v0
	v_add_co_ci_u32_e64 v6, null, s7, 0, s0
	v_lshlrev_b64 v[11:12], 2, v[3:4]
	v_cmp_gt_i64_e32 vcc_lo, s[28:29], v[5:6]
	v_lshlrev_b64 v[3:4], 2, v[5:6]
	v_add_co_u32 v0, s0, s5, v11
	v_add_co_ci_u32_e64 v11, null, s10, v12, s0
	s_and_saveexec_b32 s1, vcc_lo
	s_cbranch_execz .LBB220_24
; %bb.23:
	v_mul_lo_u32 v10, v10, s4
	v_add_co_u32 v12, s0, v0, v3
	v_add_co_ci_u32_e64 v13, null, v11, v4, s0
	flat_store_dword v[12:13], v10
.LBB220_24:
	s_or_b32 exec_lo, exec_lo, s1
	v_add_co_u32 v5, s0, v5, 16
	v_add_co_ci_u32_e64 v6, null, 0, v6, s0
	v_cmp_gt_i64_e64 s0, s[28:29], v[5:6]
	s_and_saveexec_b32 s2, s0
	s_cbranch_execz .LBB220_26
; %bb.25:
	v_mul_lo_u32 v9, v9, s4
	v_add_co_u32 v5, s1, v0, v3
	v_add_co_ci_u32_e64 v6, null, v11, v4, s1
	flat_store_dword v[5:6], v9 offset:64
.LBB220_26:
	s_or_b32 exec_lo, exec_lo, s2
	v_add_co_u32 v1, s1, v1, 16
	v_add_co_ci_u32_e64 v2, null, 0, v2, s1
	v_cmp_gt_i64_e64 s1, s[30:31], v[1:2]
	s_and_b32 exec_lo, exec_lo, s1
	s_cbranch_execz .LBB220_19
; %bb.27:
	s_lshl_b64 s[2:3], s[8:9], 6
	v_add_co_u32 v0, s1, v0, s2
	v_add_co_ci_u32_e64 v1, null, s3, v11, s1
	v_add_co_u32 v0, s1, v0, v3
	v_add_co_ci_u32_e64 v1, null, v1, v4, s1
	s_and_saveexec_b32 s1, vcc_lo
	s_cbranch_execz .LBB220_29
; %bb.28:
	v_mul_lo_u32 v2, v8, s4
	flat_store_dword v[0:1], v2
.LBB220_29:
	s_or_b32 exec_lo, exec_lo, s1
	s_and_b32 exec_lo, exec_lo, s0
	s_cbranch_execz .LBB220_19
; %bb.30:
	v_mul_lo_u32 v2, v7, s4
	flat_store_dword v[0:1], v2 offset:64
	s_endpgm
	.section	.rodata,"a",@progbits
	.p2align	6, 0x0
	.amdhsa_kernel _ZN12_GLOBAL__N_135rocblas_gemm_batched_general_kernelIiLi16ELi16ELi32ELi32ELi8ELi32ELi8ELi8ELi32ELc78ELc67EKPKaKPKiKPiEEvlllT_PT11_llSB_llS9_PT12_llPT13_lli
		.amdhsa_group_segment_fixed_size 2048
		.amdhsa_private_segment_fixed_size 0
		.amdhsa_kernarg_size 140
		.amdhsa_user_sgpr_count 6
		.amdhsa_user_sgpr_private_segment_buffer 1
		.amdhsa_user_sgpr_dispatch_ptr 0
		.amdhsa_user_sgpr_queue_ptr 0
		.amdhsa_user_sgpr_kernarg_segment_ptr 1
		.amdhsa_user_sgpr_dispatch_id 0
		.amdhsa_user_sgpr_flat_scratch_init 0
		.amdhsa_user_sgpr_private_segment_size 0
		.amdhsa_wavefront_size32 1
		.amdhsa_uses_dynamic_stack 0
		.amdhsa_system_sgpr_private_segment_wavefront_offset 0
		.amdhsa_system_sgpr_workgroup_id_x 1
		.amdhsa_system_sgpr_workgroup_id_y 1
		.amdhsa_system_sgpr_workgroup_id_z 1
		.amdhsa_system_sgpr_workgroup_info 0
		.amdhsa_system_vgpr_workitem_id 1
		.amdhsa_next_free_vgpr 45
		.amdhsa_next_free_sgpr 40
		.amdhsa_reserve_vcc 1
		.amdhsa_reserve_flat_scratch 0
		.amdhsa_float_round_mode_32 0
		.amdhsa_float_round_mode_16_64 0
		.amdhsa_float_denorm_mode_32 3
		.amdhsa_float_denorm_mode_16_64 3
		.amdhsa_dx10_clamp 1
		.amdhsa_ieee_mode 1
		.amdhsa_fp16_overflow 0
		.amdhsa_workgroup_processor_mode 1
		.amdhsa_memory_ordered 1
		.amdhsa_forward_progress 1
		.amdhsa_shared_vgpr_count 0
		.amdhsa_exception_fp_ieee_invalid_op 0
		.amdhsa_exception_fp_denorm_src 0
		.amdhsa_exception_fp_ieee_div_zero 0
		.amdhsa_exception_fp_ieee_overflow 0
		.amdhsa_exception_fp_ieee_underflow 0
		.amdhsa_exception_fp_ieee_inexact 0
		.amdhsa_exception_int_div_zero 0
	.end_amdhsa_kernel
	.section	.text._ZN12_GLOBAL__N_135rocblas_gemm_batched_general_kernelIiLi16ELi16ELi32ELi32ELi8ELi32ELi8ELi8ELi32ELc78ELc67EKPKaKPKiKPiEEvlllT_PT11_llSB_llS9_PT12_llPT13_lli,"axG",@progbits,_ZN12_GLOBAL__N_135rocblas_gemm_batched_general_kernelIiLi16ELi16ELi32ELi32ELi8ELi32ELi8ELi8ELi32ELc78ELc67EKPKaKPKiKPiEEvlllT_PT11_llSB_llS9_PT12_llPT13_lli,comdat
.Lfunc_end220:
	.size	_ZN12_GLOBAL__N_135rocblas_gemm_batched_general_kernelIiLi16ELi16ELi32ELi32ELi8ELi32ELi8ELi8ELi32ELc78ELc67EKPKaKPKiKPiEEvlllT_PT11_llSB_llS9_PT12_llPT13_lli, .Lfunc_end220-_ZN12_GLOBAL__N_135rocblas_gemm_batched_general_kernelIiLi16ELi16ELi32ELi32ELi8ELi32ELi8ELi8ELi32ELc78ELc67EKPKaKPKiKPiEEvlllT_PT11_llSB_llS9_PT12_llPT13_lli
                                        ; -- End function
	.set _ZN12_GLOBAL__N_135rocblas_gemm_batched_general_kernelIiLi16ELi16ELi32ELi32ELi8ELi32ELi8ELi8ELi32ELc78ELc67EKPKaKPKiKPiEEvlllT_PT11_llSB_llS9_PT12_llPT13_lli.num_vgpr, 45
	.set _ZN12_GLOBAL__N_135rocblas_gemm_batched_general_kernelIiLi16ELi16ELi32ELi32ELi8ELi32ELi8ELi8ELi32ELc78ELc67EKPKaKPKiKPiEEvlllT_PT11_llSB_llS9_PT12_llPT13_lli.num_agpr, 0
	.set _ZN12_GLOBAL__N_135rocblas_gemm_batched_general_kernelIiLi16ELi16ELi32ELi32ELi8ELi32ELi8ELi8ELi32ELc78ELc67EKPKaKPKiKPiEEvlllT_PT11_llSB_llS9_PT12_llPT13_lli.numbered_sgpr, 40
	.set _ZN12_GLOBAL__N_135rocblas_gemm_batched_general_kernelIiLi16ELi16ELi32ELi32ELi8ELi32ELi8ELi8ELi32ELc78ELc67EKPKaKPKiKPiEEvlllT_PT11_llSB_llS9_PT12_llPT13_lli.num_named_barrier, 0
	.set _ZN12_GLOBAL__N_135rocblas_gemm_batched_general_kernelIiLi16ELi16ELi32ELi32ELi8ELi32ELi8ELi8ELi32ELc78ELc67EKPKaKPKiKPiEEvlllT_PT11_llSB_llS9_PT12_llPT13_lli.private_seg_size, 0
	.set _ZN12_GLOBAL__N_135rocblas_gemm_batched_general_kernelIiLi16ELi16ELi32ELi32ELi8ELi32ELi8ELi8ELi32ELc78ELc67EKPKaKPKiKPiEEvlllT_PT11_llSB_llS9_PT12_llPT13_lli.uses_vcc, 1
	.set _ZN12_GLOBAL__N_135rocblas_gemm_batched_general_kernelIiLi16ELi16ELi32ELi32ELi8ELi32ELi8ELi8ELi32ELc78ELc67EKPKaKPKiKPiEEvlllT_PT11_llSB_llS9_PT12_llPT13_lli.uses_flat_scratch, 0
	.set _ZN12_GLOBAL__N_135rocblas_gemm_batched_general_kernelIiLi16ELi16ELi32ELi32ELi8ELi32ELi8ELi8ELi32ELc78ELc67EKPKaKPKiKPiEEvlllT_PT11_llSB_llS9_PT12_llPT13_lli.has_dyn_sized_stack, 0
	.set _ZN12_GLOBAL__N_135rocblas_gemm_batched_general_kernelIiLi16ELi16ELi32ELi32ELi8ELi32ELi8ELi8ELi32ELc78ELc67EKPKaKPKiKPiEEvlllT_PT11_llSB_llS9_PT12_llPT13_lli.has_recursion, 0
	.set _ZN12_GLOBAL__N_135rocblas_gemm_batched_general_kernelIiLi16ELi16ELi32ELi32ELi8ELi32ELi8ELi8ELi32ELc78ELc67EKPKaKPKiKPiEEvlllT_PT11_llSB_llS9_PT12_llPT13_lli.has_indirect_call, 0
	.section	.AMDGPU.csdata,"",@progbits
; Kernel info:
; codeLenInByte = 2132
; TotalNumSgprs: 42
; NumVgprs: 45
; ScratchSize: 0
; MemoryBound: 0
; FloatMode: 240
; IeeeMode: 1
; LDSByteSize: 2048 bytes/workgroup (compile time only)
; SGPRBlocks: 0
; VGPRBlocks: 5
; NumSGPRsForWavesPerEU: 42
; NumVGPRsForWavesPerEU: 45
; Occupancy: 16
; WaveLimiterHint : 1
; COMPUTE_PGM_RSRC2:SCRATCH_EN: 0
; COMPUTE_PGM_RSRC2:USER_SGPR: 6
; COMPUTE_PGM_RSRC2:TRAP_HANDLER: 0
; COMPUTE_PGM_RSRC2:TGID_X_EN: 1
; COMPUTE_PGM_RSRC2:TGID_Y_EN: 1
; COMPUTE_PGM_RSRC2:TGID_Z_EN: 1
; COMPUTE_PGM_RSRC2:TIDIG_COMP_CNT: 1
	.section	.text._ZN12_GLOBAL__N_135rocblas_gemm_batched_general_kernelIiLi16ELi16ELi32ELi32ELi8ELi32ELi8ELi8ELi32ELc84ELc67EKPKaKPKiKPiEEvlllT_PT11_llSB_llS9_PT12_llPT13_lli,"axG",@progbits,_ZN12_GLOBAL__N_135rocblas_gemm_batched_general_kernelIiLi16ELi16ELi32ELi32ELi8ELi32ELi8ELi8ELi32ELc84ELc67EKPKaKPKiKPiEEvlllT_PT11_llSB_llS9_PT12_llPT13_lli,comdat
	.globl	_ZN12_GLOBAL__N_135rocblas_gemm_batched_general_kernelIiLi16ELi16ELi32ELi32ELi8ELi32ELi8ELi8ELi32ELc84ELc67EKPKaKPKiKPiEEvlllT_PT11_llSB_llS9_PT12_llPT13_lli ; -- Begin function _ZN12_GLOBAL__N_135rocblas_gemm_batched_general_kernelIiLi16ELi16ELi32ELi32ELi8ELi32ELi8ELi8ELi32ELc84ELc67EKPKaKPKiKPiEEvlllT_PT11_llSB_llS9_PT12_llPT13_lli
	.p2align	8
	.type	_ZN12_GLOBAL__N_135rocblas_gemm_batched_general_kernelIiLi16ELi16ELi32ELi32ELi8ELi32ELi8ELi8ELi32ELc84ELc67EKPKaKPKiKPiEEvlllT_PT11_llSB_llS9_PT12_llPT13_lli,@function
_ZN12_GLOBAL__N_135rocblas_gemm_batched_general_kernelIiLi16ELi16ELi32ELi32ELi8ELi32ELi8ELi8ELi32ELc84ELc67EKPKaKPKiKPiEEvlllT_PT11_llSB_llS9_PT12_llPT13_lli: ; @_ZN12_GLOBAL__N_135rocblas_gemm_batched_general_kernelIiLi16ELi16ELi32ELi32ELi8ELi32ELi8ELi8ELi32ELc84ELc67EKPKaKPKiKPiEEvlllT_PT11_llSB_llS9_PT12_llPT13_lli
; %bb.0:
	s_clause 0x1
	s_load_dwordx8 s[12:19], s[4:5], 0x58
	s_load_dwordx2 s[34:35], s[4:5], 0x10
	s_mov_b32 s9, 0
	s_load_dwordx4 s[28:31], s[4:5], 0x0
	s_lshl_b64 s[40:41], s[8:9], 3
	s_load_dwordx4 s[8:11], s[4:5], 0x78
	s_mov_b32 s0, s7
	v_mov_b32_e32 v10, 0
	v_mov_b32_e32 v9, 0
	;; [unrolled: 1-line block ×4, first 2 shown]
	s_waitcnt lgkmcnt(0)
	s_add_u32 s2, s12, s40
	s_addc_u32 s3, s13, s41
	s_add_u32 s12, s18, s40
	s_addc_u32 s13, s19, s41
	s_load_dwordx2 s[2:3], s[2:3], 0x0
	s_load_dwordx2 s[12:13], s[12:13], 0x0
	v_cmp_lt_i64_e64 s18, s[34:35], 1
	s_ashr_i32 s7, s6, 31
	s_ashr_i32 s1, s0, 31
	s_lshl_b64 s[6:7], s[6:7], 5
	s_and_b32 vcc_lo, exec_lo, s18
	s_lshl_b64 s[18:19], s[0:1], 5
	s_cbranch_vccnz .LBB221_7
; %bb.1:
	s_clause 0x1
	s_load_dwordx8 s[20:27], s[4:5], 0x20
	s_load_dwordx4 s[36:39], s[4:5], 0x40
	v_lshl_add_u32 v2, v1, 4, v0
	v_mov_b32_e32 v3, s7
	v_and_b32_e32 v4, 7, v0
	v_mov_b32_e32 v7, 0
	v_and_b32_e32 v10, 31, v2
	v_lshrrev_b32_e32 v11, 3, v2
	v_lshrrev_b32_e32 v5, 5, v2
	v_lshlrev_b32_e32 v12, 2, v4
	v_or_b32_e32 v2, s6, v10
	v_add_co_u32 v8, s0, v11, s18
	v_add_co_ci_u32_e64 v9, null, 0, s19, s0
	v_cmp_gt_i64_e64 s0, s[28:29], v[2:3]
	v_lshlrev_b32_e32 v6, 2, v10
	s_waitcnt lgkmcnt(0)
	s_add_u32 s26, s26, s40
	s_addc_u32 s27, s27, s41
	s_add_u32 s20, s20, s40
	s_addc_u32 s21, s21, s41
	v_add_co_u32 v2, s1, s38, v11
	s_load_dwordx2 s[26:27], s[26:27], 0x0
	s_load_dwordx2 s[20:21], s[20:21], 0x0
	v_add_co_ci_u32_e64 v3, null, s39, 0, s1
	v_cmp_gt_i64_e64 s1, s[30:31], v[8:9]
	v_add_co_u32 v8, s24, s24, v5
	v_add_co_ci_u32_e64 v9, null, s25, 0, s24
	v_add_co_u32 v10, s24, s6, v10
	v_mad_u64_u32 v[2:3], null, s36, v4, v[2:3]
	v_add_co_ci_u32_e64 v13, null, s7, 0, s24
	v_mad_u64_u32 v[8:9], null, s22, v10, v[8:9]
	v_mul_lo_u32 v10, s23, v10
	v_mul_lo_u32 v16, s22, v13
	v_mad_u64_u32 v[14:15], null, s37, v4, v[3:4]
	s_waitcnt lgkmcnt(0)
	s_add_u32 s22, s26, s18
	v_lshl_or_b32 v11, v11, 5, v12
	s_addc_u32 s23, s27, s19
	v_add_co_u32 v2, vcc_lo, s22, v2
	v_add3_u32 v9, v10, v9, v16
	v_add_co_ci_u32_e64 v3, null, s23, v14, vcc_lo
	v_add_co_u32 v14, vcc_lo, s20, v8
	v_lshl_or_b32 v6, v5, 7, v6
	v_add_nc_u32_e32 v11, 0x400, v11
	v_lshlrev_b32_e32 v12, 2, v0
	v_lshl_add_u32 v13, v1, 5, 0x400
	v_add_co_ci_u32_e64 v15, null, s21, v9, vcc_lo
	v_mov_b32_e32 v8, 0
	v_mov_b32_e32 v9, 0
	;; [unrolled: 1-line block ×3, first 2 shown]
	s_lshl_b64 s[20:21], s[36:37], 3
	s_mov_b64 s[22:23], 0
	s_branch .LBB221_3
.LBB221_2:                              ;   in Loop: Header=BB221_3 Depth=1
	s_or_b32 exec_lo, exec_lo, s24
	s_waitcnt vmcnt(0) lgkmcnt(0)
	ds_write_b32 v11, v17
	s_waitcnt lgkmcnt(0)
	s_barrier
	buffer_gl0_inv
	ds_read_b128 v[16:19], v13
	ds_read2_b32 v[32:33], v12 offset1:16
	ds_read_b128 v[20:23], v13 offset:512
	ds_read2_b32 v[34:35], v12 offset0:32 offset1:48
	ds_read2_b32 v[36:37], v12 offset0:64 offset1:80
	ds_read2_b32 v[38:39], v12 offset0:96 offset1:112
	ds_read_b128 v[24:27], v13 offset:16
	ds_read2_b32 v[40:41], v12 offset0:128 offset1:144
	ds_read_b128 v[28:31], v13 offset:528
	ds_read2_b32 v[42:43], v12 offset0:160 offset1:176
	s_add_u32 s22, s22, 8
	s_addc_u32 s23, s23, 0
	v_add_co_u32 v2, vcc_lo, v2, s20
	v_cmp_lt_i64_e64 s24, s[22:23], s[34:35]
	v_add_co_ci_u32_e64 v3, null, s21, v3, vcc_lo
	s_and_b32 vcc_lo, exec_lo, s24
	s_waitcnt lgkmcnt(8)
	v_mul_lo_u32 v44, v16, v32
	v_mul_lo_u32 v16, v16, v33
	s_waitcnt lgkmcnt(7)
	v_mul_lo_u32 v32, v20, v32
	v_mul_lo_u32 v20, v20, v33
	;; [unrolled: 3-line block ×3, first 2 shown]
	v_mul_lo_u32 v34, v21, v34
	v_mul_lo_u32 v21, v21, v35
	s_waitcnt lgkmcnt(5)
	v_mul_lo_u32 v35, v18, v36
	v_mul_lo_u32 v18, v18, v37
	;; [unrolled: 1-line block ×4, first 2 shown]
	v_add3_u32 v33, v10, v44, v33
	v_add3_u32 v44, v9, v16, v17
	ds_read2_b32 v[9:10], v12 offset0:192 offset1:208
	ds_read2_b32 v[16:17], v12 offset0:224 offset1:240
	s_waitcnt lgkmcnt(6)
	v_mul_lo_u32 v37, v19, v38
	v_mul_lo_u32 v19, v19, v39
	;; [unrolled: 1-line block ×4, first 2 shown]
	v_add3_u32 v7, v7, v20, v21
	s_waitcnt lgkmcnt(4)
	v_mul_lo_u32 v20, v24, v40
	s_waitcnt lgkmcnt(2)
	v_mul_lo_u32 v21, v25, v42
	v_add3_u32 v8, v8, v32, v34
	v_add3_u32 v32, v33, v35, v37
	;; [unrolled: 1-line block ×3, first 2 shown]
	v_mul_lo_u32 v19, v24, v41
	v_add3_u32 v7, v7, v22, v23
	v_mul_lo_u32 v22, v28, v40
	v_mul_lo_u32 v23, v28, v41
	v_add3_u32 v20, v32, v20, v21
	v_mul_lo_u32 v21, v25, v43
	v_mul_lo_u32 v24, v29, v42
	;; [unrolled: 1-line block ×3, first 2 shown]
	v_add3_u32 v8, v8, v36, v38
	s_waitcnt lgkmcnt(1)
	v_mul_lo_u32 v28, v26, v9
	v_mul_lo_u32 v26, v26, v10
	v_mul_lo_u32 v29, v30, v9
	v_mul_lo_u32 v30, v30, v10
	s_waitcnt lgkmcnt(0)
	v_mul_lo_u32 v9, v27, v16
	v_mul_lo_u32 v27, v27, v17
	v_mul_lo_u32 v16, v31, v16
	v_mul_lo_u32 v17, v31, v17
	v_add3_u32 v18, v18, v19, v21
	v_add3_u32 v8, v8, v22, v24
	;; [unrolled: 1-line block ×7, first 2 shown]
	s_barrier
	buffer_gl0_inv
	s_cbranch_vccz .LBB221_7
.LBB221_3:                              ; =>This Inner Loop Header: Depth=1
	v_add_co_u32 v16, s24, v5, s22
	v_add_co_ci_u32_e64 v17, null, 0, s23, s24
	v_cmp_gt_i64_e32 vcc_lo, s[34:35], v[16:17]
	v_mov_b32_e32 v16, 0
	s_and_b32 s25, s0, vcc_lo
	s_and_saveexec_b32 s24, s25
	s_cbranch_execz .LBB221_5
; %bb.4:                                ;   in Loop: Header=BB221_3 Depth=1
	v_add_co_u32 v16, vcc_lo, v14, s22
	v_add_co_ci_u32_e64 v17, null, s23, v15, vcc_lo
	flat_load_sbyte v16, v[16:17]
.LBB221_5:                              ;   in Loop: Header=BB221_3 Depth=1
	s_or_b32 exec_lo, exec_lo, s24
	v_add_co_u32 v17, s24, v4, s22
	v_add_co_ci_u32_e64 v18, null, 0, s23, s24
	s_waitcnt vmcnt(0) lgkmcnt(0)
	ds_write_b32 v6, v16
	v_cmp_gt_i64_e32 vcc_lo, s[34:35], v[17:18]
	v_mov_b32_e32 v17, 0
	s_and_b32 s25, vcc_lo, s1
	s_and_saveexec_b32 s24, s25
	s_cbranch_execz .LBB221_2
; %bb.6:                                ;   in Loop: Header=BB221_3 Depth=1
	flat_load_sbyte v17, v[2:3]
	s_branch .LBB221_2
.LBB221_7:
	s_clause 0x1
	s_load_dword s20, s[4:5], 0x50
	s_load_dword s4, s[4:5], 0x18
	v_add_co_u32 v1, s0, s18, v1
	v_add_co_ci_u32_e64 v2, null, s19, 0, s0
	s_lshl_b64 s[10:11], s[10:11], 2
	s_waitcnt lgkmcnt(0)
	s_add_u32 s5, s12, s10
	v_cmp_gt_i64_e64 s0, s[30:31], v[1:2]
	s_addc_u32 s10, s13, s11
	s_cmp_eq_u32 s20, 0
	s_cbranch_scc1 .LBB221_20
; %bb.8:
	s_and_saveexec_b32 s11, s0
	s_cbranch_execz .LBB221_18
; %bb.9:
	v_mul_lo_u32 v5, v2, s14
	v_mul_lo_u32 v6, v1, s15
	v_mad_u64_u32 v[3:4], null, v1, s14, 0
	v_mul_lo_u32 v13, v2, s8
	v_mul_lo_u32 v14, v1, s9
	v_mad_u64_u32 v[11:12], null, v1, s8, 0
	s_lshl_b64 s[12:13], s[16:17], 2
	v_add3_u32 v4, v4, v6, v5
	v_add_co_u32 v5, s1, s6, v0
	v_add_co_ci_u32_e64 v6, null, s7, 0, s1
	v_add3_u32 v12, v12, v14, v13
	v_lshlrev_b64 v[3:4], 2, v[3:4]
	s_add_u32 s1, s2, s12
	s_addc_u32 s2, s3, s13
	v_cmp_gt_i64_e32 vcc_lo, s[28:29], v[5:6]
	v_lshlrev_b64 v[13:14], 2, v[11:12]
	v_add_co_u32 v11, s1, s1, v3
	v_add_co_ci_u32_e64 v12, null, s2, v4, s1
	v_add_co_u32 v13, s1, s5, v13
	v_lshlrev_b64 v[3:4], 2, v[5:6]
	v_add_co_ci_u32_e64 v14, null, s10, v14, s1
	s_and_saveexec_b32 s2, vcc_lo
	s_cbranch_execz .LBB221_11
; %bb.10:
	v_add_co_u32 v15, s1, v11, v3
	v_add_co_ci_u32_e64 v16, null, v12, v4, s1
	flat_load_dword v16, v[15:16]
	v_mul_lo_u32 v15, v10, s4
	s_waitcnt vmcnt(0) lgkmcnt(0)
	v_mad_u64_u32 v[15:16], null, v16, s20, v[15:16]
	v_add_co_u32 v16, s1, v13, v3
	v_add_co_ci_u32_e64 v17, null, v14, v4, s1
	flat_store_dword v[16:17], v15
.LBB221_11:
	s_or_b32 exec_lo, exec_lo, s2
	v_add_co_u32 v5, s1, v5, 16
	v_add_co_ci_u32_e64 v6, null, 0, v6, s1
	v_cmp_gt_i64_e64 s1, s[28:29], v[5:6]
	s_and_saveexec_b32 s3, s1
	s_cbranch_execz .LBB221_13
; %bb.12:
	v_add_co_u32 v5, s2, v11, v3
	v_add_co_ci_u32_e64 v6, null, v12, v4, s2
	v_add_co_u32 v15, s2, v13, v3
	v_add_co_ci_u32_e64 v16, null, v14, v4, s2
	flat_load_dword v6, v[5:6] offset:64
	v_mul_lo_u32 v5, v9, s4
	s_waitcnt vmcnt(0) lgkmcnt(0)
	v_mad_u64_u32 v[5:6], null, v6, s20, v[5:6]
	flat_store_dword v[15:16], v5 offset:64
.LBB221_13:
	s_or_b32 exec_lo, exec_lo, s3
	v_add_co_u32 v5, s2, v1, 16
	v_add_co_ci_u32_e64 v6, null, 0, v2, s2
	v_cmp_gt_i64_e64 s2, s[30:31], v[5:6]
	s_and_b32 exec_lo, exec_lo, s2
	s_cbranch_execz .LBB221_18
; %bb.14:
	s_lshl_b64 s[2:3], s[14:15], 6
	v_add_co_u32 v5, s2, v11, s2
	v_add_co_ci_u32_e64 v6, null, s3, v12, s2
	s_lshl_b64 s[2:3], s[8:9], 6
	v_add_co_u32 v11, s2, v13, s2
	v_add_co_ci_u32_e64 v12, null, s3, v14, s2
	v_add_co_u32 v5, s2, v5, v3
	v_add_co_ci_u32_e64 v6, null, v6, v4, s2
	;; [unrolled: 2-line block ×3, first 2 shown]
	s_and_saveexec_b32 s2, vcc_lo
	s_cbranch_execz .LBB221_16
; %bb.15:
	flat_load_dword v12, v[5:6]
	v_mul_lo_u32 v11, v8, s4
	s_waitcnt vmcnt(0) lgkmcnt(0)
	v_mad_u64_u32 v[11:12], null, v12, s20, v[11:12]
	flat_store_dword v[3:4], v11
.LBB221_16:
	s_or_b32 exec_lo, exec_lo, s2
	s_and_b32 exec_lo, exec_lo, s1
	s_cbranch_execz .LBB221_18
; %bb.17:
	flat_load_dword v6, v[5:6] offset:64
	v_mul_lo_u32 v5, v7, s4
	s_waitcnt vmcnt(0) lgkmcnt(0)
	v_mad_u64_u32 v[5:6], null, v6, s20, v[5:6]
	flat_store_dword v[3:4], v5 offset:64
.LBB221_18:
	s_or_b32 exec_lo, exec_lo, s11
	s_cbranch_execz .LBB221_21
.LBB221_19:
	s_endpgm
.LBB221_20:
.LBB221_21:
	s_and_saveexec_b32 s1, s0
	s_cbranch_execz .LBB221_19
; %bb.22:
	v_mul_lo_u32 v5, v2, s8
	v_mul_lo_u32 v6, v1, s9
	v_mad_u64_u32 v[3:4], null, v1, s8, 0
	v_add3_u32 v4, v4, v6, v5
	v_add_co_u32 v5, s0, s6, v0
	v_add_co_ci_u32_e64 v6, null, s7, 0, s0
	v_lshlrev_b64 v[11:12], 2, v[3:4]
	v_cmp_gt_i64_e32 vcc_lo, s[28:29], v[5:6]
	v_lshlrev_b64 v[3:4], 2, v[5:6]
	v_add_co_u32 v0, s0, s5, v11
	v_add_co_ci_u32_e64 v11, null, s10, v12, s0
	s_and_saveexec_b32 s1, vcc_lo
	s_cbranch_execz .LBB221_24
; %bb.23:
	v_mul_lo_u32 v10, v10, s4
	v_add_co_u32 v12, s0, v0, v3
	v_add_co_ci_u32_e64 v13, null, v11, v4, s0
	flat_store_dword v[12:13], v10
.LBB221_24:
	s_or_b32 exec_lo, exec_lo, s1
	v_add_co_u32 v5, s0, v5, 16
	v_add_co_ci_u32_e64 v6, null, 0, v6, s0
	v_cmp_gt_i64_e64 s0, s[28:29], v[5:6]
	s_and_saveexec_b32 s2, s0
	s_cbranch_execz .LBB221_26
; %bb.25:
	v_mul_lo_u32 v9, v9, s4
	v_add_co_u32 v5, s1, v0, v3
	v_add_co_ci_u32_e64 v6, null, v11, v4, s1
	flat_store_dword v[5:6], v9 offset:64
.LBB221_26:
	s_or_b32 exec_lo, exec_lo, s2
	v_add_co_u32 v1, s1, v1, 16
	v_add_co_ci_u32_e64 v2, null, 0, v2, s1
	v_cmp_gt_i64_e64 s1, s[30:31], v[1:2]
	s_and_b32 exec_lo, exec_lo, s1
	s_cbranch_execz .LBB221_19
; %bb.27:
	s_lshl_b64 s[2:3], s[8:9], 6
	v_add_co_u32 v0, s1, v0, s2
	v_add_co_ci_u32_e64 v1, null, s3, v11, s1
	v_add_co_u32 v0, s1, v0, v3
	v_add_co_ci_u32_e64 v1, null, v1, v4, s1
	s_and_saveexec_b32 s1, vcc_lo
	s_cbranch_execz .LBB221_29
; %bb.28:
	v_mul_lo_u32 v2, v8, s4
	flat_store_dword v[0:1], v2
.LBB221_29:
	s_or_b32 exec_lo, exec_lo, s1
	s_and_b32 exec_lo, exec_lo, s0
	s_cbranch_execz .LBB221_19
; %bb.30:
	v_mul_lo_u32 v2, v7, s4
	flat_store_dword v[0:1], v2 offset:64
	s_endpgm
	.section	.rodata,"a",@progbits
	.p2align	6, 0x0
	.amdhsa_kernel _ZN12_GLOBAL__N_135rocblas_gemm_batched_general_kernelIiLi16ELi16ELi32ELi32ELi8ELi32ELi8ELi8ELi32ELc84ELc67EKPKaKPKiKPiEEvlllT_PT11_llSB_llS9_PT12_llPT13_lli
		.amdhsa_group_segment_fixed_size 2048
		.amdhsa_private_segment_fixed_size 0
		.amdhsa_kernarg_size 140
		.amdhsa_user_sgpr_count 6
		.amdhsa_user_sgpr_private_segment_buffer 1
		.amdhsa_user_sgpr_dispatch_ptr 0
		.amdhsa_user_sgpr_queue_ptr 0
		.amdhsa_user_sgpr_kernarg_segment_ptr 1
		.amdhsa_user_sgpr_dispatch_id 0
		.amdhsa_user_sgpr_flat_scratch_init 0
		.amdhsa_user_sgpr_private_segment_size 0
		.amdhsa_wavefront_size32 1
		.amdhsa_uses_dynamic_stack 0
		.amdhsa_system_sgpr_private_segment_wavefront_offset 0
		.amdhsa_system_sgpr_workgroup_id_x 1
		.amdhsa_system_sgpr_workgroup_id_y 1
		.amdhsa_system_sgpr_workgroup_id_z 1
		.amdhsa_system_sgpr_workgroup_info 0
		.amdhsa_system_vgpr_workitem_id 1
		.amdhsa_next_free_vgpr 45
		.amdhsa_next_free_sgpr 42
		.amdhsa_reserve_vcc 1
		.amdhsa_reserve_flat_scratch 0
		.amdhsa_float_round_mode_32 0
		.amdhsa_float_round_mode_16_64 0
		.amdhsa_float_denorm_mode_32 3
		.amdhsa_float_denorm_mode_16_64 3
		.amdhsa_dx10_clamp 1
		.amdhsa_ieee_mode 1
		.amdhsa_fp16_overflow 0
		.amdhsa_workgroup_processor_mode 1
		.amdhsa_memory_ordered 1
		.amdhsa_forward_progress 1
		.amdhsa_shared_vgpr_count 0
		.amdhsa_exception_fp_ieee_invalid_op 0
		.amdhsa_exception_fp_denorm_src 0
		.amdhsa_exception_fp_ieee_div_zero 0
		.amdhsa_exception_fp_ieee_overflow 0
		.amdhsa_exception_fp_ieee_underflow 0
		.amdhsa_exception_fp_ieee_inexact 0
		.amdhsa_exception_int_div_zero 0
	.end_amdhsa_kernel
	.section	.text._ZN12_GLOBAL__N_135rocblas_gemm_batched_general_kernelIiLi16ELi16ELi32ELi32ELi8ELi32ELi8ELi8ELi32ELc84ELc67EKPKaKPKiKPiEEvlllT_PT11_llSB_llS9_PT12_llPT13_lli,"axG",@progbits,_ZN12_GLOBAL__N_135rocblas_gemm_batched_general_kernelIiLi16ELi16ELi32ELi32ELi8ELi32ELi8ELi8ELi32ELc84ELc67EKPKaKPKiKPiEEvlllT_PT11_llSB_llS9_PT12_llPT13_lli,comdat
.Lfunc_end221:
	.size	_ZN12_GLOBAL__N_135rocblas_gemm_batched_general_kernelIiLi16ELi16ELi32ELi32ELi8ELi32ELi8ELi8ELi32ELc84ELc67EKPKaKPKiKPiEEvlllT_PT11_llSB_llS9_PT12_llPT13_lli, .Lfunc_end221-_ZN12_GLOBAL__N_135rocblas_gemm_batched_general_kernelIiLi16ELi16ELi32ELi32ELi8ELi32ELi8ELi8ELi32ELc84ELc67EKPKaKPKiKPiEEvlllT_PT11_llSB_llS9_PT12_llPT13_lli
                                        ; -- End function
	.set _ZN12_GLOBAL__N_135rocblas_gemm_batched_general_kernelIiLi16ELi16ELi32ELi32ELi8ELi32ELi8ELi8ELi32ELc84ELc67EKPKaKPKiKPiEEvlllT_PT11_llSB_llS9_PT12_llPT13_lli.num_vgpr, 45
	.set _ZN12_GLOBAL__N_135rocblas_gemm_batched_general_kernelIiLi16ELi16ELi32ELi32ELi8ELi32ELi8ELi8ELi32ELc84ELc67EKPKaKPKiKPiEEvlllT_PT11_llSB_llS9_PT12_llPT13_lli.num_agpr, 0
	.set _ZN12_GLOBAL__N_135rocblas_gemm_batched_general_kernelIiLi16ELi16ELi32ELi32ELi8ELi32ELi8ELi8ELi32ELc84ELc67EKPKaKPKiKPiEEvlllT_PT11_llSB_llS9_PT12_llPT13_lli.numbered_sgpr, 42
	.set _ZN12_GLOBAL__N_135rocblas_gemm_batched_general_kernelIiLi16ELi16ELi32ELi32ELi8ELi32ELi8ELi8ELi32ELc84ELc67EKPKaKPKiKPiEEvlllT_PT11_llSB_llS9_PT12_llPT13_lli.num_named_barrier, 0
	.set _ZN12_GLOBAL__N_135rocblas_gemm_batched_general_kernelIiLi16ELi16ELi32ELi32ELi8ELi32ELi8ELi8ELi32ELc84ELc67EKPKaKPKiKPiEEvlllT_PT11_llSB_llS9_PT12_llPT13_lli.private_seg_size, 0
	.set _ZN12_GLOBAL__N_135rocblas_gemm_batched_general_kernelIiLi16ELi16ELi32ELi32ELi8ELi32ELi8ELi8ELi32ELc84ELc67EKPKaKPKiKPiEEvlllT_PT11_llSB_llS9_PT12_llPT13_lli.uses_vcc, 1
	.set _ZN12_GLOBAL__N_135rocblas_gemm_batched_general_kernelIiLi16ELi16ELi32ELi32ELi8ELi32ELi8ELi8ELi32ELc84ELc67EKPKaKPKiKPiEEvlllT_PT11_llSB_llS9_PT12_llPT13_lli.uses_flat_scratch, 0
	.set _ZN12_GLOBAL__N_135rocblas_gemm_batched_general_kernelIiLi16ELi16ELi32ELi32ELi8ELi32ELi8ELi8ELi32ELc84ELc67EKPKaKPKiKPiEEvlllT_PT11_llSB_llS9_PT12_llPT13_lli.has_dyn_sized_stack, 0
	.set _ZN12_GLOBAL__N_135rocblas_gemm_batched_general_kernelIiLi16ELi16ELi32ELi32ELi8ELi32ELi8ELi8ELi32ELc84ELc67EKPKaKPKiKPiEEvlllT_PT11_llSB_llS9_PT12_llPT13_lli.has_recursion, 0
	.set _ZN12_GLOBAL__N_135rocblas_gemm_batched_general_kernelIiLi16ELi16ELi32ELi32ELi8ELi32ELi8ELi8ELi32ELc84ELc67EKPKaKPKiKPiEEvlllT_PT11_llSB_llS9_PT12_llPT13_lli.has_indirect_call, 0
	.section	.AMDGPU.csdata,"",@progbits
; Kernel info:
; codeLenInByte = 2140
; TotalNumSgprs: 44
; NumVgprs: 45
; ScratchSize: 0
; MemoryBound: 0
; FloatMode: 240
; IeeeMode: 1
; LDSByteSize: 2048 bytes/workgroup (compile time only)
; SGPRBlocks: 0
; VGPRBlocks: 5
; NumSGPRsForWavesPerEU: 44
; NumVGPRsForWavesPerEU: 45
; Occupancy: 16
; WaveLimiterHint : 1
; COMPUTE_PGM_RSRC2:SCRATCH_EN: 0
; COMPUTE_PGM_RSRC2:USER_SGPR: 6
; COMPUTE_PGM_RSRC2:TRAP_HANDLER: 0
; COMPUTE_PGM_RSRC2:TGID_X_EN: 1
; COMPUTE_PGM_RSRC2:TGID_Y_EN: 1
; COMPUTE_PGM_RSRC2:TGID_Z_EN: 1
; COMPUTE_PGM_RSRC2:TIDIG_COMP_CNT: 1
	.section	.text._ZN12_GLOBAL__N_120gemm_ex_scale_kernelILi32ELi32E19rocblas_complex_numIfEPKPKS2_PKPS2_EEviiT1_T2_lllT3_llli,"axG",@progbits,_ZN12_GLOBAL__N_120gemm_ex_scale_kernelILi32ELi32E19rocblas_complex_numIfEPKPKS2_PKPS2_EEviiT1_T2_lllT3_llli,comdat
	.globl	_ZN12_GLOBAL__N_120gemm_ex_scale_kernelILi32ELi32E19rocblas_complex_numIfEPKPKS2_PKPS2_EEviiT1_T2_lllT3_llli ; -- Begin function _ZN12_GLOBAL__N_120gemm_ex_scale_kernelILi32ELi32E19rocblas_complex_numIfEPKPKS2_PKPS2_EEviiT1_T2_lllT3_llli
	.p2align	8
	.type	_ZN12_GLOBAL__N_120gemm_ex_scale_kernelILi32ELi32E19rocblas_complex_numIfEPKPKS2_PKPS2_EEviiT1_T2_lllT3_llli,@function
_ZN12_GLOBAL__N_120gemm_ex_scale_kernelILi32ELi32E19rocblas_complex_numIfEPKPKS2_PKPS2_EEviiT1_T2_lllT3_llli: ; @_ZN12_GLOBAL__N_120gemm_ex_scale_kernelILi32ELi32E19rocblas_complex_numIfEPKPKS2_PKPS2_EEviiT1_T2_lllT3_llli
; %bb.0:
	s_clause 0x1
	s_load_dwordx8 s[12:19], s[4:5], 0x0
	s_load_dwordx2 s[10:11], s[4:5], 0x20
	s_mov_b32 s9, 0
	s_mov_b64 s[20:21], 0
	s_waitcnt lgkmcnt(0)
	v_cmp_neq_f32_e64 s0, s14, 0
	v_cmp_neq_f32_e64 s1, s15, 0
	s_or_b32 s0, s0, s1
	s_andn2_b32 vcc_lo, exec_lo, s0
	s_cbranch_vccnz .LBB222_2
; %bb.1:
	s_lshl_b64 s[0:1], s[8:9], 3
	s_add_u32 s0, s16, s0
	s_addc_u32 s1, s17, s1
	s_lshl_b64 s[2:3], s[18:19], 3
	s_load_dwordx2 s[0:1], s[0:1], 0x0
	s_waitcnt lgkmcnt(0)
	s_add_u32 s20, s0, s2
	s_addc_u32 s21, s1, s3
.LBB222_2:
	v_lshl_add_u32 v0, s6, 5, v0
	v_lshl_add_u32 v5, s7, 5, v1
	v_cmp_gt_u32_e32 vcc_lo, s12, v0
	v_cmp_gt_u32_e64 s0, s13, v5
	s_and_b32 s0, vcc_lo, s0
	s_and_saveexec_b32 s1, s0
	s_cbranch_execz .LBB222_8
; %bb.3:
	s_load_dwordx4 s[0:3], s[4:5], 0x30
	s_lshl_b64 s[6:7], s[8:9], 3
	s_load_dwordx2 s[4:5], s[4:5], 0x40
	v_mov_b32_e32 v1, 0
	s_waitcnt lgkmcnt(0)
	s_add_u32 s0, s0, s6
	s_addc_u32 s1, s1, s7
	s_or_b32 s6, s14, s15
	s_load_dwordx2 s[0:1], s[0:1], 0x0
	s_bitset0_b32 s6, 31
	s_cmp_lg_u32 s6, 0
	s_mov_b32 s6, 0
	s_cbranch_scc1 .LBB222_5
; %bb.4:
	v_mov_b32_e32 v3, 0
	v_mov_b32_e32 v2, v0
	;; [unrolled: 1-line block ×3, first 2 shown]
	s_andn2_b32 vcc_lo, exec_lo, s6
	s_cbranch_vccz .LBB222_6
	s_branch .LBB222_7
.LBB222_5:
	v_mov_b32_e32 v3, v1
	v_mov_b32_e32 v2, v0
	;; [unrolled: 1-line block ×3, first 2 shown]
.LBB222_6:
	v_mad_u64_u32 v[6:7], null, s10, v5, 0
	v_lshlrev_b64 v[0:1], 3, v[0:1]
	v_mov_b32_e32 v4, v7
	v_mad_u64_u32 v[7:8], null, s11, v5, v[4:5]
	v_lshlrev_b64 v[6:7], 3, v[6:7]
	v_add_co_u32 v4, vcc_lo, s20, v6
	v_add_co_ci_u32_e64 v6, null, s21, v7, vcc_lo
	v_add_co_u32 v0, vcc_lo, v4, v0
	v_add_co_ci_u32_e64 v1, null, v6, v1, vcc_lo
	flat_load_dwordx2 v[0:1], v[0:1]
	s_waitcnt vmcnt(0) lgkmcnt(0)
	v_mul_f32_e32 v4, s15, v1
	v_mul_f32_e32 v1, s14, v1
	v_fma_f32 v4, v0, s14, -v4
	v_fmac_f32_e32 v1, s15, v0
.LBB222_7:
	v_mad_u64_u32 v[6:7], null, s4, v5, 0
	s_lshl_b64 s[2:3], s[2:3], 3
	v_lshlrev_b64 v[2:3], 3, v[2:3]
	s_waitcnt lgkmcnt(0)
	s_add_u32 s0, s0, s2
	s_addc_u32 s1, s1, s3
	v_mov_b32_e32 v0, v7
	v_mad_u64_u32 v[7:8], null, s5, v5, v[0:1]
	v_lshlrev_b64 v[5:6], 3, v[6:7]
	v_add_co_u32 v0, vcc_lo, s0, v5
	v_add_co_ci_u32_e64 v5, null, s1, v6, vcc_lo
	v_add_co_u32 v2, vcc_lo, v0, v2
	v_add_co_ci_u32_e64 v3, null, v5, v3, vcc_lo
	v_mov_b32_e32 v5, v1
	flat_store_dwordx2 v[2:3], v[4:5]
.LBB222_8:
	s_endpgm
	.section	.rodata,"a",@progbits
	.p2align	6, 0x0
	.amdhsa_kernel _ZN12_GLOBAL__N_120gemm_ex_scale_kernelILi32ELi32E19rocblas_complex_numIfEPKPKS2_PKPS2_EEviiT1_T2_lllT3_llli
		.amdhsa_group_segment_fixed_size 0
		.amdhsa_private_segment_fixed_size 0
		.amdhsa_kernarg_size 84
		.amdhsa_user_sgpr_count 6
		.amdhsa_user_sgpr_private_segment_buffer 1
		.amdhsa_user_sgpr_dispatch_ptr 0
		.amdhsa_user_sgpr_queue_ptr 0
		.amdhsa_user_sgpr_kernarg_segment_ptr 1
		.amdhsa_user_sgpr_dispatch_id 0
		.amdhsa_user_sgpr_flat_scratch_init 0
		.amdhsa_user_sgpr_private_segment_size 0
		.amdhsa_wavefront_size32 1
		.amdhsa_uses_dynamic_stack 0
		.amdhsa_system_sgpr_private_segment_wavefront_offset 0
		.amdhsa_system_sgpr_workgroup_id_x 1
		.amdhsa_system_sgpr_workgroup_id_y 1
		.amdhsa_system_sgpr_workgroup_id_z 1
		.amdhsa_system_sgpr_workgroup_info 0
		.amdhsa_system_vgpr_workitem_id 1
		.amdhsa_next_free_vgpr 9
		.amdhsa_next_free_sgpr 22
		.amdhsa_reserve_vcc 1
		.amdhsa_reserve_flat_scratch 0
		.amdhsa_float_round_mode_32 0
		.amdhsa_float_round_mode_16_64 0
		.amdhsa_float_denorm_mode_32 3
		.amdhsa_float_denorm_mode_16_64 3
		.amdhsa_dx10_clamp 1
		.amdhsa_ieee_mode 1
		.amdhsa_fp16_overflow 0
		.amdhsa_workgroup_processor_mode 1
		.amdhsa_memory_ordered 1
		.amdhsa_forward_progress 1
		.amdhsa_shared_vgpr_count 0
		.amdhsa_exception_fp_ieee_invalid_op 0
		.amdhsa_exception_fp_denorm_src 0
		.amdhsa_exception_fp_ieee_div_zero 0
		.amdhsa_exception_fp_ieee_overflow 0
		.amdhsa_exception_fp_ieee_underflow 0
		.amdhsa_exception_fp_ieee_inexact 0
		.amdhsa_exception_int_div_zero 0
	.end_amdhsa_kernel
	.section	.text._ZN12_GLOBAL__N_120gemm_ex_scale_kernelILi32ELi32E19rocblas_complex_numIfEPKPKS2_PKPS2_EEviiT1_T2_lllT3_llli,"axG",@progbits,_ZN12_GLOBAL__N_120gemm_ex_scale_kernelILi32ELi32E19rocblas_complex_numIfEPKPKS2_PKPS2_EEviiT1_T2_lllT3_llli,comdat
.Lfunc_end222:
	.size	_ZN12_GLOBAL__N_120gemm_ex_scale_kernelILi32ELi32E19rocblas_complex_numIfEPKPKS2_PKPS2_EEviiT1_T2_lllT3_llli, .Lfunc_end222-_ZN12_GLOBAL__N_120gemm_ex_scale_kernelILi32ELi32E19rocblas_complex_numIfEPKPKS2_PKPS2_EEviiT1_T2_lllT3_llli
                                        ; -- End function
	.set _ZN12_GLOBAL__N_120gemm_ex_scale_kernelILi32ELi32E19rocblas_complex_numIfEPKPKS2_PKPS2_EEviiT1_T2_lllT3_llli.num_vgpr, 9
	.set _ZN12_GLOBAL__N_120gemm_ex_scale_kernelILi32ELi32E19rocblas_complex_numIfEPKPKS2_PKPS2_EEviiT1_T2_lllT3_llli.num_agpr, 0
	.set _ZN12_GLOBAL__N_120gemm_ex_scale_kernelILi32ELi32E19rocblas_complex_numIfEPKPKS2_PKPS2_EEviiT1_T2_lllT3_llli.numbered_sgpr, 22
	.set _ZN12_GLOBAL__N_120gemm_ex_scale_kernelILi32ELi32E19rocblas_complex_numIfEPKPKS2_PKPS2_EEviiT1_T2_lllT3_llli.num_named_barrier, 0
	.set _ZN12_GLOBAL__N_120gemm_ex_scale_kernelILi32ELi32E19rocblas_complex_numIfEPKPKS2_PKPS2_EEviiT1_T2_lllT3_llli.private_seg_size, 0
	.set _ZN12_GLOBAL__N_120gemm_ex_scale_kernelILi32ELi32E19rocblas_complex_numIfEPKPKS2_PKPS2_EEviiT1_T2_lllT3_llli.uses_vcc, 1
	.set _ZN12_GLOBAL__N_120gemm_ex_scale_kernelILi32ELi32E19rocblas_complex_numIfEPKPKS2_PKPS2_EEviiT1_T2_lllT3_llli.uses_flat_scratch, 0
	.set _ZN12_GLOBAL__N_120gemm_ex_scale_kernelILi32ELi32E19rocblas_complex_numIfEPKPKS2_PKPS2_EEviiT1_T2_lllT3_llli.has_dyn_sized_stack, 0
	.set _ZN12_GLOBAL__N_120gemm_ex_scale_kernelILi32ELi32E19rocblas_complex_numIfEPKPKS2_PKPS2_EEviiT1_T2_lllT3_llli.has_recursion, 0
	.set _ZN12_GLOBAL__N_120gemm_ex_scale_kernelILi32ELi32E19rocblas_complex_numIfEPKPKS2_PKPS2_EEviiT1_T2_lllT3_llli.has_indirect_call, 0
	.section	.AMDGPU.csdata,"",@progbits
; Kernel info:
; codeLenInByte = 436
; TotalNumSgprs: 24
; NumVgprs: 9
; ScratchSize: 0
; MemoryBound: 0
; FloatMode: 240
; IeeeMode: 1
; LDSByteSize: 0 bytes/workgroup (compile time only)
; SGPRBlocks: 0
; VGPRBlocks: 1
; NumSGPRsForWavesPerEU: 24
; NumVGPRsForWavesPerEU: 9
; Occupancy: 16
; WaveLimiterHint : 1
; COMPUTE_PGM_RSRC2:SCRATCH_EN: 0
; COMPUTE_PGM_RSRC2:USER_SGPR: 6
; COMPUTE_PGM_RSRC2:TRAP_HANDLER: 0
; COMPUTE_PGM_RSRC2:TGID_X_EN: 1
; COMPUTE_PGM_RSRC2:TGID_Y_EN: 1
; COMPUTE_PGM_RSRC2:TGID_Z_EN: 1
; COMPUTE_PGM_RSRC2:TIDIG_COMP_CNT: 1
	.section	.text._ZN12_GLOBAL__N_127rocblas_gemm_batched_kernelI19rocblas_complex_numIfELi16ELi16ELi64ELi64ELi4ELi64ELi4ELi4ELi64ELc78ELc78EKPKS2_S5_KPS2_EEvlllT_PT11_llSA_llS8_PT12_llPT13_lli,"axG",@progbits,_ZN12_GLOBAL__N_127rocblas_gemm_batched_kernelI19rocblas_complex_numIfELi16ELi16ELi64ELi64ELi4ELi64ELi4ELi4ELi64ELc78ELc78EKPKS2_S5_KPS2_EEvlllT_PT11_llSA_llS8_PT12_llPT13_lli,comdat
	.globl	_ZN12_GLOBAL__N_127rocblas_gemm_batched_kernelI19rocblas_complex_numIfELi16ELi16ELi64ELi64ELi4ELi64ELi4ELi4ELi64ELc78ELc78EKPKS2_S5_KPS2_EEvlllT_PT11_llSA_llS8_PT12_llPT13_lli ; -- Begin function _ZN12_GLOBAL__N_127rocblas_gemm_batched_kernelI19rocblas_complex_numIfELi16ELi16ELi64ELi64ELi4ELi64ELi4ELi4ELi64ELc78ELc78EKPKS2_S5_KPS2_EEvlllT_PT11_llSA_llS8_PT12_llPT13_lli
	.p2align	8
	.type	_ZN12_GLOBAL__N_127rocblas_gemm_batched_kernelI19rocblas_complex_numIfELi16ELi16ELi64ELi64ELi4ELi64ELi4ELi4ELi64ELc78ELc78EKPKS2_S5_KPS2_EEvlllT_PT11_llSA_llS8_PT12_llPT13_lli,@function
_ZN12_GLOBAL__N_127rocblas_gemm_batched_kernelI19rocblas_complex_numIfELi16ELi16ELi64ELi64ELi4ELi64ELi4ELi4ELi64ELc78ELc78EKPKS2_S5_KPS2_EEvlllT_PT11_llSA_llS8_PT12_llPT13_lli: ; @_ZN12_GLOBAL__N_127rocblas_gemm_batched_kernelI19rocblas_complex_numIfELi16ELi16ELi64ELi64ELi4ELi64ELi4ELi4ELi64ELc78ELc78EKPKS2_S5_KPS2_EEvlllT_PT11_llSA_llS8_PT12_llPT13_lli
; %bb.0:
	s_clause 0x1
	s_load_dwordx8 s[36:43], s[4:5], 0x58
	s_load_dwordx16 s[12:27], s[4:5], 0x10
	s_mov_b32 s9, 0
	s_clause 0x1
	s_load_dwordx4 s[28:31], s[4:5], 0x78
	s_load_dwordx2 s[2:3], s[4:5], 0x50
	s_lshl_b64 s[0:1], s[8:9], 3
	s_mov_b32 s10, s7
	v_mov_b32_e32 v38, 0
	v_mov_b32_e32 v39, 0
	;; [unrolled: 1-line block ×13, first 2 shown]
	s_waitcnt lgkmcnt(0)
	s_add_u32 s4, s36, s0
	s_addc_u32 s5, s37, s1
	s_add_u32 s8, s42, s0
	s_addc_u32 s9, s43, s1
	s_load_dwordx2 s[4:5], s[4:5], 0x0
	s_load_dwordx2 s[8:9], s[8:9], 0x0
	v_cmp_lt_i64_e64 s33, s[12:13], 1
	v_mov_b32_e32 v27, 0
	v_mov_b32_e32 v24, 0
	;; [unrolled: 1-line block ×19, first 2 shown]
	s_ashr_i32 s7, s6, 31
	s_ashr_i32 s11, s10, 31
	s_lshl_b64 s[6:7], s[6:7], 6
	s_and_b32 vcc_lo, exec_lo, s33
	s_lshl_b64 s[10:11], s[10:11], 6
	s_cbranch_vccnz .LBB223_3
; %bb.1:
	v_lshl_add_u32 v2, v1, 4, v0
	s_add_u32 s16, s16, s0
	s_addc_u32 s17, s17, s1
	v_and_b32_e32 v3, 3, v0
	s_add_u32 s0, s22, s0
	v_lshrrev_b32_e32 v6, 2, v2
	v_lshrrev_b32_e32 v7, 6, v2
	s_load_dwordx2 s[16:17], s[16:17], 0x0
	v_and_b32_e32 v9, 63, v2
	v_lshlrev_b32_e32 v10, 3, v3
	v_add_co_u32 v4, s22, v6, s10
	v_add_co_ci_u32_e64 v5, null, 0, s11, s22
	v_mad_u64_u32 v[2:3], null, s18, v7, s[6:7]
	v_mul_lo_u32 v11, s25, v4
	v_mul_lo_u32 v12, s24, v5
	v_mad_u64_u32 v[4:5], null, s24, v4, 0
	v_lshlrev_b32_e32 v13, 3, v9
	v_lshl_or_b32 v6, v6, 5, v10
	s_addc_u32 s1, s23, s1
	s_lshl_b64 s[20:21], s[20:21], 3
	s_load_dwordx2 s[0:1], s[0:1], 0x0
	v_lshl_or_b32 v40, v7, 9, v13
	v_add_nc_u32_e32 v41, 0x800, v6
	v_add3_u32 v5, v5, v12, v11
	v_mad_u64_u32 v[6:7], null, s19, v7, v[3:4]
	s_waitcnt lgkmcnt(0)
	s_add_u32 s20, s16, s20
	s_addc_u32 s21, s17, s21
	v_lshlrev_b64 v[3:4], 3, v[4:5]
	v_add_co_u32 v5, vcc_lo, v2, v9
	s_lshl_b64 s[16:17], s[26:27], 3
	v_add_co_ci_u32_e64 v6, null, 0, v6, vcc_lo
	v_add_co_u32 v7, vcc_lo, v3, s16
	v_add_co_ci_u32_e64 v4, null, s17, v4, vcc_lo
	v_lshlrev_b64 v[2:3], 3, v[5:6]
	v_add_co_u32 v5, vcc_lo, v7, v10
	v_add_co_ci_u32_e64 v6, null, 0, v4, vcc_lo
	v_mov_b32_e32 v8, 0
	v_add_co_u32 v2, vcc_lo, s20, v2
	v_add_co_ci_u32_e64 v3, null, s21, v3, vcc_lo
	v_add_co_u32 v4, vcc_lo, s0, v5
	v_lshlrev_b32_e32 v42, 3, v0
	v_lshl_add_u32 v43, v1, 5, 0x800
	v_add_co_ci_u32_e64 v5, null, s1, v6, vcc_lo
	v_mov_b32_e32 v9, 0
	v_mov_b32_e32 v11, 0
	;; [unrolled: 1-line block ×31, first 2 shown]
	s_lshl_b64 s[16:17], s[18:19], 5
	s_mov_b64 s[18:19], 0
.LBB223_2:                              ; =>This Inner Loop Header: Depth=1
	flat_load_dwordx2 v[6:7], v[2:3]
	s_add_u32 s18, s18, 4
	s_addc_u32 s19, s19, 0
	v_add_co_u32 v2, vcc_lo, v2, s16
	v_cmp_lt_i64_e64 s0, s[18:19], s[12:13]
	v_add_co_ci_u32_e64 v3, null, s17, v3, vcc_lo
	s_and_b32 vcc_lo, exec_lo, s0
	s_waitcnt vmcnt(0) lgkmcnt(0)
	ds_write_b64 v40, v[6:7]
	flat_load_dwordx2 v[6:7], v[4:5]
	v_add_co_u32 v4, s0, v4, 32
	v_add_co_ci_u32_e64 v5, null, 0, v5, s0
	s_waitcnt vmcnt(0) lgkmcnt(0)
	ds_write_b64 v41, v[6:7]
	s_waitcnt lgkmcnt(0)
	s_barrier
	buffer_gl0_inv
	ds_read_b128 v[44:47], v43
	ds_read2_b64 v[48:51], v42 offset1:16
	ds_read_b128 v[52:55], v43 offset:512
	ds_read_b128 v[56:59], v43 offset:16
	;; [unrolled: 1-line block ×7, first 2 shown]
	ds_read2_b64 v[80:83], v42 offset0:32 offset1:48
	ds_read2_b64 v[84:87], v42 offset0:64 offset1:80
	;; [unrolled: 1-line block ×7, first 2 shown]
	s_waitcnt lgkmcnt(0)
	s_barrier
	buffer_gl0_inv
	v_mul_f32_e32 v6, v45, v49
	v_mul_f32_e32 v7, v44, v49
	;; [unrolled: 1-line block ×64, first 2 shown]
	v_fma_f32 v6, v44, v48, -v6
	v_fmac_f32_e32 v7, v45, v48
	v_fma_f32 v108, v44, v50, -v108
	v_fmac_f32_e32 v109, v45, v50
	;; [unrolled: 2-line block ×16, first 2 shown]
	v_mul_f32_e32 v162, v57, v93
	v_mul_f32_e32 v163, v56, v93
	v_mul_f32_e32 v164, v57, v95
	v_mul_f32_e32 v165, v56, v95
	v_mul_f32_e32 v166, v61, v93
	v_mul_f32_e32 v167, v60, v93
	v_mul_f32_e32 v168, v61, v95
	v_mul_f32_e32 v169, v60, v95
	v_mul_f32_e32 v170, v69, v93
	v_mul_f32_e32 v171, v68, v93
	v_mul_f32_e32 v172, v69, v95
	v_mul_f32_e32 v173, v68, v95
	v_mul_f32_e32 v174, v77, v93
	v_mul_f32_e32 v93, v76, v93
	v_mul_f32_e32 v175, v77, v95
	v_mul_f32_e32 v95, v76, v95
	v_mul_f32_e32 v176, v57, v97
	v_mul_f32_e32 v177, v56, v97
	v_mul_f32_e32 v178, v57, v99
	v_mul_f32_e32 v179, v56, v99
	v_mul_f32_e32 v50, v61, v97
	v_mul_f32_e32 v119, v60, v97
	v_mul_f32_e32 v180, v61, v99
	v_mul_f32_e32 v181, v60, v99
	v_mul_f32_e32 v73, v69, v97
	v_mul_f32_e32 v80, v68, v97
	v_mul_f32_e32 v82, v69, v99
	v_mul_f32_e32 v122, v68, v99
	v_fma_f32 v124, v46, v84, -v134
	v_fmac_f32_e32 v135, v47, v84
	v_fma_f32 v126, v46, v86, -v136
	v_fmac_f32_e32 v137, v47, v86
	;; [unrolled: 2-line block ×4, first 2 shown]
	v_mul_f32_e32 v47, v77, v97
	v_mul_f32_e32 v97, v76, v97
	;; [unrolled: 1-line block ×4, first 2 shown]
	v_fma_f32 v132, v54, v84, -v142
	v_fmac_f32_e32 v143, v55, v84
	v_fma_f32 v133, v54, v86, -v144
	v_fmac_f32_e32 v145, v55, v86
	;; [unrolled: 2-line block ×4, first 2 shown]
	v_mul_f32_e32 v136, v58, v101
	v_mul_f32_e32 v140, v58, v103
	v_fma_f32 v142, v66, v84, -v150
	v_fmac_f32_e32 v151, v67, v84
	v_fma_f32 v144, v66, v86, -v152
	v_fmac_f32_e32 v153, v67, v86
	;; [unrolled: 2-line block ×4, first 2 shown]
	v_mul_f32_e32 v148, v58, v105
	v_mul_f32_e32 v152, v58, v107
	v_fma_f32 v154, v74, v84, -v158
	v_fmac_f32_e32 v85, v75, v84
	v_fma_f32 v84, v74, v86, -v159
	v_fmac_f32_e32 v87, v75, v86
	;; [unrolled: 2-line block ×4, first 2 shown]
	v_add_f32_e32 v6, v38, v6
	v_add_f32_e32 v7, v39, v7
	;; [unrolled: 1-line block ×32, first 2 shown]
	v_mul_f32_e32 v55, v59, v101
	v_mul_f32_e32 v138, v59, v103
	;; [unrolled: 1-line block ×16, first 2 shown]
	v_fma_f32 v162, v56, v92, -v162
	v_fmac_f32_e32 v163, v57, v92
	v_fma_f32 v164, v56, v94, -v164
	v_fmac_f32_e32 v165, v57, v94
	;; [unrolled: 2-line block ×8, first 2 shown]
	v_mul_f32_e32 v94, v71, v105
	v_mul_f32_e32 v175, v70, v105
	;; [unrolled: 1-line block ×4, first 2 shown]
	v_fma_f32 v176, v56, v96, -v176
	v_fmac_f32_e32 v177, v57, v96
	v_fma_f32 v56, v56, v98, -v178
	v_fmac_f32_e32 v179, v57, v98
	;; [unrolled: 2-line block ×8, first 2 shown]
	v_mul_f32_e32 v69, v79, v101
	v_mul_f32_e32 v73, v78, v101
	;; [unrolled: 1-line block ×4, first 2 shown]
	v_fmac_f32_e32 v136, v59, v100
	v_fmac_f32_e32 v140, v59, v102
	;; [unrolled: 1-line block ×4, first 2 shown]
	v_mul_f32_e32 v59, v79, v105
	v_mul_f32_e32 v96, v78, v105
	;; [unrolled: 1-line block ×4, first 2 shown]
	v_add_f32_e32 v6, v6, v124
	v_add_f32_e32 v7, v7, v135
	;; [unrolled: 1-line block ×32, first 2 shown]
	v_fma_f32 v55, v58, v100, -v55
	v_fma_f32 v82, v58, v102, -v138
	;; [unrolled: 1-line block ×5, first 2 shown]
	v_fmac_f32_e32 v156, v63, v100
	v_fma_f32 v103, v62, v102, -v158
	v_fmac_f32_e32 v159, v63, v102
	v_fma_f32 v75, v62, v104, -v75
	;; [unrolled: 2-line block ×11, first 2 shown]
	v_fmac_f32_e32 v101, v79, v106
	v_add_f32_e32 v6, v6, v162
	v_add_f32_e32 v7, v7, v163
	;; [unrolled: 1-line block ×64, first 2 shown]
	s_cbranch_vccnz .LBB223_2
.LBB223_3:
	s_lshl_b64 s[0:1], s[30:31], 3
	s_waitcnt lgkmcnt(0)
	s_add_u32 s8, s8, s0
	s_addc_u32 s9, s9, s1
	v_add_co_u32 v4, s1, s10, v1
	v_add_co_ci_u32_e64 v5, null, s11, 0, s1
	v_add_co_u32 v0, s1, s6, v0
	s_or_b32 s0, s2, s3
	v_add_co_ci_u32_e64 v1, null, s7, 0, s1
	s_bitset0_b32 s0, 31
	s_mov_b32 s6, 0
	s_cmp_lg_u32 s0, 0
	s_cbranch_scc1 .LBB223_5
; %bb.4:
	v_mul_lo_u32 v6, v5, s28
	v_mul_lo_u32 v40, v4, s29
	v_mad_u64_u32 v[2:3], null, v4, s28, 0
	v_mul_f32_e32 v42, s15, v39
	v_mul_f32_e32 v7, s14, v39
	;; [unrolled: 1-line block ×6, first 2 shown]
	v_add3_u32 v3, v3, v40, v6
	v_lshlrev_b64 v[40:41], 3, v[0:1]
	v_mul_f32_e32 v48, s15, v33
	v_mul_f32_e32 v47, s14, v33
	v_fma_f32 v6, v38, s14, -v42
	v_lshlrev_b64 v[2:3], 3, v[2:3]
	v_fmac_f32_e32 v7, s15, v38
	v_fma_f32 v42, v36, s14, -v44
	v_fmac_f32_e32 v43, s15, v36
	s_lshl_b64 s[0:1], s[28:29], 7
	v_fma_f32 v44, v34, s14, -v46
	v_add_co_u32 v49, vcc_lo, s8, v2
	v_add_co_ci_u32_e64 v50, null, s9, v3, vcc_lo
	v_fmac_f32_e32 v45, s15, v34
	v_add_co_u32 v2, vcc_lo, v49, v40
	v_add_co_ci_u32_e64 v3, null, v50, v41, vcc_lo
	v_fma_f32 v46, v32, s14, -v48
	v_fmac_f32_e32 v47, s15, v32
	v_add_co_u32 v48, vcc_lo, v49, s0
	flat_store_dwordx2 v[2:3], v[6:7]
	flat_store_dwordx2 v[2:3], v[42:43] offset:128
	flat_store_dwordx2 v[2:3], v[44:45] offset:256
	;; [unrolled: 1-line block ×3, first 2 shown]
	v_mul_f32_e32 v2, s15, v31
	v_mul_f32_e32 v3, s14, v31
	v_add_co_ci_u32_e64 v49, null, s1, v50, vcc_lo
	v_mul_f32_e32 v6, s15, v29
	v_mul_f32_e32 v7, s14, v29
	;; [unrolled: 1-line block ×4, first 2 shown]
	v_add_co_u32 v44, vcc_lo, v48, v40
	v_fma_f32 v2, v30, s14, -v2
	v_fmac_f32_e32 v3, s15, v30
	v_add_co_ci_u32_e64 v45, null, v49, v41, vcc_lo
	v_fma_f32 v6, v28, s14, -v6
	v_fmac_f32_e32 v7, s15, v28
	v_fma_f32 v42, v26, s14, -v42
	v_fmac_f32_e32 v43, s15, v26
	v_add_co_u32 v52, vcc_lo, v48, s0
	v_mul_f32_e32 v46, s15, v25
	v_mul_f32_e32 v47, s14, v25
	flat_store_dwordx2 v[44:45], v[2:3]
	flat_store_dwordx2 v[44:45], v[6:7] offset:128
	flat_store_dwordx2 v[44:45], v[42:43] offset:256
	v_mul_f32_e32 v2, s15, v23
	v_mul_f32_e32 v3, s14, v23
	v_add_co_ci_u32_e64 v53, null, s1, v49, vcc_lo
	v_mul_f32_e32 v42, s15, v21
	v_mul_f32_e32 v43, s14, v21
	;; [unrolled: 1-line block ×4, first 2 shown]
	v_add_co_u32 v6, vcc_lo, v52, v40
	v_mul_f32_e32 v50, s15, v17
	v_mul_f32_e32 v51, s14, v17
	v_fma_f32 v46, v24, s14, -v46
	v_fmac_f32_e32 v47, s15, v24
	v_fma_f32 v2, v22, s14, -v2
	v_fmac_f32_e32 v3, s15, v22
	v_add_co_ci_u32_e64 v7, null, v53, v41, vcc_lo
	v_fma_f32 v42, v20, s14, -v42
	v_fmac_f32_e32 v43, s15, v20
	v_fma_f32 v48, v18, s14, -v48
	v_fmac_f32_e32 v49, s15, v18
	;; [unrolled: 2-line block ×3, first 2 shown]
	flat_store_dwordx2 v[44:45], v[46:47] offset:384
	flat_store_dwordx2 v[6:7], v[2:3]
	flat_store_dwordx2 v[6:7], v[42:43] offset:128
	flat_store_dwordx2 v[6:7], v[48:49] offset:256
	;; [unrolled: 1-line block ×3, first 2 shown]
	v_mul_f32_e32 v2, s15, v15
	v_add_co_u32 v3, vcc_lo, v52, s0
	v_add_co_ci_u32_e64 v6, null, s1, v53, vcc_lo
	v_fma_f32 v42, v14, s14, -v2
	v_mul_f32_e32 v2, s15, v13
	v_add_co_u32 v40, vcc_lo, v3, v40
	v_mul_f32_e32 v43, s14, v15
	v_add_co_ci_u32_e64 v41, null, v6, v41, vcc_lo
	v_fma_f32 v44, v12, s14, -v2
	v_mul_f32_e32 v2, s15, v11
	v_mul_f32_e32 v3, s15, v8
	;; [unrolled: 1-line block ×5, first 2 shown]
	v_fma_f32 v46, v10, s14, -v2
	v_add_co_u32 v2, vcc_lo, 0x180, v40
	v_fmac_f32_e32 v43, s15, v14
	v_fma_f32 v7, v9, s14, -v3
	v_fmac_f32_e32 v6, s15, v9
	v_add_co_ci_u32_e64 v3, null, 0, v41, vcc_lo
	v_fmac_f32_e32 v45, s15, v12
	v_fmac_f32_e32 v47, s15, v10
	flat_store_dwordx2 v[40:41], v[42:43]
	flat_store_dwordx2 v[40:41], v[44:45] offset:128
	flat_store_dwordx2 v[40:41], v[46:47] offset:256
	flat_store_dword v[40:41], v7 offset:384
	s_andn2_b32 vcc_lo, exec_lo, s6
	s_cbranch_vccz .LBB223_6
	s_branch .LBB223_7
.LBB223_5:
                                        ; implicit-def: $vgpr6
                                        ; implicit-def: $vgpr2_vgpr3
.LBB223_6:
	v_mul_lo_u32 v6, v5, s38
	v_mul_lo_u32 v7, v4, s39
	v_mad_u64_u32 v[2:3], null, v4, s38, 0
	s_lshl_b64 s[0:1], s[40:41], 3
	v_lshlrev_b64 v[0:1], 3, v[0:1]
	s_add_u32 s0, s4, s0
	s_addc_u32 s1, s5, s1
	v_mul_lo_u32 v42, v5, s28
	v_mul_lo_u32 v43, v4, s29
	v_add3_u32 v3, v3, v7, v6
	v_mad_u64_u32 v[4:5], null, v4, s28, 0
	s_lshl_b64 s[4:5], s[28:29], 7
	v_lshlrev_b64 v[2:3], 3, v[2:3]
	v_add3_u32 v5, v5, v43, v42
	v_mul_f32_e32 v42, s15, v39
	v_add_co_u32 v40, vcc_lo, s0, v2
	v_add_co_ci_u32_e64 v41, null, s1, v3, vcc_lo
	v_mul_f32_e32 v39, s14, v39
	v_add_co_u32 v2, vcc_lo, v40, v0
	v_add_co_ci_u32_e64 v3, null, v41, v1, vcc_lo
	v_lshlrev_b64 v[4:5], 3, v[4:5]
	v_fma_f32 v42, v38, s14, -v42
	v_fmac_f32_e32 v39, s15, v38
	flat_load_dwordx2 v[6:7], v[2:3]
	s_lshl_b64 s[0:1], s[38:39], 7
	v_add_co_u32 v43, vcc_lo, s8, v4
	v_add_co_ci_u32_e64 v44, null, s9, v5, vcc_lo
	v_add_co_u32 v4, vcc_lo, v43, v0
	v_add_co_ci_u32_e64 v5, null, v44, v1, vcc_lo
	s_waitcnt vmcnt(0) lgkmcnt(0)
	v_mul_f32_e32 v38, s3, v7
	v_mul_f32_e32 v7, s2, v7
	v_fma_f32 v38, v6, s2, -v38
	v_fmac_f32_e32 v7, s3, v6
	v_add_f32_e32 v6, v42, v38
	v_add_f32_e32 v7, v39, v7
	v_mul_f32_e32 v38, s15, v37
	v_mul_f32_e32 v37, s14, v37
	flat_store_dwordx2 v[4:5], v[6:7]
	flat_load_dwordx2 v[6:7], v[2:3] offset:128
	v_fma_f32 v38, v36, s14, -v38
	v_fmac_f32_e32 v37, s15, v36
	s_waitcnt vmcnt(0) lgkmcnt(0)
	v_mul_f32_e32 v39, s3, v7
	v_mul_f32_e32 v7, s2, v7
	v_fma_f32 v36, v6, s2, -v39
	v_fmac_f32_e32 v7, s3, v6
	v_add_f32_e32 v6, v38, v36
	v_add_f32_e32 v7, v37, v7
	v_mul_f32_e32 v36, s15, v35
	v_mul_f32_e32 v35, s14, v35
	flat_store_dwordx2 v[4:5], v[6:7] offset:128
	flat_load_dwordx2 v[6:7], v[2:3] offset:256
	v_fma_f32 v36, v34, s14, -v36
	v_fmac_f32_e32 v35, s15, v34
	s_waitcnt vmcnt(0) lgkmcnt(0)
	v_mul_f32_e32 v37, s3, v7
	v_mul_f32_e32 v7, s2, v7
	v_fma_f32 v34, v6, s2, -v37
	v_fmac_f32_e32 v7, s3, v6
	v_add_f32_e32 v6, v36, v34
	v_add_f32_e32 v7, v35, v7
	flat_store_dwordx2 v[4:5], v[6:7] offset:256
	flat_load_dwordx2 v[2:3], v[2:3] offset:384
	v_mul_f32_e32 v6, s15, v33
	v_mul_f32_e32 v7, s14, v33
	v_fma_f32 v6, v32, s14, -v6
	v_fmac_f32_e32 v7, s15, v32
	s_waitcnt vmcnt(0) lgkmcnt(0)
	v_mul_f32_e32 v33, s3, v3
	v_mul_f32_e32 v3, s2, v3
	v_fma_f32 v32, v2, s2, -v33
	v_add_co_u32 v33, vcc_lo, v40, s0
	v_fmac_f32_e32 v3, s3, v2
	v_add_co_ci_u32_e64 v34, null, s1, v41, vcc_lo
	v_add_f32_e32 v2, v6, v32
	v_add_co_u32 v6, vcc_lo, v33, v0
	v_add_f32_e32 v3, v7, v3
	v_add_co_ci_u32_e64 v7, null, v34, v1, vcc_lo
	v_add_co_u32 v32, vcc_lo, v43, s4
	flat_store_dwordx2 v[4:5], v[2:3] offset:384
	flat_load_dwordx2 v[2:3], v[6:7]
	v_mul_f32_e32 v4, s15, v31
	v_mul_f32_e32 v5, s14, v31
	v_add_co_ci_u32_e64 v35, null, s5, v44, vcc_lo
	v_fma_f32 v4, v30, s14, -v4
	v_fmac_f32_e32 v5, s15, v30
	s_waitcnt vmcnt(0) lgkmcnt(0)
	v_mul_f32_e32 v30, s3, v3
	v_mul_f32_e32 v31, s2, v3
	v_fma_f32 v30, v2, s2, -v30
	v_fmac_f32_e32 v31, s3, v2
	v_add_co_u32 v2, vcc_lo, v32, v0
	v_add_co_ci_u32_e64 v3, null, v35, v1, vcc_lo
	v_add_f32_e32 v4, v4, v30
	v_add_f32_e32 v5, v5, v31
	v_mul_f32_e32 v30, s15, v29
	v_mul_f32_e32 v29, s14, v29
	flat_store_dwordx2 v[2:3], v[4:5]
	flat_load_dwordx2 v[4:5], v[6:7] offset:128
	v_fma_f32 v30, v28, s14, -v30
	v_fmac_f32_e32 v29, s15, v28
	s_waitcnt vmcnt(0) lgkmcnt(0)
	v_mul_f32_e32 v31, s3, v5
	v_mul_f32_e32 v5, s2, v5
	v_fma_f32 v28, v4, s2, -v31
	v_fmac_f32_e32 v5, s3, v4
	v_add_f32_e32 v4, v30, v28
	v_add_f32_e32 v5, v29, v5
	v_mul_f32_e32 v28, s15, v27
	v_mul_f32_e32 v27, s14, v27
	flat_store_dwordx2 v[2:3], v[4:5] offset:128
	flat_load_dwordx2 v[4:5], v[6:7] offset:256
	v_fma_f32 v28, v26, s14, -v28
	v_fmac_f32_e32 v27, s15, v26
	s_waitcnt vmcnt(0) lgkmcnt(0)
	v_mul_f32_e32 v29, s3, v5
	v_mul_f32_e32 v5, s2, v5
	v_fma_f32 v26, v4, s2, -v29
	v_fmac_f32_e32 v5, s3, v4
	v_add_f32_e32 v4, v28, v26
	v_add_f32_e32 v5, v27, v5
	flat_store_dwordx2 v[2:3], v[4:5] offset:256
	flat_load_dwordx2 v[4:5], v[6:7] offset:384
	v_mul_f32_e32 v6, s15, v25
	v_mul_f32_e32 v7, s14, v25
	v_fma_f32 v6, v24, s14, -v6
	v_fmac_f32_e32 v7, s15, v24
	s_waitcnt vmcnt(0) lgkmcnt(0)
	v_mul_f32_e32 v25, s3, v5
	v_mul_f32_e32 v5, s2, v5
	v_fma_f32 v24, v4, s2, -v25
	v_add_co_u32 v25, vcc_lo, v33, s0
	v_fmac_f32_e32 v5, s3, v4
	v_add_co_ci_u32_e64 v26, null, s1, v34, vcc_lo
	v_add_f32_e32 v4, v6, v24
	v_add_co_u32 v6, vcc_lo, v25, v0
	v_add_f32_e32 v5, v7, v5
	v_add_co_ci_u32_e64 v7, null, v26, v1, vcc_lo
	v_add_co_u32 v24, vcc_lo, v32, s4
	flat_store_dwordx2 v[2:3], v[4:5] offset:384
	flat_load_dwordx2 v[2:3], v[6:7]
	v_mul_f32_e32 v4, s15, v23
	v_mul_f32_e32 v5, s14, v23
	v_add_co_ci_u32_e64 v27, null, s5, v35, vcc_lo
	v_fma_f32 v4, v22, s14, -v4
	v_fmac_f32_e32 v5, s15, v22
	s_waitcnt vmcnt(0) lgkmcnt(0)
	v_mul_f32_e32 v22, s3, v3
	v_mul_f32_e32 v23, s2, v3
	v_fma_f32 v22, v2, s2, -v22
	v_fmac_f32_e32 v23, s3, v2
	v_add_co_u32 v2, vcc_lo, v24, v0
	v_add_co_ci_u32_e64 v3, null, v27, v1, vcc_lo
	v_add_f32_e32 v4, v4, v22
	v_add_f32_e32 v5, v5, v23
	v_mul_f32_e32 v22, s15, v21
	v_mul_f32_e32 v21, s14, v21
	flat_store_dwordx2 v[2:3], v[4:5]
	flat_load_dwordx2 v[4:5], v[6:7] offset:128
	v_fma_f32 v22, v20, s14, -v22
	v_fmac_f32_e32 v21, s15, v20
	s_waitcnt vmcnt(0) lgkmcnt(0)
	v_mul_f32_e32 v23, s3, v5
	v_mul_f32_e32 v5, s2, v5
	v_fma_f32 v20, v4, s2, -v23
	v_fmac_f32_e32 v5, s3, v4
	v_add_f32_e32 v4, v22, v20
	v_add_f32_e32 v5, v21, v5
	v_mul_f32_e32 v20, s15, v19
	v_mul_f32_e32 v19, s14, v19
	flat_store_dwordx2 v[2:3], v[4:5] offset:128
	flat_load_dwordx2 v[4:5], v[6:7] offset:256
	v_fma_f32 v20, v18, s14, -v20
	v_fmac_f32_e32 v19, s15, v18
	s_waitcnt vmcnt(0) lgkmcnt(0)
	v_mul_f32_e32 v21, s3, v5
	v_mul_f32_e32 v5, s2, v5
	v_fma_f32 v18, v4, s2, -v21
	v_fmac_f32_e32 v5, s3, v4
	v_add_f32_e32 v4, v20, v18
	v_add_f32_e32 v5, v19, v5
	flat_store_dwordx2 v[2:3], v[4:5] offset:256
	flat_load_dwordx2 v[4:5], v[6:7] offset:384
	v_mul_f32_e32 v6, s15, v17
	v_mul_f32_e32 v7, s14, v17
	v_fma_f32 v6, v16, s14, -v6
	v_fmac_f32_e32 v7, s15, v16
	s_waitcnt vmcnt(0) lgkmcnt(0)
	v_mul_f32_e32 v17, s3, v5
	v_mul_f32_e32 v5, s2, v5
	v_fma_f32 v16, v4, s2, -v17
	v_add_co_u32 v17, vcc_lo, v25, s0
	v_fmac_f32_e32 v5, s3, v4
	v_add_co_ci_u32_e64 v18, null, s1, v26, vcc_lo
	v_add_f32_e32 v4, v6, v16
	v_add_co_u32 v6, vcc_lo, v17, v0
	v_add_f32_e32 v5, v7, v5
	v_add_co_ci_u32_e64 v7, null, v18, v1, vcc_lo
	flat_store_dwordx2 v[2:3], v[4:5] offset:384
	flat_load_dwordx2 v[2:3], v[6:7]
	v_mul_f32_e32 v4, s15, v15
	v_mul_f32_e32 v5, s14, v15
	v_add_co_u32 v15, vcc_lo, v24, s4
	v_add_co_ci_u32_e64 v16, null, s5, v27, vcc_lo
	v_fma_f32 v4, v14, s14, -v4
	v_fmac_f32_e32 v5, s15, v14
	v_add_co_u32 v0, vcc_lo, v15, v0
	v_add_co_ci_u32_e64 v1, null, v16, v1, vcc_lo
	s_waitcnt vmcnt(0) lgkmcnt(0)
	v_mul_f32_e32 v14, s3, v3
	v_mul_f32_e32 v3, s2, v3
	v_fma_f32 v14, v2, s2, -v14
	v_fmac_f32_e32 v3, s3, v2
	v_add_f32_e32 v2, v4, v14
	v_add_f32_e32 v3, v5, v3
	v_mul_f32_e32 v4, s15, v13
	v_mul_f32_e32 v5, s14, v13
	flat_store_dwordx2 v[0:1], v[2:3]
	flat_load_dwordx2 v[2:3], v[6:7] offset:128
	v_fma_f32 v4, v12, s14, -v4
	v_fmac_f32_e32 v5, s15, v12
	s_waitcnt vmcnt(0) lgkmcnt(0)
	v_mul_f32_e32 v13, s3, v3
	v_mul_f32_e32 v3, s2, v3
	v_fma_f32 v12, v2, s2, -v13
	v_fmac_f32_e32 v3, s3, v2
	v_add_f32_e32 v2, v4, v12
	v_add_f32_e32 v3, v5, v3
	v_mul_f32_e32 v4, s15, v11
	v_mul_f32_e32 v5, s14, v11
	flat_store_dwordx2 v[0:1], v[2:3] offset:128
	flat_load_dwordx2 v[2:3], v[6:7] offset:256
	v_fma_f32 v4, v10, s14, -v4
	v_fmac_f32_e32 v5, s15, v10
	s_waitcnt vmcnt(0) lgkmcnt(0)
	v_mul_f32_e32 v11, s3, v3
	v_mul_f32_e32 v3, s2, v3
	v_fma_f32 v10, v2, s2, -v11
	v_fmac_f32_e32 v3, s3, v2
	v_add_f32_e32 v2, v4, v10
	v_add_f32_e32 v3, v5, v3
	v_mul_f32_e32 v4, s15, v8
	v_mul_f32_e32 v5, s14, v8
	flat_store_dwordx2 v[0:1], v[2:3] offset:256
	flat_load_dwordx2 v[2:3], v[6:7] offset:384
	v_fma_f32 v4, v9, s14, -v4
	v_fmac_f32_e32 v5, s15, v9
	s_waitcnt vmcnt(0) lgkmcnt(0)
	v_mul_f32_e32 v6, s3, v3
	v_mul_f32_e32 v3, s2, v3
	v_fma_f32 v6, v2, s2, -v6
	v_fmac_f32_e32 v3, s3, v2
	v_add_co_u32 v2, vcc_lo, 0x180, v0
	v_add_f32_e32 v4, v4, v6
	v_add_f32_e32 v6, v5, v3
	v_add_co_ci_u32_e64 v3, null, 0, v1, vcc_lo
	flat_store_dword v[0:1], v4 offset:384
.LBB223_7:
	flat_store_dword v[2:3], v6 offset:4
	s_endpgm
	.section	.rodata,"a",@progbits
	.p2align	6, 0x0
	.amdhsa_kernel _ZN12_GLOBAL__N_127rocblas_gemm_batched_kernelI19rocblas_complex_numIfELi16ELi16ELi64ELi64ELi4ELi64ELi4ELi4ELi64ELc78ELc78EKPKS2_S5_KPS2_EEvlllT_PT11_llSA_llS8_PT12_llPT13_lli
		.amdhsa_group_segment_fixed_size 4096
		.amdhsa_private_segment_fixed_size 0
		.amdhsa_kernarg_size 140
		.amdhsa_user_sgpr_count 6
		.amdhsa_user_sgpr_private_segment_buffer 1
		.amdhsa_user_sgpr_dispatch_ptr 0
		.amdhsa_user_sgpr_queue_ptr 0
		.amdhsa_user_sgpr_kernarg_segment_ptr 1
		.amdhsa_user_sgpr_dispatch_id 0
		.amdhsa_user_sgpr_flat_scratch_init 0
		.amdhsa_user_sgpr_private_segment_size 0
		.amdhsa_wavefront_size32 1
		.amdhsa_uses_dynamic_stack 0
		.amdhsa_system_sgpr_private_segment_wavefront_offset 0
		.amdhsa_system_sgpr_workgroup_id_x 1
		.amdhsa_system_sgpr_workgroup_id_y 1
		.amdhsa_system_sgpr_workgroup_id_z 1
		.amdhsa_system_sgpr_workgroup_info 0
		.amdhsa_system_vgpr_workitem_id 1
		.amdhsa_next_free_vgpr 188
		.amdhsa_next_free_sgpr 44
		.amdhsa_reserve_vcc 1
		.amdhsa_reserve_flat_scratch 0
		.amdhsa_float_round_mode_32 0
		.amdhsa_float_round_mode_16_64 0
		.amdhsa_float_denorm_mode_32 3
		.amdhsa_float_denorm_mode_16_64 3
		.amdhsa_dx10_clamp 1
		.amdhsa_ieee_mode 1
		.amdhsa_fp16_overflow 0
		.amdhsa_workgroup_processor_mode 1
		.amdhsa_memory_ordered 1
		.amdhsa_forward_progress 1
		.amdhsa_shared_vgpr_count 0
		.amdhsa_exception_fp_ieee_invalid_op 0
		.amdhsa_exception_fp_denorm_src 0
		.amdhsa_exception_fp_ieee_div_zero 0
		.amdhsa_exception_fp_ieee_overflow 0
		.amdhsa_exception_fp_ieee_underflow 0
		.amdhsa_exception_fp_ieee_inexact 0
		.amdhsa_exception_int_div_zero 0
	.end_amdhsa_kernel
	.section	.text._ZN12_GLOBAL__N_127rocblas_gemm_batched_kernelI19rocblas_complex_numIfELi16ELi16ELi64ELi64ELi4ELi64ELi4ELi4ELi64ELc78ELc78EKPKS2_S5_KPS2_EEvlllT_PT11_llSA_llS8_PT12_llPT13_lli,"axG",@progbits,_ZN12_GLOBAL__N_127rocblas_gemm_batched_kernelI19rocblas_complex_numIfELi16ELi16ELi64ELi64ELi4ELi64ELi4ELi4ELi64ELc78ELc78EKPKS2_S5_KPS2_EEvlllT_PT11_llSA_llS8_PT12_llPT13_lli,comdat
.Lfunc_end223:
	.size	_ZN12_GLOBAL__N_127rocblas_gemm_batched_kernelI19rocblas_complex_numIfELi16ELi16ELi64ELi64ELi4ELi64ELi4ELi4ELi64ELc78ELc78EKPKS2_S5_KPS2_EEvlllT_PT11_llSA_llS8_PT12_llPT13_lli, .Lfunc_end223-_ZN12_GLOBAL__N_127rocblas_gemm_batched_kernelI19rocblas_complex_numIfELi16ELi16ELi64ELi64ELi4ELi64ELi4ELi4ELi64ELc78ELc78EKPKS2_S5_KPS2_EEvlllT_PT11_llSA_llS8_PT12_llPT13_lli
                                        ; -- End function
	.set _ZN12_GLOBAL__N_127rocblas_gemm_batched_kernelI19rocblas_complex_numIfELi16ELi16ELi64ELi64ELi4ELi64ELi4ELi4ELi64ELc78ELc78EKPKS2_S5_KPS2_EEvlllT_PT11_llSA_llS8_PT12_llPT13_lli.num_vgpr, 188
	.set _ZN12_GLOBAL__N_127rocblas_gemm_batched_kernelI19rocblas_complex_numIfELi16ELi16ELi64ELi64ELi4ELi64ELi4ELi4ELi64ELc78ELc78EKPKS2_S5_KPS2_EEvlllT_PT11_llSA_llS8_PT12_llPT13_lli.num_agpr, 0
	.set _ZN12_GLOBAL__N_127rocblas_gemm_batched_kernelI19rocblas_complex_numIfELi16ELi16ELi64ELi64ELi4ELi64ELi4ELi4ELi64ELc78ELc78EKPKS2_S5_KPS2_EEvlllT_PT11_llSA_llS8_PT12_llPT13_lli.numbered_sgpr, 44
	.set _ZN12_GLOBAL__N_127rocblas_gemm_batched_kernelI19rocblas_complex_numIfELi16ELi16ELi64ELi64ELi4ELi64ELi4ELi4ELi64ELc78ELc78EKPKS2_S5_KPS2_EEvlllT_PT11_llSA_llS8_PT12_llPT13_lli.num_named_barrier, 0
	.set _ZN12_GLOBAL__N_127rocblas_gemm_batched_kernelI19rocblas_complex_numIfELi16ELi16ELi64ELi64ELi4ELi64ELi4ELi4ELi64ELc78ELc78EKPKS2_S5_KPS2_EEvlllT_PT11_llSA_llS8_PT12_llPT13_lli.private_seg_size, 0
	.set _ZN12_GLOBAL__N_127rocblas_gemm_batched_kernelI19rocblas_complex_numIfELi16ELi16ELi64ELi64ELi4ELi64ELi4ELi4ELi64ELc78ELc78EKPKS2_S5_KPS2_EEvlllT_PT11_llSA_llS8_PT12_llPT13_lli.uses_vcc, 1
	.set _ZN12_GLOBAL__N_127rocblas_gemm_batched_kernelI19rocblas_complex_numIfELi16ELi16ELi64ELi64ELi4ELi64ELi4ELi4ELi64ELc78ELc78EKPKS2_S5_KPS2_EEvlllT_PT11_llSA_llS8_PT12_llPT13_lli.uses_flat_scratch, 0
	.set _ZN12_GLOBAL__N_127rocblas_gemm_batched_kernelI19rocblas_complex_numIfELi16ELi16ELi64ELi64ELi4ELi64ELi4ELi4ELi64ELc78ELc78EKPKS2_S5_KPS2_EEvlllT_PT11_llSA_llS8_PT12_llPT13_lli.has_dyn_sized_stack, 0
	.set _ZN12_GLOBAL__N_127rocblas_gemm_batched_kernelI19rocblas_complex_numIfELi16ELi16ELi64ELi64ELi4ELi64ELi4ELi4ELi64ELc78ELc78EKPKS2_S5_KPS2_EEvlllT_PT11_llSA_llS8_PT12_llPT13_lli.has_recursion, 0
	.set _ZN12_GLOBAL__N_127rocblas_gemm_batched_kernelI19rocblas_complex_numIfELi16ELi16ELi64ELi64ELi4ELi64ELi4ELi4ELi64ELc78ELc78EKPKS2_S5_KPS2_EEvlllT_PT11_llSA_llS8_PT12_llPT13_lli.has_indirect_call, 0
	.section	.AMDGPU.csdata,"",@progbits
; Kernel info:
; codeLenInByte = 4928
; TotalNumSgprs: 46
; NumVgprs: 188
; ScratchSize: 0
; MemoryBound: 0
; FloatMode: 240
; IeeeMode: 1
; LDSByteSize: 4096 bytes/workgroup (compile time only)
; SGPRBlocks: 0
; VGPRBlocks: 23
; NumSGPRsForWavesPerEU: 46
; NumVGPRsForWavesPerEU: 188
; Occupancy: 5
; WaveLimiterHint : 1
; COMPUTE_PGM_RSRC2:SCRATCH_EN: 0
; COMPUTE_PGM_RSRC2:USER_SGPR: 6
; COMPUTE_PGM_RSRC2:TRAP_HANDLER: 0
; COMPUTE_PGM_RSRC2:TGID_X_EN: 1
; COMPUTE_PGM_RSRC2:TGID_Y_EN: 1
; COMPUTE_PGM_RSRC2:TGID_Z_EN: 1
; COMPUTE_PGM_RSRC2:TIDIG_COMP_CNT: 1
	.section	.text._ZN12_GLOBAL__N_127rocblas_gemm_batched_kernelI19rocblas_complex_numIfELi16ELi16ELi64ELi64ELi4ELi64ELi4ELi4ELi64ELc84ELc78EKPKS2_S5_KPS2_EEvlllT_PT11_llSA_llS8_PT12_llPT13_lli,"axG",@progbits,_ZN12_GLOBAL__N_127rocblas_gemm_batched_kernelI19rocblas_complex_numIfELi16ELi16ELi64ELi64ELi4ELi64ELi4ELi4ELi64ELc84ELc78EKPKS2_S5_KPS2_EEvlllT_PT11_llSA_llS8_PT12_llPT13_lli,comdat
	.globl	_ZN12_GLOBAL__N_127rocblas_gemm_batched_kernelI19rocblas_complex_numIfELi16ELi16ELi64ELi64ELi4ELi64ELi4ELi4ELi64ELc84ELc78EKPKS2_S5_KPS2_EEvlllT_PT11_llSA_llS8_PT12_llPT13_lli ; -- Begin function _ZN12_GLOBAL__N_127rocblas_gemm_batched_kernelI19rocblas_complex_numIfELi16ELi16ELi64ELi64ELi4ELi64ELi4ELi4ELi64ELc84ELc78EKPKS2_S5_KPS2_EEvlllT_PT11_llSA_llS8_PT12_llPT13_lli
	.p2align	8
	.type	_ZN12_GLOBAL__N_127rocblas_gemm_batched_kernelI19rocblas_complex_numIfELi16ELi16ELi64ELi64ELi4ELi64ELi4ELi4ELi64ELc84ELc78EKPKS2_S5_KPS2_EEvlllT_PT11_llSA_llS8_PT12_llPT13_lli,@function
_ZN12_GLOBAL__N_127rocblas_gemm_batched_kernelI19rocblas_complex_numIfELi16ELi16ELi64ELi64ELi4ELi64ELi4ELi4ELi64ELc84ELc78EKPKS2_S5_KPS2_EEvlllT_PT11_llSA_llS8_PT12_llPT13_lli: ; @_ZN12_GLOBAL__N_127rocblas_gemm_batched_kernelI19rocblas_complex_numIfELi16ELi16ELi64ELi64ELi4ELi64ELi4ELi4ELi64ELc84ELc78EKPKS2_S5_KPS2_EEvlllT_PT11_llSA_llS8_PT12_llPT13_lli
; %bb.0:
	s_clause 0x1
	s_load_dwordx8 s[36:43], s[4:5], 0x58
	s_load_dwordx16 s[12:27], s[4:5], 0x10
	s_mov_b32 s9, 0
	s_clause 0x1
	s_load_dwordx4 s[28:31], s[4:5], 0x78
	s_load_dwordx2 s[2:3], s[4:5], 0x50
	s_lshl_b64 s[0:1], s[8:9], 3
	s_mov_b32 s10, s7
	v_mov_b32_e32 v38, 0
	v_mov_b32_e32 v39, 0
	;; [unrolled: 1-line block ×13, first 2 shown]
	s_waitcnt lgkmcnt(0)
	s_add_u32 s4, s36, s0
	s_addc_u32 s5, s37, s1
	s_add_u32 s8, s42, s0
	s_addc_u32 s9, s43, s1
	s_load_dwordx2 s[4:5], s[4:5], 0x0
	s_load_dwordx2 s[8:9], s[8:9], 0x0
	v_cmp_lt_i64_e64 s33, s[12:13], 1
	v_mov_b32_e32 v27, 0
	v_mov_b32_e32 v24, 0
	;; [unrolled: 1-line block ×19, first 2 shown]
	s_ashr_i32 s7, s6, 31
	s_ashr_i32 s11, s10, 31
	s_lshl_b64 s[6:7], s[6:7], 6
	s_and_b32 vcc_lo, exec_lo, s33
	s_lshl_b64 s[10:11], s[10:11], 6
	s_cbranch_vccnz .LBB224_3
; %bb.1:
	v_lshl_add_u32 v2, v1, 4, v0
	s_add_u32 s16, s16, s0
	s_addc_u32 s17, s17, s1
	s_add_u32 s0, s22, s0
	v_and_b32_e32 v3, 3, v0
	v_and_b32_e32 v6, 63, v2
	v_lshrrev_b32_e32 v7, 2, v2
	v_lshrrev_b32_e32 v10, 6, v2
	s_load_dwordx2 s[16:17], s[16:17], 0x0
	v_lshlrev_b32_e32 v11, 3, v3
	v_add_co_u32 v4, s22, s6, v6
	v_add_co_ci_u32_e64 v5, null, s7, 0, s22
	v_add_co_u32 v8, s22, v7, s10
	v_add_co_ci_u32_e64 v9, null, 0, s11, s22
	v_mul_lo_u32 v12, s19, v4
	v_mul_lo_u32 v13, s18, v5
	v_mad_u64_u32 v[2:3], null, s18, v4, 0
	v_mul_lo_u32 v14, s25, v8
	v_mul_lo_u32 v9, s24, v9
	v_mad_u64_u32 v[4:5], null, s24, v8, 0
	s_addc_u32 s1, s23, s1
	v_lshlrev_b32_e32 v6, 3, v6
	v_add3_u32 v3, v3, v13, v12
	s_load_dwordx2 s[0:1], s[0:1], 0x0
	s_lshl_b64 s[18:19], s[20:21], 3
	v_lshl_or_b32 v7, v7, 5, v11
	v_add3_u32 v5, v5, v9, v14
	v_lshlrev_b64 v[2:3], 3, v[2:3]
	v_lshl_or_b32 v40, v10, 9, v6
	v_lshlrev_b32_e32 v6, 3, v10
	v_mov_b32_e32 v8, 0
	v_lshlrev_b64 v[4:5], 3, v[4:5]
	v_add_nc_u32_e32 v41, 0x800, v7
	v_add_co_u32 v2, vcc_lo, v2, s18
	v_add_co_ci_u32_e64 v3, null, s19, v3, vcc_lo
	s_lshl_b64 s[18:19], s[26:27], 3
	v_lshlrev_b32_e32 v42, 3, v0
	v_add_co_u32 v4, vcc_lo, v4, s18
	v_add_co_ci_u32_e64 v5, null, s19, v5, vcc_lo
	v_add_co_u32 v2, vcc_lo, v2, v6
	v_add_co_ci_u32_e64 v3, null, 0, v3, vcc_lo
	;; [unrolled: 2-line block ×3, first 2 shown]
	s_waitcnt lgkmcnt(0)
	v_add_co_u32 v2, vcc_lo, s16, v2
	v_add_co_ci_u32_e64 v3, null, s17, v3, vcc_lo
	v_add_co_u32 v4, vcc_lo, s0, v4
	v_lshl_add_u32 v43, v1, 5, 0x800
	v_add_co_ci_u32_e64 v5, null, s1, v5, vcc_lo
	v_mov_b32_e32 v9, 0
	v_mov_b32_e32 v11, 0
	;; [unrolled: 1-line block ×31, first 2 shown]
	s_mov_b64 s[16:17], 0
.LBB224_2:                              ; =>This Inner Loop Header: Depth=1
	flat_load_dwordx2 v[6:7], v[2:3]
	s_add_u32 s16, s16, 4
	s_addc_u32 s17, s17, 0
	v_add_co_u32 v2, vcc_lo, v2, 32
	v_cmp_lt_i64_e64 s0, s[16:17], s[12:13]
	v_add_co_ci_u32_e64 v3, null, 0, v3, vcc_lo
	s_and_b32 vcc_lo, exec_lo, s0
	s_waitcnt vmcnt(0) lgkmcnt(0)
	ds_write_b64 v40, v[6:7]
	flat_load_dwordx2 v[6:7], v[4:5]
	v_add_co_u32 v4, s0, v4, 32
	v_add_co_ci_u32_e64 v5, null, 0, v5, s0
	s_waitcnt vmcnt(0) lgkmcnt(0)
	ds_write_b64 v41, v[6:7]
	s_waitcnt lgkmcnt(0)
	s_barrier
	buffer_gl0_inv
	ds_read_b128 v[44:47], v43
	ds_read2_b64 v[48:51], v42 offset1:16
	ds_read_b128 v[52:55], v43 offset:512
	ds_read_b128 v[56:59], v43 offset:16
	;; [unrolled: 1-line block ×7, first 2 shown]
	ds_read2_b64 v[80:83], v42 offset0:32 offset1:48
	ds_read2_b64 v[84:87], v42 offset0:64 offset1:80
	;; [unrolled: 1-line block ×7, first 2 shown]
	s_waitcnt lgkmcnt(0)
	s_barrier
	buffer_gl0_inv
	v_mul_f32_e32 v6, v45, v49
	v_mul_f32_e32 v7, v44, v49
	;; [unrolled: 1-line block ×64, first 2 shown]
	v_fma_f32 v6, v44, v48, -v6
	v_fmac_f32_e32 v7, v45, v48
	v_fma_f32 v108, v44, v50, -v108
	v_fmac_f32_e32 v109, v45, v50
	;; [unrolled: 2-line block ×16, first 2 shown]
	v_mul_f32_e32 v162, v57, v93
	v_mul_f32_e32 v163, v56, v93
	;; [unrolled: 1-line block ×28, first 2 shown]
	v_fma_f32 v124, v46, v84, -v134
	v_fmac_f32_e32 v135, v47, v84
	v_fma_f32 v126, v46, v86, -v136
	v_fmac_f32_e32 v137, v47, v86
	v_fma_f32 v128, v46, v88, -v138
	v_fmac_f32_e32 v139, v47, v88
	v_fma_f32 v46, v46, v90, -v140
	v_fmac_f32_e32 v141, v47, v90
	v_mul_f32_e32 v47, v77, v97
	v_mul_f32_e32 v97, v76, v97
	;; [unrolled: 1-line block ×4, first 2 shown]
	v_fma_f32 v132, v54, v84, -v142
	v_fmac_f32_e32 v143, v55, v84
	v_fma_f32 v133, v54, v86, -v144
	v_fmac_f32_e32 v145, v55, v86
	;; [unrolled: 2-line block ×4, first 2 shown]
	v_mul_f32_e32 v136, v58, v101
	v_mul_f32_e32 v140, v58, v103
	v_fma_f32 v142, v66, v84, -v150
	v_fmac_f32_e32 v151, v67, v84
	v_fma_f32 v144, v66, v86, -v152
	v_fmac_f32_e32 v153, v67, v86
	v_fma_f32 v146, v66, v88, -v154
	v_fmac_f32_e32 v155, v67, v88
	v_fma_f32 v66, v66, v90, -v156
	v_fmac_f32_e32 v157, v67, v90
	v_mul_f32_e32 v148, v58, v105
	v_mul_f32_e32 v152, v58, v107
	v_fma_f32 v154, v74, v84, -v158
	v_fmac_f32_e32 v85, v75, v84
	v_fma_f32 v84, v74, v86, -v159
	v_fmac_f32_e32 v87, v75, v86
	;; [unrolled: 2-line block ×4, first 2 shown]
	v_add_f32_e32 v6, v38, v6
	v_add_f32_e32 v7, v39, v7
	;; [unrolled: 1-line block ×32, first 2 shown]
	v_mul_f32_e32 v55, v59, v101
	v_mul_f32_e32 v138, v59, v103
	;; [unrolled: 1-line block ×16, first 2 shown]
	v_fma_f32 v162, v56, v92, -v162
	v_fmac_f32_e32 v163, v57, v92
	v_fma_f32 v164, v56, v94, -v164
	v_fmac_f32_e32 v165, v57, v94
	;; [unrolled: 2-line block ×8, first 2 shown]
	v_mul_f32_e32 v94, v71, v105
	v_mul_f32_e32 v175, v70, v105
	;; [unrolled: 1-line block ×4, first 2 shown]
	v_fma_f32 v176, v56, v96, -v176
	v_fmac_f32_e32 v177, v57, v96
	v_fma_f32 v56, v56, v98, -v178
	v_fmac_f32_e32 v179, v57, v98
	;; [unrolled: 2-line block ×8, first 2 shown]
	v_mul_f32_e32 v69, v79, v101
	v_mul_f32_e32 v73, v78, v101
	;; [unrolled: 1-line block ×4, first 2 shown]
	v_fmac_f32_e32 v136, v59, v100
	v_fmac_f32_e32 v140, v59, v102
	;; [unrolled: 1-line block ×4, first 2 shown]
	v_mul_f32_e32 v59, v79, v105
	v_mul_f32_e32 v96, v78, v105
	;; [unrolled: 1-line block ×4, first 2 shown]
	v_add_f32_e32 v6, v6, v124
	v_add_f32_e32 v7, v7, v135
	v_add_f32_e32 v36, v36, v126
	v_add_f32_e32 v37, v37, v137
	v_add_f32_e32 v34, v34, v128
	v_add_f32_e32 v35, v35, v139
	v_add_f32_e32 v32, v32, v46
	v_add_f32_e32 v33, v33, v141
	v_add_f32_e32 v30, v30, v132
	v_add_f32_e32 v31, v31, v143
	v_add_f32_e32 v28, v28, v133
	v_add_f32_e32 v29, v29, v145
	v_add_f32_e32 v26, v26, v134
	v_add_f32_e32 v27, v27, v147
	v_add_f32_e32 v24, v24, v54
	v_add_f32_e32 v25, v25, v149
	v_add_f32_e32 v22, v22, v142
	v_add_f32_e32 v23, v23, v151
	v_add_f32_e32 v20, v20, v144
	v_add_f32_e32 v21, v21, v153
	v_add_f32_e32 v18, v18, v146
	v_add_f32_e32 v19, v19, v155
	v_add_f32_e32 v16, v16, v66
	v_add_f32_e32 v17, v17, v157
	v_add_f32_e32 v14, v14, v154
	v_add_f32_e32 v15, v15, v85
	v_add_f32_e32 v12, v12, v84
	v_add_f32_e32 v13, v13, v87
	v_add_f32_e32 v10, v10, v160
	v_add_f32_e32 v11, v11, v89
	v_add_f32_e32 v9, v9, v74
	v_add_f32_e32 v8, v8, v91
	v_fma_f32 v55, v58, v100, -v55
	v_fma_f32 v82, v58, v102, -v138
	;; [unrolled: 1-line block ×5, first 2 shown]
	v_fmac_f32_e32 v156, v63, v100
	v_fma_f32 v103, v62, v102, -v158
	v_fmac_f32_e32 v159, v63, v102
	v_fma_f32 v75, v62, v104, -v75
	;; [unrolled: 2-line block ×11, first 2 shown]
	v_fmac_f32_e32 v101, v79, v106
	v_add_f32_e32 v6, v6, v162
	v_add_f32_e32 v7, v7, v163
	;; [unrolled: 1-line block ×64, first 2 shown]
	s_cbranch_vccnz .LBB224_2
.LBB224_3:
	s_lshl_b64 s[0:1], s[30:31], 3
	s_waitcnt lgkmcnt(0)
	s_add_u32 s8, s8, s0
	s_addc_u32 s9, s9, s1
	v_add_co_u32 v4, s1, s10, v1
	v_add_co_ci_u32_e64 v5, null, s11, 0, s1
	v_add_co_u32 v0, s1, s6, v0
	s_or_b32 s0, s2, s3
	v_add_co_ci_u32_e64 v1, null, s7, 0, s1
	s_bitset0_b32 s0, 31
	s_mov_b32 s6, 0
	s_cmp_lg_u32 s0, 0
	s_cbranch_scc1 .LBB224_5
; %bb.4:
	v_mul_lo_u32 v6, v5, s28
	v_mul_lo_u32 v40, v4, s29
	v_mad_u64_u32 v[2:3], null, v4, s28, 0
	v_mul_f32_e32 v42, s15, v39
	v_mul_f32_e32 v7, s14, v39
	;; [unrolled: 1-line block ×6, first 2 shown]
	v_add3_u32 v3, v3, v40, v6
	v_lshlrev_b64 v[40:41], 3, v[0:1]
	v_mul_f32_e32 v48, s15, v33
	v_mul_f32_e32 v47, s14, v33
	v_fma_f32 v6, v38, s14, -v42
	v_lshlrev_b64 v[2:3], 3, v[2:3]
	v_fmac_f32_e32 v7, s15, v38
	v_fma_f32 v42, v36, s14, -v44
	v_fmac_f32_e32 v43, s15, v36
	s_lshl_b64 s[0:1], s[28:29], 7
	v_fma_f32 v44, v34, s14, -v46
	v_add_co_u32 v49, vcc_lo, s8, v2
	v_add_co_ci_u32_e64 v50, null, s9, v3, vcc_lo
	v_fmac_f32_e32 v45, s15, v34
	v_add_co_u32 v2, vcc_lo, v49, v40
	v_add_co_ci_u32_e64 v3, null, v50, v41, vcc_lo
	v_fma_f32 v46, v32, s14, -v48
	v_fmac_f32_e32 v47, s15, v32
	v_add_co_u32 v48, vcc_lo, v49, s0
	flat_store_dwordx2 v[2:3], v[6:7]
	flat_store_dwordx2 v[2:3], v[42:43] offset:128
	flat_store_dwordx2 v[2:3], v[44:45] offset:256
	;; [unrolled: 1-line block ×3, first 2 shown]
	v_mul_f32_e32 v2, s15, v31
	v_mul_f32_e32 v3, s14, v31
	v_add_co_ci_u32_e64 v49, null, s1, v50, vcc_lo
	v_mul_f32_e32 v6, s15, v29
	v_mul_f32_e32 v7, s14, v29
	;; [unrolled: 1-line block ×4, first 2 shown]
	v_add_co_u32 v44, vcc_lo, v48, v40
	v_fma_f32 v2, v30, s14, -v2
	v_fmac_f32_e32 v3, s15, v30
	v_add_co_ci_u32_e64 v45, null, v49, v41, vcc_lo
	v_fma_f32 v6, v28, s14, -v6
	v_fmac_f32_e32 v7, s15, v28
	v_fma_f32 v42, v26, s14, -v42
	v_fmac_f32_e32 v43, s15, v26
	v_add_co_u32 v52, vcc_lo, v48, s0
	v_mul_f32_e32 v46, s15, v25
	v_mul_f32_e32 v47, s14, v25
	flat_store_dwordx2 v[44:45], v[2:3]
	flat_store_dwordx2 v[44:45], v[6:7] offset:128
	flat_store_dwordx2 v[44:45], v[42:43] offset:256
	v_mul_f32_e32 v2, s15, v23
	v_mul_f32_e32 v3, s14, v23
	v_add_co_ci_u32_e64 v53, null, s1, v49, vcc_lo
	v_mul_f32_e32 v42, s15, v21
	v_mul_f32_e32 v43, s14, v21
	;; [unrolled: 1-line block ×4, first 2 shown]
	v_add_co_u32 v6, vcc_lo, v52, v40
	v_mul_f32_e32 v50, s15, v17
	v_mul_f32_e32 v51, s14, v17
	v_fma_f32 v46, v24, s14, -v46
	v_fmac_f32_e32 v47, s15, v24
	v_fma_f32 v2, v22, s14, -v2
	v_fmac_f32_e32 v3, s15, v22
	v_add_co_ci_u32_e64 v7, null, v53, v41, vcc_lo
	v_fma_f32 v42, v20, s14, -v42
	v_fmac_f32_e32 v43, s15, v20
	v_fma_f32 v48, v18, s14, -v48
	v_fmac_f32_e32 v49, s15, v18
	;; [unrolled: 2-line block ×3, first 2 shown]
	flat_store_dwordx2 v[44:45], v[46:47] offset:384
	flat_store_dwordx2 v[6:7], v[2:3]
	flat_store_dwordx2 v[6:7], v[42:43] offset:128
	flat_store_dwordx2 v[6:7], v[48:49] offset:256
	;; [unrolled: 1-line block ×3, first 2 shown]
	v_mul_f32_e32 v2, s15, v15
	v_add_co_u32 v3, vcc_lo, v52, s0
	v_add_co_ci_u32_e64 v6, null, s1, v53, vcc_lo
	v_fma_f32 v42, v14, s14, -v2
	v_mul_f32_e32 v2, s15, v13
	v_add_co_u32 v40, vcc_lo, v3, v40
	v_mul_f32_e32 v43, s14, v15
	v_add_co_ci_u32_e64 v41, null, v6, v41, vcc_lo
	v_fma_f32 v44, v12, s14, -v2
	v_mul_f32_e32 v2, s15, v11
	v_mul_f32_e32 v3, s15, v8
	;; [unrolled: 1-line block ×5, first 2 shown]
	v_fma_f32 v46, v10, s14, -v2
	v_add_co_u32 v2, vcc_lo, 0x180, v40
	v_fmac_f32_e32 v43, s15, v14
	v_fma_f32 v7, v9, s14, -v3
	v_fmac_f32_e32 v6, s15, v9
	v_add_co_ci_u32_e64 v3, null, 0, v41, vcc_lo
	v_fmac_f32_e32 v45, s15, v12
	v_fmac_f32_e32 v47, s15, v10
	flat_store_dwordx2 v[40:41], v[42:43]
	flat_store_dwordx2 v[40:41], v[44:45] offset:128
	flat_store_dwordx2 v[40:41], v[46:47] offset:256
	flat_store_dword v[40:41], v7 offset:384
	s_andn2_b32 vcc_lo, exec_lo, s6
	s_cbranch_vccz .LBB224_6
	s_branch .LBB224_7
.LBB224_5:
                                        ; implicit-def: $vgpr6
                                        ; implicit-def: $vgpr2_vgpr3
.LBB224_6:
	v_mul_lo_u32 v6, v5, s38
	v_mul_lo_u32 v7, v4, s39
	v_mad_u64_u32 v[2:3], null, v4, s38, 0
	s_lshl_b64 s[0:1], s[40:41], 3
	v_lshlrev_b64 v[0:1], 3, v[0:1]
	s_add_u32 s0, s4, s0
	s_addc_u32 s1, s5, s1
	v_mul_lo_u32 v42, v5, s28
	v_mul_lo_u32 v43, v4, s29
	v_add3_u32 v3, v3, v7, v6
	v_mad_u64_u32 v[4:5], null, v4, s28, 0
	s_lshl_b64 s[4:5], s[28:29], 7
	v_lshlrev_b64 v[2:3], 3, v[2:3]
	v_add3_u32 v5, v5, v43, v42
	v_mul_f32_e32 v42, s15, v39
	v_add_co_u32 v40, vcc_lo, s0, v2
	v_add_co_ci_u32_e64 v41, null, s1, v3, vcc_lo
	v_mul_f32_e32 v39, s14, v39
	v_add_co_u32 v2, vcc_lo, v40, v0
	v_add_co_ci_u32_e64 v3, null, v41, v1, vcc_lo
	v_lshlrev_b64 v[4:5], 3, v[4:5]
	v_fma_f32 v42, v38, s14, -v42
	v_fmac_f32_e32 v39, s15, v38
	flat_load_dwordx2 v[6:7], v[2:3]
	s_lshl_b64 s[0:1], s[38:39], 7
	v_add_co_u32 v43, vcc_lo, s8, v4
	v_add_co_ci_u32_e64 v44, null, s9, v5, vcc_lo
	v_add_co_u32 v4, vcc_lo, v43, v0
	v_add_co_ci_u32_e64 v5, null, v44, v1, vcc_lo
	s_waitcnt vmcnt(0) lgkmcnt(0)
	v_mul_f32_e32 v38, s3, v7
	v_mul_f32_e32 v7, s2, v7
	v_fma_f32 v38, v6, s2, -v38
	v_fmac_f32_e32 v7, s3, v6
	v_add_f32_e32 v6, v42, v38
	v_add_f32_e32 v7, v39, v7
	v_mul_f32_e32 v38, s15, v37
	v_mul_f32_e32 v37, s14, v37
	flat_store_dwordx2 v[4:5], v[6:7]
	flat_load_dwordx2 v[6:7], v[2:3] offset:128
	v_fma_f32 v38, v36, s14, -v38
	v_fmac_f32_e32 v37, s15, v36
	s_waitcnt vmcnt(0) lgkmcnt(0)
	v_mul_f32_e32 v39, s3, v7
	v_mul_f32_e32 v7, s2, v7
	v_fma_f32 v36, v6, s2, -v39
	v_fmac_f32_e32 v7, s3, v6
	v_add_f32_e32 v6, v38, v36
	v_add_f32_e32 v7, v37, v7
	v_mul_f32_e32 v36, s15, v35
	v_mul_f32_e32 v35, s14, v35
	flat_store_dwordx2 v[4:5], v[6:7] offset:128
	flat_load_dwordx2 v[6:7], v[2:3] offset:256
	v_fma_f32 v36, v34, s14, -v36
	v_fmac_f32_e32 v35, s15, v34
	s_waitcnt vmcnt(0) lgkmcnt(0)
	v_mul_f32_e32 v37, s3, v7
	v_mul_f32_e32 v7, s2, v7
	v_fma_f32 v34, v6, s2, -v37
	v_fmac_f32_e32 v7, s3, v6
	v_add_f32_e32 v6, v36, v34
	v_add_f32_e32 v7, v35, v7
	flat_store_dwordx2 v[4:5], v[6:7] offset:256
	flat_load_dwordx2 v[2:3], v[2:3] offset:384
	v_mul_f32_e32 v6, s15, v33
	v_mul_f32_e32 v7, s14, v33
	v_fma_f32 v6, v32, s14, -v6
	v_fmac_f32_e32 v7, s15, v32
	s_waitcnt vmcnt(0) lgkmcnt(0)
	v_mul_f32_e32 v33, s3, v3
	v_mul_f32_e32 v3, s2, v3
	v_fma_f32 v32, v2, s2, -v33
	v_add_co_u32 v33, vcc_lo, v40, s0
	v_fmac_f32_e32 v3, s3, v2
	v_add_co_ci_u32_e64 v34, null, s1, v41, vcc_lo
	v_add_f32_e32 v2, v6, v32
	v_add_co_u32 v6, vcc_lo, v33, v0
	v_add_f32_e32 v3, v7, v3
	v_add_co_ci_u32_e64 v7, null, v34, v1, vcc_lo
	v_add_co_u32 v32, vcc_lo, v43, s4
	flat_store_dwordx2 v[4:5], v[2:3] offset:384
	flat_load_dwordx2 v[2:3], v[6:7]
	v_mul_f32_e32 v4, s15, v31
	v_mul_f32_e32 v5, s14, v31
	v_add_co_ci_u32_e64 v35, null, s5, v44, vcc_lo
	v_fma_f32 v4, v30, s14, -v4
	v_fmac_f32_e32 v5, s15, v30
	s_waitcnt vmcnt(0) lgkmcnt(0)
	v_mul_f32_e32 v30, s3, v3
	v_mul_f32_e32 v31, s2, v3
	v_fma_f32 v30, v2, s2, -v30
	v_fmac_f32_e32 v31, s3, v2
	v_add_co_u32 v2, vcc_lo, v32, v0
	v_add_co_ci_u32_e64 v3, null, v35, v1, vcc_lo
	v_add_f32_e32 v4, v4, v30
	v_add_f32_e32 v5, v5, v31
	v_mul_f32_e32 v30, s15, v29
	v_mul_f32_e32 v29, s14, v29
	flat_store_dwordx2 v[2:3], v[4:5]
	flat_load_dwordx2 v[4:5], v[6:7] offset:128
	v_fma_f32 v30, v28, s14, -v30
	v_fmac_f32_e32 v29, s15, v28
	s_waitcnt vmcnt(0) lgkmcnt(0)
	v_mul_f32_e32 v31, s3, v5
	v_mul_f32_e32 v5, s2, v5
	v_fma_f32 v28, v4, s2, -v31
	v_fmac_f32_e32 v5, s3, v4
	v_add_f32_e32 v4, v30, v28
	v_add_f32_e32 v5, v29, v5
	v_mul_f32_e32 v28, s15, v27
	v_mul_f32_e32 v27, s14, v27
	flat_store_dwordx2 v[2:3], v[4:5] offset:128
	flat_load_dwordx2 v[4:5], v[6:7] offset:256
	v_fma_f32 v28, v26, s14, -v28
	v_fmac_f32_e32 v27, s15, v26
	s_waitcnt vmcnt(0) lgkmcnt(0)
	v_mul_f32_e32 v29, s3, v5
	v_mul_f32_e32 v5, s2, v5
	v_fma_f32 v26, v4, s2, -v29
	v_fmac_f32_e32 v5, s3, v4
	v_add_f32_e32 v4, v28, v26
	v_add_f32_e32 v5, v27, v5
	flat_store_dwordx2 v[2:3], v[4:5] offset:256
	flat_load_dwordx2 v[4:5], v[6:7] offset:384
	v_mul_f32_e32 v6, s15, v25
	v_mul_f32_e32 v7, s14, v25
	v_fma_f32 v6, v24, s14, -v6
	v_fmac_f32_e32 v7, s15, v24
	s_waitcnt vmcnt(0) lgkmcnt(0)
	v_mul_f32_e32 v25, s3, v5
	v_mul_f32_e32 v5, s2, v5
	v_fma_f32 v24, v4, s2, -v25
	v_add_co_u32 v25, vcc_lo, v33, s0
	v_fmac_f32_e32 v5, s3, v4
	v_add_co_ci_u32_e64 v26, null, s1, v34, vcc_lo
	v_add_f32_e32 v4, v6, v24
	v_add_co_u32 v6, vcc_lo, v25, v0
	v_add_f32_e32 v5, v7, v5
	v_add_co_ci_u32_e64 v7, null, v26, v1, vcc_lo
	v_add_co_u32 v24, vcc_lo, v32, s4
	flat_store_dwordx2 v[2:3], v[4:5] offset:384
	flat_load_dwordx2 v[2:3], v[6:7]
	v_mul_f32_e32 v4, s15, v23
	v_mul_f32_e32 v5, s14, v23
	v_add_co_ci_u32_e64 v27, null, s5, v35, vcc_lo
	v_fma_f32 v4, v22, s14, -v4
	v_fmac_f32_e32 v5, s15, v22
	s_waitcnt vmcnt(0) lgkmcnt(0)
	v_mul_f32_e32 v22, s3, v3
	v_mul_f32_e32 v23, s2, v3
	v_fma_f32 v22, v2, s2, -v22
	v_fmac_f32_e32 v23, s3, v2
	v_add_co_u32 v2, vcc_lo, v24, v0
	v_add_co_ci_u32_e64 v3, null, v27, v1, vcc_lo
	v_add_f32_e32 v4, v4, v22
	v_add_f32_e32 v5, v5, v23
	v_mul_f32_e32 v22, s15, v21
	v_mul_f32_e32 v21, s14, v21
	flat_store_dwordx2 v[2:3], v[4:5]
	flat_load_dwordx2 v[4:5], v[6:7] offset:128
	v_fma_f32 v22, v20, s14, -v22
	v_fmac_f32_e32 v21, s15, v20
	s_waitcnt vmcnt(0) lgkmcnt(0)
	v_mul_f32_e32 v23, s3, v5
	v_mul_f32_e32 v5, s2, v5
	v_fma_f32 v20, v4, s2, -v23
	v_fmac_f32_e32 v5, s3, v4
	v_add_f32_e32 v4, v22, v20
	v_add_f32_e32 v5, v21, v5
	v_mul_f32_e32 v20, s15, v19
	v_mul_f32_e32 v19, s14, v19
	flat_store_dwordx2 v[2:3], v[4:5] offset:128
	flat_load_dwordx2 v[4:5], v[6:7] offset:256
	v_fma_f32 v20, v18, s14, -v20
	v_fmac_f32_e32 v19, s15, v18
	s_waitcnt vmcnt(0) lgkmcnt(0)
	v_mul_f32_e32 v21, s3, v5
	v_mul_f32_e32 v5, s2, v5
	v_fma_f32 v18, v4, s2, -v21
	v_fmac_f32_e32 v5, s3, v4
	v_add_f32_e32 v4, v20, v18
	v_add_f32_e32 v5, v19, v5
	flat_store_dwordx2 v[2:3], v[4:5] offset:256
	flat_load_dwordx2 v[4:5], v[6:7] offset:384
	v_mul_f32_e32 v6, s15, v17
	v_mul_f32_e32 v7, s14, v17
	v_fma_f32 v6, v16, s14, -v6
	v_fmac_f32_e32 v7, s15, v16
	s_waitcnt vmcnt(0) lgkmcnt(0)
	v_mul_f32_e32 v17, s3, v5
	v_mul_f32_e32 v5, s2, v5
	v_fma_f32 v16, v4, s2, -v17
	v_add_co_u32 v17, vcc_lo, v25, s0
	v_fmac_f32_e32 v5, s3, v4
	v_add_co_ci_u32_e64 v18, null, s1, v26, vcc_lo
	v_add_f32_e32 v4, v6, v16
	v_add_co_u32 v6, vcc_lo, v17, v0
	v_add_f32_e32 v5, v7, v5
	v_add_co_ci_u32_e64 v7, null, v18, v1, vcc_lo
	flat_store_dwordx2 v[2:3], v[4:5] offset:384
	flat_load_dwordx2 v[2:3], v[6:7]
	v_mul_f32_e32 v4, s15, v15
	v_mul_f32_e32 v5, s14, v15
	v_add_co_u32 v15, vcc_lo, v24, s4
	v_add_co_ci_u32_e64 v16, null, s5, v27, vcc_lo
	v_fma_f32 v4, v14, s14, -v4
	v_fmac_f32_e32 v5, s15, v14
	v_add_co_u32 v0, vcc_lo, v15, v0
	v_add_co_ci_u32_e64 v1, null, v16, v1, vcc_lo
	s_waitcnt vmcnt(0) lgkmcnt(0)
	v_mul_f32_e32 v14, s3, v3
	v_mul_f32_e32 v3, s2, v3
	v_fma_f32 v14, v2, s2, -v14
	v_fmac_f32_e32 v3, s3, v2
	v_add_f32_e32 v2, v4, v14
	v_add_f32_e32 v3, v5, v3
	v_mul_f32_e32 v4, s15, v13
	v_mul_f32_e32 v5, s14, v13
	flat_store_dwordx2 v[0:1], v[2:3]
	flat_load_dwordx2 v[2:3], v[6:7] offset:128
	v_fma_f32 v4, v12, s14, -v4
	v_fmac_f32_e32 v5, s15, v12
	s_waitcnt vmcnt(0) lgkmcnt(0)
	v_mul_f32_e32 v13, s3, v3
	v_mul_f32_e32 v3, s2, v3
	v_fma_f32 v12, v2, s2, -v13
	v_fmac_f32_e32 v3, s3, v2
	v_add_f32_e32 v2, v4, v12
	v_add_f32_e32 v3, v5, v3
	v_mul_f32_e32 v4, s15, v11
	v_mul_f32_e32 v5, s14, v11
	flat_store_dwordx2 v[0:1], v[2:3] offset:128
	flat_load_dwordx2 v[2:3], v[6:7] offset:256
	v_fma_f32 v4, v10, s14, -v4
	v_fmac_f32_e32 v5, s15, v10
	s_waitcnt vmcnt(0) lgkmcnt(0)
	v_mul_f32_e32 v11, s3, v3
	v_mul_f32_e32 v3, s2, v3
	v_fma_f32 v10, v2, s2, -v11
	v_fmac_f32_e32 v3, s3, v2
	v_add_f32_e32 v2, v4, v10
	v_add_f32_e32 v3, v5, v3
	v_mul_f32_e32 v4, s15, v8
	v_mul_f32_e32 v5, s14, v8
	flat_store_dwordx2 v[0:1], v[2:3] offset:256
	flat_load_dwordx2 v[2:3], v[6:7] offset:384
	v_fma_f32 v4, v9, s14, -v4
	v_fmac_f32_e32 v5, s15, v9
	s_waitcnt vmcnt(0) lgkmcnt(0)
	v_mul_f32_e32 v6, s3, v3
	v_mul_f32_e32 v3, s2, v3
	v_fma_f32 v6, v2, s2, -v6
	v_fmac_f32_e32 v3, s3, v2
	v_add_co_u32 v2, vcc_lo, 0x180, v0
	v_add_f32_e32 v4, v4, v6
	v_add_f32_e32 v6, v5, v3
	v_add_co_ci_u32_e64 v3, null, 0, v1, vcc_lo
	flat_store_dword v[0:1], v4 offset:384
.LBB224_7:
	flat_store_dword v[2:3], v6 offset:4
	s_endpgm
	.section	.rodata,"a",@progbits
	.p2align	6, 0x0
	.amdhsa_kernel _ZN12_GLOBAL__N_127rocblas_gemm_batched_kernelI19rocblas_complex_numIfELi16ELi16ELi64ELi64ELi4ELi64ELi4ELi4ELi64ELc84ELc78EKPKS2_S5_KPS2_EEvlllT_PT11_llSA_llS8_PT12_llPT13_lli
		.amdhsa_group_segment_fixed_size 4096
		.amdhsa_private_segment_fixed_size 0
		.amdhsa_kernarg_size 140
		.amdhsa_user_sgpr_count 6
		.amdhsa_user_sgpr_private_segment_buffer 1
		.amdhsa_user_sgpr_dispatch_ptr 0
		.amdhsa_user_sgpr_queue_ptr 0
		.amdhsa_user_sgpr_kernarg_segment_ptr 1
		.amdhsa_user_sgpr_dispatch_id 0
		.amdhsa_user_sgpr_flat_scratch_init 0
		.amdhsa_user_sgpr_private_segment_size 0
		.amdhsa_wavefront_size32 1
		.amdhsa_uses_dynamic_stack 0
		.amdhsa_system_sgpr_private_segment_wavefront_offset 0
		.amdhsa_system_sgpr_workgroup_id_x 1
		.amdhsa_system_sgpr_workgroup_id_y 1
		.amdhsa_system_sgpr_workgroup_id_z 1
		.amdhsa_system_sgpr_workgroup_info 0
		.amdhsa_system_vgpr_workitem_id 1
		.amdhsa_next_free_vgpr 188
		.amdhsa_next_free_sgpr 44
		.amdhsa_reserve_vcc 1
		.amdhsa_reserve_flat_scratch 0
		.amdhsa_float_round_mode_32 0
		.amdhsa_float_round_mode_16_64 0
		.amdhsa_float_denorm_mode_32 3
		.amdhsa_float_denorm_mode_16_64 3
		.amdhsa_dx10_clamp 1
		.amdhsa_ieee_mode 1
		.amdhsa_fp16_overflow 0
		.amdhsa_workgroup_processor_mode 1
		.amdhsa_memory_ordered 1
		.amdhsa_forward_progress 1
		.amdhsa_shared_vgpr_count 0
		.amdhsa_exception_fp_ieee_invalid_op 0
		.amdhsa_exception_fp_denorm_src 0
		.amdhsa_exception_fp_ieee_div_zero 0
		.amdhsa_exception_fp_ieee_overflow 0
		.amdhsa_exception_fp_ieee_underflow 0
		.amdhsa_exception_fp_ieee_inexact 0
		.amdhsa_exception_int_div_zero 0
	.end_amdhsa_kernel
	.section	.text._ZN12_GLOBAL__N_127rocblas_gemm_batched_kernelI19rocblas_complex_numIfELi16ELi16ELi64ELi64ELi4ELi64ELi4ELi4ELi64ELc84ELc78EKPKS2_S5_KPS2_EEvlllT_PT11_llSA_llS8_PT12_llPT13_lli,"axG",@progbits,_ZN12_GLOBAL__N_127rocblas_gemm_batched_kernelI19rocblas_complex_numIfELi16ELi16ELi64ELi64ELi4ELi64ELi4ELi4ELi64ELc84ELc78EKPKS2_S5_KPS2_EEvlllT_PT11_llSA_llS8_PT12_llPT13_lli,comdat
.Lfunc_end224:
	.size	_ZN12_GLOBAL__N_127rocblas_gemm_batched_kernelI19rocblas_complex_numIfELi16ELi16ELi64ELi64ELi4ELi64ELi4ELi4ELi64ELc84ELc78EKPKS2_S5_KPS2_EEvlllT_PT11_llSA_llS8_PT12_llPT13_lli, .Lfunc_end224-_ZN12_GLOBAL__N_127rocblas_gemm_batched_kernelI19rocblas_complex_numIfELi16ELi16ELi64ELi64ELi4ELi64ELi4ELi4ELi64ELc84ELc78EKPKS2_S5_KPS2_EEvlllT_PT11_llSA_llS8_PT12_llPT13_lli
                                        ; -- End function
	.set _ZN12_GLOBAL__N_127rocblas_gemm_batched_kernelI19rocblas_complex_numIfELi16ELi16ELi64ELi64ELi4ELi64ELi4ELi4ELi64ELc84ELc78EKPKS2_S5_KPS2_EEvlllT_PT11_llSA_llS8_PT12_llPT13_lli.num_vgpr, 188
	.set _ZN12_GLOBAL__N_127rocblas_gemm_batched_kernelI19rocblas_complex_numIfELi16ELi16ELi64ELi64ELi4ELi64ELi4ELi4ELi64ELc84ELc78EKPKS2_S5_KPS2_EEvlllT_PT11_llSA_llS8_PT12_llPT13_lli.num_agpr, 0
	.set _ZN12_GLOBAL__N_127rocblas_gemm_batched_kernelI19rocblas_complex_numIfELi16ELi16ELi64ELi64ELi4ELi64ELi4ELi4ELi64ELc84ELc78EKPKS2_S5_KPS2_EEvlllT_PT11_llSA_llS8_PT12_llPT13_lli.numbered_sgpr, 44
	.set _ZN12_GLOBAL__N_127rocblas_gemm_batched_kernelI19rocblas_complex_numIfELi16ELi16ELi64ELi64ELi4ELi64ELi4ELi4ELi64ELc84ELc78EKPKS2_S5_KPS2_EEvlllT_PT11_llSA_llS8_PT12_llPT13_lli.num_named_barrier, 0
	.set _ZN12_GLOBAL__N_127rocblas_gemm_batched_kernelI19rocblas_complex_numIfELi16ELi16ELi64ELi64ELi4ELi64ELi4ELi4ELi64ELc84ELc78EKPKS2_S5_KPS2_EEvlllT_PT11_llSA_llS8_PT12_llPT13_lli.private_seg_size, 0
	.set _ZN12_GLOBAL__N_127rocblas_gemm_batched_kernelI19rocblas_complex_numIfELi16ELi16ELi64ELi64ELi4ELi64ELi4ELi4ELi64ELc84ELc78EKPKS2_S5_KPS2_EEvlllT_PT11_llSA_llS8_PT12_llPT13_lli.uses_vcc, 1
	.set _ZN12_GLOBAL__N_127rocblas_gemm_batched_kernelI19rocblas_complex_numIfELi16ELi16ELi64ELi64ELi4ELi64ELi4ELi4ELi64ELc84ELc78EKPKS2_S5_KPS2_EEvlllT_PT11_llSA_llS8_PT12_llPT13_lli.uses_flat_scratch, 0
	.set _ZN12_GLOBAL__N_127rocblas_gemm_batched_kernelI19rocblas_complex_numIfELi16ELi16ELi64ELi64ELi4ELi64ELi4ELi4ELi64ELc84ELc78EKPKS2_S5_KPS2_EEvlllT_PT11_llSA_llS8_PT12_llPT13_lli.has_dyn_sized_stack, 0
	.set _ZN12_GLOBAL__N_127rocblas_gemm_batched_kernelI19rocblas_complex_numIfELi16ELi16ELi64ELi64ELi4ELi64ELi4ELi4ELi64ELc84ELc78EKPKS2_S5_KPS2_EEvlllT_PT11_llSA_llS8_PT12_llPT13_lli.has_recursion, 0
	.set _ZN12_GLOBAL__N_127rocblas_gemm_batched_kernelI19rocblas_complex_numIfELi16ELi16ELi64ELi64ELi4ELi64ELi4ELi4ELi64ELc84ELc78EKPKS2_S5_KPS2_EEvlllT_PT11_llSA_llS8_PT12_llPT13_lli.has_indirect_call, 0
	.section	.AMDGPU.csdata,"",@progbits
; Kernel info:
; codeLenInByte = 4968
; TotalNumSgprs: 46
; NumVgprs: 188
; ScratchSize: 0
; MemoryBound: 0
; FloatMode: 240
; IeeeMode: 1
; LDSByteSize: 4096 bytes/workgroup (compile time only)
; SGPRBlocks: 0
; VGPRBlocks: 23
; NumSGPRsForWavesPerEU: 46
; NumVGPRsForWavesPerEU: 188
; Occupancy: 5
; WaveLimiterHint : 1
; COMPUTE_PGM_RSRC2:SCRATCH_EN: 0
; COMPUTE_PGM_RSRC2:USER_SGPR: 6
; COMPUTE_PGM_RSRC2:TRAP_HANDLER: 0
; COMPUTE_PGM_RSRC2:TGID_X_EN: 1
; COMPUTE_PGM_RSRC2:TGID_Y_EN: 1
; COMPUTE_PGM_RSRC2:TGID_Z_EN: 1
; COMPUTE_PGM_RSRC2:TIDIG_COMP_CNT: 1
	.section	.text._ZN12_GLOBAL__N_127rocblas_gemm_batched_kernelI19rocblas_complex_numIfELi16ELi16ELi64ELi64ELi4ELi64ELi4ELi4ELi64ELc78ELc84EKPKS2_S5_KPS2_EEvlllT_PT11_llSA_llS8_PT12_llPT13_lli,"axG",@progbits,_ZN12_GLOBAL__N_127rocblas_gemm_batched_kernelI19rocblas_complex_numIfELi16ELi16ELi64ELi64ELi4ELi64ELi4ELi4ELi64ELc78ELc84EKPKS2_S5_KPS2_EEvlllT_PT11_llSA_llS8_PT12_llPT13_lli,comdat
	.globl	_ZN12_GLOBAL__N_127rocblas_gemm_batched_kernelI19rocblas_complex_numIfELi16ELi16ELi64ELi64ELi4ELi64ELi4ELi4ELi64ELc78ELc84EKPKS2_S5_KPS2_EEvlllT_PT11_llSA_llS8_PT12_llPT13_lli ; -- Begin function _ZN12_GLOBAL__N_127rocblas_gemm_batched_kernelI19rocblas_complex_numIfELi16ELi16ELi64ELi64ELi4ELi64ELi4ELi4ELi64ELc78ELc84EKPKS2_S5_KPS2_EEvlllT_PT11_llSA_llS8_PT12_llPT13_lli
	.p2align	8
	.type	_ZN12_GLOBAL__N_127rocblas_gemm_batched_kernelI19rocblas_complex_numIfELi16ELi16ELi64ELi64ELi4ELi64ELi4ELi4ELi64ELc78ELc84EKPKS2_S5_KPS2_EEvlllT_PT11_llSA_llS8_PT12_llPT13_lli,@function
_ZN12_GLOBAL__N_127rocblas_gemm_batched_kernelI19rocblas_complex_numIfELi16ELi16ELi64ELi64ELi4ELi64ELi4ELi4ELi64ELc78ELc84EKPKS2_S5_KPS2_EEvlllT_PT11_llSA_llS8_PT12_llPT13_lli: ; @_ZN12_GLOBAL__N_127rocblas_gemm_batched_kernelI19rocblas_complex_numIfELi16ELi16ELi64ELi64ELi4ELi64ELi4ELi4ELi64ELc78ELc84EKPKS2_S5_KPS2_EEvlllT_PT11_llSA_llS8_PT12_llPT13_lli
; %bb.0:
	s_clause 0x1
	s_load_dwordx8 s[36:43], s[4:5], 0x58
	s_load_dwordx16 s[12:27], s[4:5], 0x10
	s_mov_b32 s9, 0
	s_clause 0x1
	s_load_dwordx4 s[28:31], s[4:5], 0x78
	s_load_dwordx2 s[2:3], s[4:5], 0x50
	s_lshl_b64 s[0:1], s[8:9], 3
	s_mov_b32 s10, s7
	v_mov_b32_e32 v38, 0
	v_mov_b32_e32 v39, 0
	;; [unrolled: 1-line block ×13, first 2 shown]
	s_waitcnt lgkmcnt(0)
	s_add_u32 s4, s36, s0
	s_addc_u32 s5, s37, s1
	s_add_u32 s8, s42, s0
	s_addc_u32 s9, s43, s1
	s_load_dwordx2 s[4:5], s[4:5], 0x0
	s_load_dwordx2 s[8:9], s[8:9], 0x0
	v_cmp_lt_i64_e64 s33, s[12:13], 1
	v_mov_b32_e32 v27, 0
	v_mov_b32_e32 v24, 0
	;; [unrolled: 1-line block ×19, first 2 shown]
	s_ashr_i32 s7, s6, 31
	s_ashr_i32 s11, s10, 31
	s_lshl_b64 s[6:7], s[6:7], 6
	s_and_b32 vcc_lo, exec_lo, s33
	s_lshl_b64 s[10:11], s[10:11], 6
	s_cbranch_vccnz .LBB225_3
; %bb.1:
	v_lshl_add_u32 v9, v1, 4, v0
	v_and_b32_e32 v12, 3, v0
	s_add_u32 s16, s16, s0
	s_addc_u32 s17, s17, s1
	s_add_u32 s0, s22, s0
	v_lshrrev_b32_e32 v11, 2, v9
	v_lshrrev_b32_e32 v13, 6, v9
	s_addc_u32 s1, s23, s1
	s_load_dwordx2 s[16:17], s[16:17], 0x0
	s_load_dwordx2 s[0:1], s[0:1], 0x0
	s_lshl_b64 s[20:21], s[20:21], 3
	v_add_co_u32 v2, s33, v11, s10
	v_add_co_ci_u32_e64 v3, null, 0, s11, s33
	v_mad_u64_u32 v[4:5], null, s18, v13, s[6:7]
	v_lshlrev_b32_e32 v14, 3, v12
	v_mad_u64_u32 v[6:7], null, s24, v12, v[2:3]
	v_mov_b32_e32 v8, 0
	v_lshlrev_b32_e32 v40, 3, v0
	v_lshl_add_u32 v43, v1, 5, 0x800
	v_mov_b32_e32 v2, v5
	v_and_b32_e32 v5, 63, v9
	v_mov_b32_e32 v15, 0
	v_mov_b32_e32 v3, v7
	;; [unrolled: 1-line block ×3, first 2 shown]
	s_waitcnt lgkmcnt(0)
	s_add_u32 s16, s16, s20
	v_lshlrev_b32_e32 v7, 3, v5
	s_addc_u32 s17, s17, s21
	v_mad_u64_u32 v[9:10], null, s19, v13, v[2:3]
	v_mad_u64_u32 v[2:3], null, s25, v12, v[3:4]
	v_add_co_u32 v3, vcc_lo, v4, v5
	v_lshl_or_b32 v41, v13, 9, v7
	s_lshl_b64 s[20:21], s[26:27], 3
	v_add_co_ci_u32_e64 v4, null, 0, v9, vcc_lo
	v_mov_b32_e32 v7, v2
	v_lshl_or_b32 v10, v11, 5, v14
	v_mov_b32_e32 v9, 0
	v_lshlrev_b64 v[2:3], 3, v[3:4]
	v_mov_b32_e32 v11, 0
	v_lshlrev_b64 v[4:5], 3, v[6:7]
	v_add_nc_u32_e32 v42, 0x800, v10
	v_mov_b32_e32 v10, 0
	v_mov_b32_e32 v13, 0
	v_add_co_u32 v2, vcc_lo, s16, v2
	v_add_co_ci_u32_e64 v3, null, s17, v3, vcc_lo
	s_lshl_b64 s[16:17], s[18:19], 5
	s_add_u32 s0, s0, s20
	s_addc_u32 s1, s1, s21
	v_add_co_u32 v4, vcc_lo, s0, v4
	v_add_co_ci_u32_e64 v5, null, s1, v5, vcc_lo
	v_mov_b32_e32 v12, 0
	v_mov_b32_e32 v14, 0
	;; [unrolled: 1-line block ×25, first 2 shown]
	s_lshl_b64 s[18:19], s[24:25], 5
	s_mov_b64 s[20:21], 0
.LBB225_2:                              ; =>This Inner Loop Header: Depth=1
	flat_load_dwordx2 v[6:7], v[2:3]
	s_add_u32 s20, s20, 4
	s_addc_u32 s21, s21, 0
	v_add_co_u32 v2, vcc_lo, v2, s16
	v_cmp_lt_i64_e64 s0, s[20:21], s[12:13]
	v_add_co_ci_u32_e64 v3, null, s17, v3, vcc_lo
	s_and_b32 vcc_lo, exec_lo, s0
	s_waitcnt vmcnt(0) lgkmcnt(0)
	ds_write_b64 v41, v[6:7]
	flat_load_dwordx2 v[6:7], v[4:5]
	v_add_co_u32 v4, s0, v4, s18
	v_add_co_ci_u32_e64 v5, null, s19, v5, s0
	s_waitcnt vmcnt(0) lgkmcnt(0)
	ds_write_b64 v42, v[6:7]
	s_waitcnt lgkmcnt(0)
	s_barrier
	buffer_gl0_inv
	ds_read_b128 v[44:47], v43
	ds_read2_b64 v[48:51], v40 offset1:16
	ds_read_b128 v[52:55], v43 offset:512
	ds_read_b128 v[56:59], v43 offset:16
	;; [unrolled: 1-line block ×7, first 2 shown]
	ds_read2_b64 v[80:83], v40 offset0:32 offset1:48
	ds_read2_b64 v[84:87], v40 offset0:64 offset1:80
	;; [unrolled: 1-line block ×7, first 2 shown]
	s_waitcnt lgkmcnt(0)
	s_barrier
	buffer_gl0_inv
	v_mul_f32_e32 v6, v45, v49
	v_mul_f32_e32 v7, v44, v49
	;; [unrolled: 1-line block ×64, first 2 shown]
	v_fma_f32 v6, v44, v48, -v6
	v_fmac_f32_e32 v7, v45, v48
	v_fma_f32 v108, v44, v50, -v108
	v_fmac_f32_e32 v109, v45, v50
	;; [unrolled: 2-line block ×16, first 2 shown]
	v_mul_f32_e32 v162, v57, v93
	v_mul_f32_e32 v163, v56, v93
	;; [unrolled: 1-line block ×28, first 2 shown]
	v_fma_f32 v124, v46, v84, -v134
	v_fmac_f32_e32 v135, v47, v84
	v_fma_f32 v126, v46, v86, -v136
	v_fmac_f32_e32 v137, v47, v86
	;; [unrolled: 2-line block ×4, first 2 shown]
	v_mul_f32_e32 v47, v77, v97
	v_mul_f32_e32 v97, v76, v97
	;; [unrolled: 1-line block ×4, first 2 shown]
	v_fma_f32 v132, v54, v84, -v142
	v_fmac_f32_e32 v143, v55, v84
	v_fma_f32 v133, v54, v86, -v144
	v_fmac_f32_e32 v145, v55, v86
	;; [unrolled: 2-line block ×4, first 2 shown]
	v_mul_f32_e32 v136, v58, v101
	v_mul_f32_e32 v140, v58, v103
	v_fma_f32 v142, v66, v84, -v150
	v_fmac_f32_e32 v151, v67, v84
	v_fma_f32 v144, v66, v86, -v152
	v_fmac_f32_e32 v153, v67, v86
	;; [unrolled: 2-line block ×4, first 2 shown]
	v_mul_f32_e32 v148, v58, v105
	v_mul_f32_e32 v152, v58, v107
	v_fma_f32 v154, v74, v84, -v158
	v_fmac_f32_e32 v85, v75, v84
	v_fma_f32 v84, v74, v86, -v159
	v_fmac_f32_e32 v87, v75, v86
	;; [unrolled: 2-line block ×4, first 2 shown]
	v_add_f32_e32 v6, v38, v6
	v_add_f32_e32 v7, v39, v7
	;; [unrolled: 1-line block ×32, first 2 shown]
	v_mul_f32_e32 v55, v59, v101
	v_mul_f32_e32 v138, v59, v103
	;; [unrolled: 1-line block ×16, first 2 shown]
	v_fma_f32 v162, v56, v92, -v162
	v_fmac_f32_e32 v163, v57, v92
	v_fma_f32 v164, v56, v94, -v164
	v_fmac_f32_e32 v165, v57, v94
	;; [unrolled: 2-line block ×8, first 2 shown]
	v_mul_f32_e32 v94, v71, v105
	v_mul_f32_e32 v175, v70, v105
	;; [unrolled: 1-line block ×4, first 2 shown]
	v_fma_f32 v176, v56, v96, -v176
	v_fmac_f32_e32 v177, v57, v96
	v_fma_f32 v56, v56, v98, -v178
	v_fmac_f32_e32 v179, v57, v98
	;; [unrolled: 2-line block ×8, first 2 shown]
	v_mul_f32_e32 v69, v79, v101
	v_mul_f32_e32 v73, v78, v101
	;; [unrolled: 1-line block ×4, first 2 shown]
	v_fmac_f32_e32 v136, v59, v100
	v_fmac_f32_e32 v140, v59, v102
	;; [unrolled: 1-line block ×4, first 2 shown]
	v_mul_f32_e32 v59, v79, v105
	v_mul_f32_e32 v96, v78, v105
	;; [unrolled: 1-line block ×4, first 2 shown]
	v_add_f32_e32 v6, v6, v124
	v_add_f32_e32 v7, v7, v135
	v_add_f32_e32 v36, v36, v126
	v_add_f32_e32 v37, v37, v137
	v_add_f32_e32 v34, v34, v128
	v_add_f32_e32 v35, v35, v139
	v_add_f32_e32 v32, v32, v46
	v_add_f32_e32 v33, v33, v141
	v_add_f32_e32 v30, v30, v132
	v_add_f32_e32 v31, v31, v143
	v_add_f32_e32 v28, v28, v133
	v_add_f32_e32 v29, v29, v145
	v_add_f32_e32 v26, v26, v134
	v_add_f32_e32 v27, v27, v147
	v_add_f32_e32 v24, v24, v54
	v_add_f32_e32 v25, v25, v149
	v_add_f32_e32 v22, v22, v142
	v_add_f32_e32 v23, v23, v151
	v_add_f32_e32 v20, v20, v144
	v_add_f32_e32 v21, v21, v153
	v_add_f32_e32 v18, v18, v146
	v_add_f32_e32 v19, v19, v155
	v_add_f32_e32 v16, v16, v66
	v_add_f32_e32 v17, v17, v157
	v_add_f32_e32 v14, v14, v154
	v_add_f32_e32 v15, v15, v85
	v_add_f32_e32 v12, v12, v84
	v_add_f32_e32 v13, v13, v87
	v_add_f32_e32 v10, v10, v160
	v_add_f32_e32 v11, v11, v89
	v_add_f32_e32 v9, v9, v74
	v_add_f32_e32 v8, v8, v91
	v_fma_f32 v55, v58, v100, -v55
	v_fma_f32 v82, v58, v102, -v138
	;; [unrolled: 1-line block ×5, first 2 shown]
	v_fmac_f32_e32 v156, v63, v100
	v_fma_f32 v103, v62, v102, -v158
	v_fmac_f32_e32 v159, v63, v102
	v_fma_f32 v75, v62, v104, -v75
	;; [unrolled: 2-line block ×11, first 2 shown]
	v_fmac_f32_e32 v101, v79, v106
	v_add_f32_e32 v6, v6, v162
	v_add_f32_e32 v7, v7, v163
	;; [unrolled: 1-line block ×64, first 2 shown]
	s_cbranch_vccnz .LBB225_2
.LBB225_3:
	s_lshl_b64 s[0:1], s[30:31], 3
	s_waitcnt lgkmcnt(0)
	s_add_u32 s8, s8, s0
	s_addc_u32 s9, s9, s1
	v_add_co_u32 v4, s1, s10, v1
	v_add_co_ci_u32_e64 v5, null, s11, 0, s1
	v_add_co_u32 v0, s1, s6, v0
	s_or_b32 s0, s2, s3
	v_add_co_ci_u32_e64 v1, null, s7, 0, s1
	s_bitset0_b32 s0, 31
	s_mov_b32 s6, 0
	s_cmp_lg_u32 s0, 0
	s_cbranch_scc1 .LBB225_5
; %bb.4:
	v_mul_lo_u32 v6, v5, s28
	v_mul_lo_u32 v40, v4, s29
	v_mad_u64_u32 v[2:3], null, v4, s28, 0
	v_mul_f32_e32 v42, s15, v39
	v_mul_f32_e32 v7, s14, v39
	;; [unrolled: 1-line block ×6, first 2 shown]
	v_add3_u32 v3, v3, v40, v6
	v_lshlrev_b64 v[40:41], 3, v[0:1]
	v_mul_f32_e32 v48, s15, v33
	v_mul_f32_e32 v47, s14, v33
	v_fma_f32 v6, v38, s14, -v42
	v_lshlrev_b64 v[2:3], 3, v[2:3]
	v_fmac_f32_e32 v7, s15, v38
	v_fma_f32 v42, v36, s14, -v44
	v_fmac_f32_e32 v43, s15, v36
	s_lshl_b64 s[0:1], s[28:29], 7
	v_fma_f32 v44, v34, s14, -v46
	v_add_co_u32 v49, vcc_lo, s8, v2
	v_add_co_ci_u32_e64 v50, null, s9, v3, vcc_lo
	v_fmac_f32_e32 v45, s15, v34
	v_add_co_u32 v2, vcc_lo, v49, v40
	v_add_co_ci_u32_e64 v3, null, v50, v41, vcc_lo
	v_fma_f32 v46, v32, s14, -v48
	v_fmac_f32_e32 v47, s15, v32
	v_add_co_u32 v48, vcc_lo, v49, s0
	flat_store_dwordx2 v[2:3], v[6:7]
	flat_store_dwordx2 v[2:3], v[42:43] offset:128
	flat_store_dwordx2 v[2:3], v[44:45] offset:256
	;; [unrolled: 1-line block ×3, first 2 shown]
	v_mul_f32_e32 v2, s15, v31
	v_mul_f32_e32 v3, s14, v31
	v_add_co_ci_u32_e64 v49, null, s1, v50, vcc_lo
	v_mul_f32_e32 v6, s15, v29
	v_mul_f32_e32 v7, s14, v29
	;; [unrolled: 1-line block ×4, first 2 shown]
	v_add_co_u32 v44, vcc_lo, v48, v40
	v_fma_f32 v2, v30, s14, -v2
	v_fmac_f32_e32 v3, s15, v30
	v_add_co_ci_u32_e64 v45, null, v49, v41, vcc_lo
	v_fma_f32 v6, v28, s14, -v6
	v_fmac_f32_e32 v7, s15, v28
	v_fma_f32 v42, v26, s14, -v42
	v_fmac_f32_e32 v43, s15, v26
	v_add_co_u32 v52, vcc_lo, v48, s0
	v_mul_f32_e32 v46, s15, v25
	v_mul_f32_e32 v47, s14, v25
	flat_store_dwordx2 v[44:45], v[2:3]
	flat_store_dwordx2 v[44:45], v[6:7] offset:128
	flat_store_dwordx2 v[44:45], v[42:43] offset:256
	v_mul_f32_e32 v2, s15, v23
	v_mul_f32_e32 v3, s14, v23
	v_add_co_ci_u32_e64 v53, null, s1, v49, vcc_lo
	v_mul_f32_e32 v42, s15, v21
	v_mul_f32_e32 v43, s14, v21
	;; [unrolled: 1-line block ×4, first 2 shown]
	v_add_co_u32 v6, vcc_lo, v52, v40
	v_mul_f32_e32 v50, s15, v17
	v_mul_f32_e32 v51, s14, v17
	v_fma_f32 v46, v24, s14, -v46
	v_fmac_f32_e32 v47, s15, v24
	v_fma_f32 v2, v22, s14, -v2
	v_fmac_f32_e32 v3, s15, v22
	v_add_co_ci_u32_e64 v7, null, v53, v41, vcc_lo
	v_fma_f32 v42, v20, s14, -v42
	v_fmac_f32_e32 v43, s15, v20
	v_fma_f32 v48, v18, s14, -v48
	v_fmac_f32_e32 v49, s15, v18
	;; [unrolled: 2-line block ×3, first 2 shown]
	flat_store_dwordx2 v[44:45], v[46:47] offset:384
	flat_store_dwordx2 v[6:7], v[2:3]
	flat_store_dwordx2 v[6:7], v[42:43] offset:128
	flat_store_dwordx2 v[6:7], v[48:49] offset:256
	;; [unrolled: 1-line block ×3, first 2 shown]
	v_mul_f32_e32 v2, s15, v15
	v_add_co_u32 v3, vcc_lo, v52, s0
	v_add_co_ci_u32_e64 v6, null, s1, v53, vcc_lo
	v_fma_f32 v42, v14, s14, -v2
	v_mul_f32_e32 v2, s15, v13
	v_add_co_u32 v40, vcc_lo, v3, v40
	v_mul_f32_e32 v43, s14, v15
	v_add_co_ci_u32_e64 v41, null, v6, v41, vcc_lo
	v_fma_f32 v44, v12, s14, -v2
	v_mul_f32_e32 v2, s15, v11
	v_mul_f32_e32 v3, s15, v8
	;; [unrolled: 1-line block ×5, first 2 shown]
	v_fma_f32 v46, v10, s14, -v2
	v_add_co_u32 v2, vcc_lo, 0x180, v40
	v_fmac_f32_e32 v43, s15, v14
	v_fma_f32 v7, v9, s14, -v3
	v_fmac_f32_e32 v6, s15, v9
	v_add_co_ci_u32_e64 v3, null, 0, v41, vcc_lo
	v_fmac_f32_e32 v45, s15, v12
	v_fmac_f32_e32 v47, s15, v10
	flat_store_dwordx2 v[40:41], v[42:43]
	flat_store_dwordx2 v[40:41], v[44:45] offset:128
	flat_store_dwordx2 v[40:41], v[46:47] offset:256
	flat_store_dword v[40:41], v7 offset:384
	s_andn2_b32 vcc_lo, exec_lo, s6
	s_cbranch_vccz .LBB225_6
	s_branch .LBB225_7
.LBB225_5:
                                        ; implicit-def: $vgpr6
                                        ; implicit-def: $vgpr2_vgpr3
.LBB225_6:
	v_mul_lo_u32 v6, v5, s38
	v_mul_lo_u32 v7, v4, s39
	v_mad_u64_u32 v[2:3], null, v4, s38, 0
	s_lshl_b64 s[0:1], s[40:41], 3
	v_lshlrev_b64 v[0:1], 3, v[0:1]
	s_add_u32 s0, s4, s0
	s_addc_u32 s1, s5, s1
	v_mul_lo_u32 v42, v5, s28
	v_mul_lo_u32 v43, v4, s29
	v_add3_u32 v3, v3, v7, v6
	v_mad_u64_u32 v[4:5], null, v4, s28, 0
	s_lshl_b64 s[4:5], s[28:29], 7
	v_lshlrev_b64 v[2:3], 3, v[2:3]
	v_add3_u32 v5, v5, v43, v42
	v_mul_f32_e32 v42, s15, v39
	v_add_co_u32 v40, vcc_lo, s0, v2
	v_add_co_ci_u32_e64 v41, null, s1, v3, vcc_lo
	v_mul_f32_e32 v39, s14, v39
	v_add_co_u32 v2, vcc_lo, v40, v0
	v_add_co_ci_u32_e64 v3, null, v41, v1, vcc_lo
	v_lshlrev_b64 v[4:5], 3, v[4:5]
	v_fma_f32 v42, v38, s14, -v42
	v_fmac_f32_e32 v39, s15, v38
	flat_load_dwordx2 v[6:7], v[2:3]
	s_lshl_b64 s[0:1], s[38:39], 7
	v_add_co_u32 v43, vcc_lo, s8, v4
	v_add_co_ci_u32_e64 v44, null, s9, v5, vcc_lo
	v_add_co_u32 v4, vcc_lo, v43, v0
	v_add_co_ci_u32_e64 v5, null, v44, v1, vcc_lo
	s_waitcnt vmcnt(0) lgkmcnt(0)
	v_mul_f32_e32 v38, s3, v7
	v_mul_f32_e32 v7, s2, v7
	v_fma_f32 v38, v6, s2, -v38
	v_fmac_f32_e32 v7, s3, v6
	v_add_f32_e32 v6, v42, v38
	v_add_f32_e32 v7, v39, v7
	v_mul_f32_e32 v38, s15, v37
	v_mul_f32_e32 v37, s14, v37
	flat_store_dwordx2 v[4:5], v[6:7]
	flat_load_dwordx2 v[6:7], v[2:3] offset:128
	v_fma_f32 v38, v36, s14, -v38
	v_fmac_f32_e32 v37, s15, v36
	s_waitcnt vmcnt(0) lgkmcnt(0)
	v_mul_f32_e32 v39, s3, v7
	v_mul_f32_e32 v7, s2, v7
	v_fma_f32 v36, v6, s2, -v39
	v_fmac_f32_e32 v7, s3, v6
	v_add_f32_e32 v6, v38, v36
	v_add_f32_e32 v7, v37, v7
	v_mul_f32_e32 v36, s15, v35
	v_mul_f32_e32 v35, s14, v35
	flat_store_dwordx2 v[4:5], v[6:7] offset:128
	flat_load_dwordx2 v[6:7], v[2:3] offset:256
	v_fma_f32 v36, v34, s14, -v36
	v_fmac_f32_e32 v35, s15, v34
	s_waitcnt vmcnt(0) lgkmcnt(0)
	v_mul_f32_e32 v37, s3, v7
	v_mul_f32_e32 v7, s2, v7
	v_fma_f32 v34, v6, s2, -v37
	v_fmac_f32_e32 v7, s3, v6
	v_add_f32_e32 v6, v36, v34
	v_add_f32_e32 v7, v35, v7
	flat_store_dwordx2 v[4:5], v[6:7] offset:256
	flat_load_dwordx2 v[2:3], v[2:3] offset:384
	v_mul_f32_e32 v6, s15, v33
	v_mul_f32_e32 v7, s14, v33
	v_fma_f32 v6, v32, s14, -v6
	v_fmac_f32_e32 v7, s15, v32
	s_waitcnt vmcnt(0) lgkmcnt(0)
	v_mul_f32_e32 v33, s3, v3
	v_mul_f32_e32 v3, s2, v3
	v_fma_f32 v32, v2, s2, -v33
	v_add_co_u32 v33, vcc_lo, v40, s0
	v_fmac_f32_e32 v3, s3, v2
	v_add_co_ci_u32_e64 v34, null, s1, v41, vcc_lo
	v_add_f32_e32 v2, v6, v32
	v_add_co_u32 v6, vcc_lo, v33, v0
	v_add_f32_e32 v3, v7, v3
	v_add_co_ci_u32_e64 v7, null, v34, v1, vcc_lo
	v_add_co_u32 v32, vcc_lo, v43, s4
	flat_store_dwordx2 v[4:5], v[2:3] offset:384
	flat_load_dwordx2 v[2:3], v[6:7]
	v_mul_f32_e32 v4, s15, v31
	v_mul_f32_e32 v5, s14, v31
	v_add_co_ci_u32_e64 v35, null, s5, v44, vcc_lo
	v_fma_f32 v4, v30, s14, -v4
	v_fmac_f32_e32 v5, s15, v30
	s_waitcnt vmcnt(0) lgkmcnt(0)
	v_mul_f32_e32 v30, s3, v3
	v_mul_f32_e32 v31, s2, v3
	v_fma_f32 v30, v2, s2, -v30
	v_fmac_f32_e32 v31, s3, v2
	v_add_co_u32 v2, vcc_lo, v32, v0
	v_add_co_ci_u32_e64 v3, null, v35, v1, vcc_lo
	v_add_f32_e32 v4, v4, v30
	v_add_f32_e32 v5, v5, v31
	v_mul_f32_e32 v30, s15, v29
	v_mul_f32_e32 v29, s14, v29
	flat_store_dwordx2 v[2:3], v[4:5]
	flat_load_dwordx2 v[4:5], v[6:7] offset:128
	v_fma_f32 v30, v28, s14, -v30
	v_fmac_f32_e32 v29, s15, v28
	s_waitcnt vmcnt(0) lgkmcnt(0)
	v_mul_f32_e32 v31, s3, v5
	v_mul_f32_e32 v5, s2, v5
	v_fma_f32 v28, v4, s2, -v31
	v_fmac_f32_e32 v5, s3, v4
	v_add_f32_e32 v4, v30, v28
	v_add_f32_e32 v5, v29, v5
	v_mul_f32_e32 v28, s15, v27
	v_mul_f32_e32 v27, s14, v27
	flat_store_dwordx2 v[2:3], v[4:5] offset:128
	flat_load_dwordx2 v[4:5], v[6:7] offset:256
	v_fma_f32 v28, v26, s14, -v28
	v_fmac_f32_e32 v27, s15, v26
	s_waitcnt vmcnt(0) lgkmcnt(0)
	v_mul_f32_e32 v29, s3, v5
	v_mul_f32_e32 v5, s2, v5
	v_fma_f32 v26, v4, s2, -v29
	v_fmac_f32_e32 v5, s3, v4
	v_add_f32_e32 v4, v28, v26
	v_add_f32_e32 v5, v27, v5
	flat_store_dwordx2 v[2:3], v[4:5] offset:256
	flat_load_dwordx2 v[4:5], v[6:7] offset:384
	v_mul_f32_e32 v6, s15, v25
	v_mul_f32_e32 v7, s14, v25
	v_fma_f32 v6, v24, s14, -v6
	v_fmac_f32_e32 v7, s15, v24
	s_waitcnt vmcnt(0) lgkmcnt(0)
	v_mul_f32_e32 v25, s3, v5
	v_mul_f32_e32 v5, s2, v5
	v_fma_f32 v24, v4, s2, -v25
	v_add_co_u32 v25, vcc_lo, v33, s0
	v_fmac_f32_e32 v5, s3, v4
	v_add_co_ci_u32_e64 v26, null, s1, v34, vcc_lo
	v_add_f32_e32 v4, v6, v24
	v_add_co_u32 v6, vcc_lo, v25, v0
	v_add_f32_e32 v5, v7, v5
	v_add_co_ci_u32_e64 v7, null, v26, v1, vcc_lo
	v_add_co_u32 v24, vcc_lo, v32, s4
	flat_store_dwordx2 v[2:3], v[4:5] offset:384
	flat_load_dwordx2 v[2:3], v[6:7]
	v_mul_f32_e32 v4, s15, v23
	v_mul_f32_e32 v5, s14, v23
	v_add_co_ci_u32_e64 v27, null, s5, v35, vcc_lo
	v_fma_f32 v4, v22, s14, -v4
	v_fmac_f32_e32 v5, s15, v22
	s_waitcnt vmcnt(0) lgkmcnt(0)
	v_mul_f32_e32 v22, s3, v3
	v_mul_f32_e32 v23, s2, v3
	v_fma_f32 v22, v2, s2, -v22
	v_fmac_f32_e32 v23, s3, v2
	v_add_co_u32 v2, vcc_lo, v24, v0
	v_add_co_ci_u32_e64 v3, null, v27, v1, vcc_lo
	v_add_f32_e32 v4, v4, v22
	v_add_f32_e32 v5, v5, v23
	v_mul_f32_e32 v22, s15, v21
	v_mul_f32_e32 v21, s14, v21
	flat_store_dwordx2 v[2:3], v[4:5]
	flat_load_dwordx2 v[4:5], v[6:7] offset:128
	v_fma_f32 v22, v20, s14, -v22
	v_fmac_f32_e32 v21, s15, v20
	s_waitcnt vmcnt(0) lgkmcnt(0)
	v_mul_f32_e32 v23, s3, v5
	v_mul_f32_e32 v5, s2, v5
	v_fma_f32 v20, v4, s2, -v23
	v_fmac_f32_e32 v5, s3, v4
	v_add_f32_e32 v4, v22, v20
	v_add_f32_e32 v5, v21, v5
	v_mul_f32_e32 v20, s15, v19
	v_mul_f32_e32 v19, s14, v19
	flat_store_dwordx2 v[2:3], v[4:5] offset:128
	flat_load_dwordx2 v[4:5], v[6:7] offset:256
	v_fma_f32 v20, v18, s14, -v20
	v_fmac_f32_e32 v19, s15, v18
	s_waitcnt vmcnt(0) lgkmcnt(0)
	v_mul_f32_e32 v21, s3, v5
	v_mul_f32_e32 v5, s2, v5
	v_fma_f32 v18, v4, s2, -v21
	v_fmac_f32_e32 v5, s3, v4
	v_add_f32_e32 v4, v20, v18
	v_add_f32_e32 v5, v19, v5
	flat_store_dwordx2 v[2:3], v[4:5] offset:256
	flat_load_dwordx2 v[4:5], v[6:7] offset:384
	v_mul_f32_e32 v6, s15, v17
	v_mul_f32_e32 v7, s14, v17
	v_fma_f32 v6, v16, s14, -v6
	v_fmac_f32_e32 v7, s15, v16
	s_waitcnt vmcnt(0) lgkmcnt(0)
	v_mul_f32_e32 v17, s3, v5
	v_mul_f32_e32 v5, s2, v5
	v_fma_f32 v16, v4, s2, -v17
	v_add_co_u32 v17, vcc_lo, v25, s0
	v_fmac_f32_e32 v5, s3, v4
	v_add_co_ci_u32_e64 v18, null, s1, v26, vcc_lo
	v_add_f32_e32 v4, v6, v16
	v_add_co_u32 v6, vcc_lo, v17, v0
	v_add_f32_e32 v5, v7, v5
	v_add_co_ci_u32_e64 v7, null, v18, v1, vcc_lo
	flat_store_dwordx2 v[2:3], v[4:5] offset:384
	flat_load_dwordx2 v[2:3], v[6:7]
	v_mul_f32_e32 v4, s15, v15
	v_mul_f32_e32 v5, s14, v15
	v_add_co_u32 v15, vcc_lo, v24, s4
	v_add_co_ci_u32_e64 v16, null, s5, v27, vcc_lo
	v_fma_f32 v4, v14, s14, -v4
	v_fmac_f32_e32 v5, s15, v14
	v_add_co_u32 v0, vcc_lo, v15, v0
	v_add_co_ci_u32_e64 v1, null, v16, v1, vcc_lo
	s_waitcnt vmcnt(0) lgkmcnt(0)
	v_mul_f32_e32 v14, s3, v3
	v_mul_f32_e32 v3, s2, v3
	v_fma_f32 v14, v2, s2, -v14
	v_fmac_f32_e32 v3, s3, v2
	v_add_f32_e32 v2, v4, v14
	v_add_f32_e32 v3, v5, v3
	v_mul_f32_e32 v4, s15, v13
	v_mul_f32_e32 v5, s14, v13
	flat_store_dwordx2 v[0:1], v[2:3]
	flat_load_dwordx2 v[2:3], v[6:7] offset:128
	v_fma_f32 v4, v12, s14, -v4
	v_fmac_f32_e32 v5, s15, v12
	s_waitcnt vmcnt(0) lgkmcnt(0)
	v_mul_f32_e32 v13, s3, v3
	v_mul_f32_e32 v3, s2, v3
	v_fma_f32 v12, v2, s2, -v13
	v_fmac_f32_e32 v3, s3, v2
	v_add_f32_e32 v2, v4, v12
	v_add_f32_e32 v3, v5, v3
	v_mul_f32_e32 v4, s15, v11
	v_mul_f32_e32 v5, s14, v11
	flat_store_dwordx2 v[0:1], v[2:3] offset:128
	flat_load_dwordx2 v[2:3], v[6:7] offset:256
	v_fma_f32 v4, v10, s14, -v4
	v_fmac_f32_e32 v5, s15, v10
	s_waitcnt vmcnt(0) lgkmcnt(0)
	v_mul_f32_e32 v11, s3, v3
	v_mul_f32_e32 v3, s2, v3
	v_fma_f32 v10, v2, s2, -v11
	v_fmac_f32_e32 v3, s3, v2
	v_add_f32_e32 v2, v4, v10
	v_add_f32_e32 v3, v5, v3
	v_mul_f32_e32 v4, s15, v8
	v_mul_f32_e32 v5, s14, v8
	flat_store_dwordx2 v[0:1], v[2:3] offset:256
	flat_load_dwordx2 v[2:3], v[6:7] offset:384
	v_fma_f32 v4, v9, s14, -v4
	v_fmac_f32_e32 v5, s15, v9
	s_waitcnt vmcnt(0) lgkmcnt(0)
	v_mul_f32_e32 v6, s3, v3
	v_mul_f32_e32 v3, s2, v3
	v_fma_f32 v6, v2, s2, -v6
	v_fmac_f32_e32 v3, s3, v2
	v_add_co_u32 v2, vcc_lo, 0x180, v0
	v_add_f32_e32 v4, v4, v6
	v_add_f32_e32 v6, v5, v3
	v_add_co_ci_u32_e64 v3, null, 0, v1, vcc_lo
	flat_store_dword v[0:1], v4 offset:384
.LBB225_7:
	flat_store_dword v[2:3], v6 offset:4
	s_endpgm
	.section	.rodata,"a",@progbits
	.p2align	6, 0x0
	.amdhsa_kernel _ZN12_GLOBAL__N_127rocblas_gemm_batched_kernelI19rocblas_complex_numIfELi16ELi16ELi64ELi64ELi4ELi64ELi4ELi4ELi64ELc78ELc84EKPKS2_S5_KPS2_EEvlllT_PT11_llSA_llS8_PT12_llPT13_lli
		.amdhsa_group_segment_fixed_size 4096
		.amdhsa_private_segment_fixed_size 0
		.amdhsa_kernarg_size 140
		.amdhsa_user_sgpr_count 6
		.amdhsa_user_sgpr_private_segment_buffer 1
		.amdhsa_user_sgpr_dispatch_ptr 0
		.amdhsa_user_sgpr_queue_ptr 0
		.amdhsa_user_sgpr_kernarg_segment_ptr 1
		.amdhsa_user_sgpr_dispatch_id 0
		.amdhsa_user_sgpr_flat_scratch_init 0
		.amdhsa_user_sgpr_private_segment_size 0
		.amdhsa_wavefront_size32 1
		.amdhsa_uses_dynamic_stack 0
		.amdhsa_system_sgpr_private_segment_wavefront_offset 0
		.amdhsa_system_sgpr_workgroup_id_x 1
		.amdhsa_system_sgpr_workgroup_id_y 1
		.amdhsa_system_sgpr_workgroup_id_z 1
		.amdhsa_system_sgpr_workgroup_info 0
		.amdhsa_system_vgpr_workitem_id 1
		.amdhsa_next_free_vgpr 188
		.amdhsa_next_free_sgpr 44
		.amdhsa_reserve_vcc 1
		.amdhsa_reserve_flat_scratch 0
		.amdhsa_float_round_mode_32 0
		.amdhsa_float_round_mode_16_64 0
		.amdhsa_float_denorm_mode_32 3
		.amdhsa_float_denorm_mode_16_64 3
		.amdhsa_dx10_clamp 1
		.amdhsa_ieee_mode 1
		.amdhsa_fp16_overflow 0
		.amdhsa_workgroup_processor_mode 1
		.amdhsa_memory_ordered 1
		.amdhsa_forward_progress 1
		.amdhsa_shared_vgpr_count 0
		.amdhsa_exception_fp_ieee_invalid_op 0
		.amdhsa_exception_fp_denorm_src 0
		.amdhsa_exception_fp_ieee_div_zero 0
		.amdhsa_exception_fp_ieee_overflow 0
		.amdhsa_exception_fp_ieee_underflow 0
		.amdhsa_exception_fp_ieee_inexact 0
		.amdhsa_exception_int_div_zero 0
	.end_amdhsa_kernel
	.section	.text._ZN12_GLOBAL__N_127rocblas_gemm_batched_kernelI19rocblas_complex_numIfELi16ELi16ELi64ELi64ELi4ELi64ELi4ELi4ELi64ELc78ELc84EKPKS2_S5_KPS2_EEvlllT_PT11_llSA_llS8_PT12_llPT13_lli,"axG",@progbits,_ZN12_GLOBAL__N_127rocblas_gemm_batched_kernelI19rocblas_complex_numIfELi16ELi16ELi64ELi64ELi4ELi64ELi4ELi4ELi64ELc78ELc84EKPKS2_S5_KPS2_EEvlllT_PT11_llSA_llS8_PT12_llPT13_lli,comdat
.Lfunc_end225:
	.size	_ZN12_GLOBAL__N_127rocblas_gemm_batched_kernelI19rocblas_complex_numIfELi16ELi16ELi64ELi64ELi4ELi64ELi4ELi4ELi64ELc78ELc84EKPKS2_S5_KPS2_EEvlllT_PT11_llSA_llS8_PT12_llPT13_lli, .Lfunc_end225-_ZN12_GLOBAL__N_127rocblas_gemm_batched_kernelI19rocblas_complex_numIfELi16ELi16ELi64ELi64ELi4ELi64ELi4ELi4ELi64ELc78ELc84EKPKS2_S5_KPS2_EEvlllT_PT11_llSA_llS8_PT12_llPT13_lli
                                        ; -- End function
	.set _ZN12_GLOBAL__N_127rocblas_gemm_batched_kernelI19rocblas_complex_numIfELi16ELi16ELi64ELi64ELi4ELi64ELi4ELi4ELi64ELc78ELc84EKPKS2_S5_KPS2_EEvlllT_PT11_llSA_llS8_PT12_llPT13_lli.num_vgpr, 188
	.set _ZN12_GLOBAL__N_127rocblas_gemm_batched_kernelI19rocblas_complex_numIfELi16ELi16ELi64ELi64ELi4ELi64ELi4ELi4ELi64ELc78ELc84EKPKS2_S5_KPS2_EEvlllT_PT11_llSA_llS8_PT12_llPT13_lli.num_agpr, 0
	.set _ZN12_GLOBAL__N_127rocblas_gemm_batched_kernelI19rocblas_complex_numIfELi16ELi16ELi64ELi64ELi4ELi64ELi4ELi4ELi64ELc78ELc84EKPKS2_S5_KPS2_EEvlllT_PT11_llSA_llS8_PT12_llPT13_lli.numbered_sgpr, 44
	.set _ZN12_GLOBAL__N_127rocblas_gemm_batched_kernelI19rocblas_complex_numIfELi16ELi16ELi64ELi64ELi4ELi64ELi4ELi4ELi64ELc78ELc84EKPKS2_S5_KPS2_EEvlllT_PT11_llSA_llS8_PT12_llPT13_lli.num_named_barrier, 0
	.set _ZN12_GLOBAL__N_127rocblas_gemm_batched_kernelI19rocblas_complex_numIfELi16ELi16ELi64ELi64ELi4ELi64ELi4ELi4ELi64ELc78ELc84EKPKS2_S5_KPS2_EEvlllT_PT11_llSA_llS8_PT12_llPT13_lli.private_seg_size, 0
	.set _ZN12_GLOBAL__N_127rocblas_gemm_batched_kernelI19rocblas_complex_numIfELi16ELi16ELi64ELi64ELi4ELi64ELi4ELi4ELi64ELc78ELc84EKPKS2_S5_KPS2_EEvlllT_PT11_llSA_llS8_PT12_llPT13_lli.uses_vcc, 1
	.set _ZN12_GLOBAL__N_127rocblas_gemm_batched_kernelI19rocblas_complex_numIfELi16ELi16ELi64ELi64ELi4ELi64ELi4ELi4ELi64ELc78ELc84EKPKS2_S5_KPS2_EEvlllT_PT11_llSA_llS8_PT12_llPT13_lli.uses_flat_scratch, 0
	.set _ZN12_GLOBAL__N_127rocblas_gemm_batched_kernelI19rocblas_complex_numIfELi16ELi16ELi64ELi64ELi4ELi64ELi4ELi4ELi64ELc78ELc84EKPKS2_S5_KPS2_EEvlllT_PT11_llSA_llS8_PT12_llPT13_lli.has_dyn_sized_stack, 0
	.set _ZN12_GLOBAL__N_127rocblas_gemm_batched_kernelI19rocblas_complex_numIfELi16ELi16ELi64ELi64ELi4ELi64ELi4ELi4ELi64ELc78ELc84EKPKS2_S5_KPS2_EEvlllT_PT11_llSA_llS8_PT12_llPT13_lli.has_recursion, 0
	.set _ZN12_GLOBAL__N_127rocblas_gemm_batched_kernelI19rocblas_complex_numIfELi16ELi16ELi64ELi64ELi4ELi64ELi4ELi4ELi64ELc78ELc84EKPKS2_S5_KPS2_EEvlllT_PT11_llSA_llS8_PT12_llPT13_lli.has_indirect_call, 0
	.section	.AMDGPU.csdata,"",@progbits
; Kernel info:
; codeLenInByte = 4904
; TotalNumSgprs: 46
; NumVgprs: 188
; ScratchSize: 0
; MemoryBound: 0
; FloatMode: 240
; IeeeMode: 1
; LDSByteSize: 4096 bytes/workgroup (compile time only)
; SGPRBlocks: 0
; VGPRBlocks: 23
; NumSGPRsForWavesPerEU: 46
; NumVGPRsForWavesPerEU: 188
; Occupancy: 5
; WaveLimiterHint : 1
; COMPUTE_PGM_RSRC2:SCRATCH_EN: 0
; COMPUTE_PGM_RSRC2:USER_SGPR: 6
; COMPUTE_PGM_RSRC2:TRAP_HANDLER: 0
; COMPUTE_PGM_RSRC2:TGID_X_EN: 1
; COMPUTE_PGM_RSRC2:TGID_Y_EN: 1
; COMPUTE_PGM_RSRC2:TGID_Z_EN: 1
; COMPUTE_PGM_RSRC2:TIDIG_COMP_CNT: 1
	.section	.text._ZN12_GLOBAL__N_127rocblas_gemm_batched_kernelI19rocblas_complex_numIfELi16ELi16ELi64ELi64ELi4ELi64ELi4ELi4ELi64ELc84ELc84EKPKS2_S5_KPS2_EEvlllT_PT11_llSA_llS8_PT12_llPT13_lli,"axG",@progbits,_ZN12_GLOBAL__N_127rocblas_gemm_batched_kernelI19rocblas_complex_numIfELi16ELi16ELi64ELi64ELi4ELi64ELi4ELi4ELi64ELc84ELc84EKPKS2_S5_KPS2_EEvlllT_PT11_llSA_llS8_PT12_llPT13_lli,comdat
	.globl	_ZN12_GLOBAL__N_127rocblas_gemm_batched_kernelI19rocblas_complex_numIfELi16ELi16ELi64ELi64ELi4ELi64ELi4ELi4ELi64ELc84ELc84EKPKS2_S5_KPS2_EEvlllT_PT11_llSA_llS8_PT12_llPT13_lli ; -- Begin function _ZN12_GLOBAL__N_127rocblas_gemm_batched_kernelI19rocblas_complex_numIfELi16ELi16ELi64ELi64ELi4ELi64ELi4ELi4ELi64ELc84ELc84EKPKS2_S5_KPS2_EEvlllT_PT11_llSA_llS8_PT12_llPT13_lli
	.p2align	8
	.type	_ZN12_GLOBAL__N_127rocblas_gemm_batched_kernelI19rocblas_complex_numIfELi16ELi16ELi64ELi64ELi4ELi64ELi4ELi4ELi64ELc84ELc84EKPKS2_S5_KPS2_EEvlllT_PT11_llSA_llS8_PT12_llPT13_lli,@function
_ZN12_GLOBAL__N_127rocblas_gemm_batched_kernelI19rocblas_complex_numIfELi16ELi16ELi64ELi64ELi4ELi64ELi4ELi4ELi64ELc84ELc84EKPKS2_S5_KPS2_EEvlllT_PT11_llSA_llS8_PT12_llPT13_lli: ; @_ZN12_GLOBAL__N_127rocblas_gemm_batched_kernelI19rocblas_complex_numIfELi16ELi16ELi64ELi64ELi4ELi64ELi4ELi4ELi64ELc84ELc84EKPKS2_S5_KPS2_EEvlllT_PT11_llSA_llS8_PT12_llPT13_lli
; %bb.0:
	s_clause 0x1
	s_load_dwordx8 s[36:43], s[4:5], 0x58
	s_load_dwordx16 s[12:27], s[4:5], 0x10
	s_mov_b32 s9, 0
	s_clause 0x1
	s_load_dwordx4 s[28:31], s[4:5], 0x78
	s_load_dwordx2 s[2:3], s[4:5], 0x50
	s_lshl_b64 s[0:1], s[8:9], 3
	s_mov_b32 s10, s7
	v_mov_b32_e32 v38, 0
	v_mov_b32_e32 v39, 0
	;; [unrolled: 1-line block ×13, first 2 shown]
	s_waitcnt lgkmcnt(0)
	s_add_u32 s4, s36, s0
	s_addc_u32 s5, s37, s1
	s_add_u32 s8, s42, s0
	s_addc_u32 s9, s43, s1
	s_load_dwordx2 s[4:5], s[4:5], 0x0
	s_load_dwordx2 s[8:9], s[8:9], 0x0
	v_cmp_lt_i64_e64 s33, s[12:13], 1
	v_mov_b32_e32 v27, 0
	v_mov_b32_e32 v24, 0
	;; [unrolled: 1-line block ×19, first 2 shown]
	s_ashr_i32 s7, s6, 31
	s_ashr_i32 s11, s10, 31
	s_lshl_b64 s[6:7], s[6:7], 6
	s_and_b32 vcc_lo, exec_lo, s33
	s_lshl_b64 s[10:11], s[10:11], 6
	s_cbranch_vccnz .LBB226_3
; %bb.1:
	v_lshl_add_u32 v6, v1, 4, v0
	v_and_b32_e32 v7, 3, v0
	s_add_u32 s16, s16, s0
	s_addc_u32 s17, s17, s1
	s_add_u32 s0, s22, s0
	v_lshrrev_b32_e32 v9, 2, v6
	v_and_b32_e32 v10, 63, v6
	s_addc_u32 s1, s23, s1
	v_lshlrev_b32_e32 v13, 3, v7
	s_load_dwordx2 s[16:17], s[16:17], 0x0
	s_load_dwordx2 s[0:1], s[0:1], 0x0
	v_add_co_u32 v2, s33, v9, s10
	v_add_co_ci_u32_e64 v3, null, 0, s11, s33
	v_add_co_u32 v4, s33, s6, v10
	v_add_co_ci_u32_e64 v5, null, s7, 0, s33
	v_mad_u64_u32 v[2:3], null, s24, v7, v[2:3]
	v_mul_lo_u32 v11, s19, v4
	v_mul_lo_u32 v12, s18, v5
	v_mad_u64_u32 v[4:5], null, s18, v4, 0
	v_lshrrev_b32_e32 v14, 6, v6
	s_lshl_b64 s[18:19], s[20:21], 3
	v_lshlrev_b32_e32 v10, 3, v10
	v_mov_b32_e32 v8, 0
	v_lshlrev_b32_e32 v42, 3, v0
	v_lshl_add_u32 v43, v1, 5, 0x800
	v_add3_u32 v5, v5, v12, v11
	v_mad_u64_u32 v[6:7], null, s25, v7, v[3:4]
	v_lshl_or_b32 v3, v9, 5, v13
	v_lshl_or_b32 v40, v14, 9, v10
	v_lshlrev_b64 v[4:5], 3, v[4:5]
	v_mov_b32_e32 v9, 0
	v_mov_b32_e32 v11, 0
	v_add_nc_u32_e32 v41, 0x800, v3
	v_mov_b32_e32 v3, v6
	v_lshlrev_b32_e32 v6, 3, v14
	v_add_co_u32 v4, vcc_lo, v4, s18
	v_add_co_ci_u32_e64 v5, null, s19, v5, vcc_lo
	s_lshl_b64 s[18:19], s[26:27], 3
	v_add_co_u32 v6, vcc_lo, v4, v6
	v_add_co_ci_u32_e64 v7, null, 0, v5, vcc_lo
	v_lshlrev_b64 v[4:5], 3, v[2:3]
	s_waitcnt lgkmcnt(0)
	v_add_co_u32 v2, vcc_lo, s16, v6
	s_add_u32 s0, s0, s18
	v_add_co_ci_u32_e64 v3, null, s17, v7, vcc_lo
	s_addc_u32 s1, s1, s19
	v_add_co_u32 v4, vcc_lo, s0, v4
	v_add_co_ci_u32_e64 v5, null, s1, v5, vcc_lo
	v_mov_b32_e32 v10, 0
	v_mov_b32_e32 v13, 0
	v_mov_b32_e32 v12, 0
	v_mov_b32_e32 v15, 0
	v_mov_b32_e32 v14, 0
	v_mov_b32_e32 v17, 0
	v_mov_b32_e32 v16, 0
	v_mov_b32_e32 v19, 0
	v_mov_b32_e32 v18, 0
	v_mov_b32_e32 v21, 0
	v_mov_b32_e32 v20, 0
	v_mov_b32_e32 v23, 0
	v_mov_b32_e32 v22, 0
	v_mov_b32_e32 v25, 0
	v_mov_b32_e32 v24, 0
	v_mov_b32_e32 v27, 0
	v_mov_b32_e32 v26, 0
	v_mov_b32_e32 v29, 0
	v_mov_b32_e32 v28, 0
	v_mov_b32_e32 v31, 0
	v_mov_b32_e32 v30, 0
	v_mov_b32_e32 v33, 0
	v_mov_b32_e32 v32, 0
	v_mov_b32_e32 v35, 0
	v_mov_b32_e32 v34, 0
	v_mov_b32_e32 v37, 0
	v_mov_b32_e32 v36, 0
	v_mov_b32_e32 v39, 0
	v_mov_b32_e32 v38, 0
	s_lshl_b64 s[16:17], s[24:25], 5
	s_mov_b64 s[18:19], 0
.LBB226_2:                              ; =>This Inner Loop Header: Depth=1
	flat_load_dwordx2 v[6:7], v[2:3]
	s_add_u32 s18, s18, 4
	s_addc_u32 s19, s19, 0
	v_add_co_u32 v2, vcc_lo, v2, 32
	v_cmp_lt_i64_e64 s0, s[18:19], s[12:13]
	v_add_co_ci_u32_e64 v3, null, 0, v3, vcc_lo
	s_and_b32 vcc_lo, exec_lo, s0
	s_waitcnt vmcnt(0) lgkmcnt(0)
	ds_write_b64 v40, v[6:7]
	flat_load_dwordx2 v[6:7], v[4:5]
	v_add_co_u32 v4, s0, v4, s16
	v_add_co_ci_u32_e64 v5, null, s17, v5, s0
	s_waitcnt vmcnt(0) lgkmcnt(0)
	ds_write_b64 v41, v[6:7]
	s_waitcnt lgkmcnt(0)
	s_barrier
	buffer_gl0_inv
	ds_read_b128 v[44:47], v43
	ds_read2_b64 v[48:51], v42 offset1:16
	ds_read_b128 v[52:55], v43 offset:512
	ds_read_b128 v[56:59], v43 offset:16
	;; [unrolled: 1-line block ×7, first 2 shown]
	ds_read2_b64 v[80:83], v42 offset0:32 offset1:48
	ds_read2_b64 v[84:87], v42 offset0:64 offset1:80
	;; [unrolled: 1-line block ×7, first 2 shown]
	s_waitcnt lgkmcnt(0)
	s_barrier
	buffer_gl0_inv
	v_mul_f32_e32 v6, v45, v49
	v_mul_f32_e32 v7, v44, v49
	;; [unrolled: 1-line block ×64, first 2 shown]
	v_fma_f32 v6, v44, v48, -v6
	v_fmac_f32_e32 v7, v45, v48
	v_fma_f32 v108, v44, v50, -v108
	v_fmac_f32_e32 v109, v45, v50
	;; [unrolled: 2-line block ×16, first 2 shown]
	v_mul_f32_e32 v162, v57, v93
	v_mul_f32_e32 v163, v56, v93
	;; [unrolled: 1-line block ×28, first 2 shown]
	v_fma_f32 v124, v46, v84, -v134
	v_fmac_f32_e32 v135, v47, v84
	v_fma_f32 v126, v46, v86, -v136
	v_fmac_f32_e32 v137, v47, v86
	;; [unrolled: 2-line block ×4, first 2 shown]
	v_mul_f32_e32 v47, v77, v97
	v_mul_f32_e32 v97, v76, v97
	;; [unrolled: 1-line block ×4, first 2 shown]
	v_fma_f32 v132, v54, v84, -v142
	v_fmac_f32_e32 v143, v55, v84
	v_fma_f32 v133, v54, v86, -v144
	v_fmac_f32_e32 v145, v55, v86
	v_fma_f32 v134, v54, v88, -v146
	v_fmac_f32_e32 v147, v55, v88
	v_fma_f32 v54, v54, v90, -v148
	v_fmac_f32_e32 v149, v55, v90
	v_mul_f32_e32 v136, v58, v101
	v_mul_f32_e32 v140, v58, v103
	v_fma_f32 v142, v66, v84, -v150
	v_fmac_f32_e32 v151, v67, v84
	v_fma_f32 v144, v66, v86, -v152
	v_fmac_f32_e32 v153, v67, v86
	;; [unrolled: 2-line block ×4, first 2 shown]
	v_mul_f32_e32 v148, v58, v105
	v_mul_f32_e32 v152, v58, v107
	v_fma_f32 v154, v74, v84, -v158
	v_fmac_f32_e32 v85, v75, v84
	v_fma_f32 v84, v74, v86, -v159
	v_fmac_f32_e32 v87, v75, v86
	;; [unrolled: 2-line block ×4, first 2 shown]
	v_add_f32_e32 v6, v38, v6
	v_add_f32_e32 v7, v39, v7
	;; [unrolled: 1-line block ×32, first 2 shown]
	v_mul_f32_e32 v55, v59, v101
	v_mul_f32_e32 v138, v59, v103
	;; [unrolled: 1-line block ×16, first 2 shown]
	v_fma_f32 v162, v56, v92, -v162
	v_fmac_f32_e32 v163, v57, v92
	v_fma_f32 v164, v56, v94, -v164
	v_fmac_f32_e32 v165, v57, v94
	;; [unrolled: 2-line block ×8, first 2 shown]
	v_mul_f32_e32 v94, v71, v105
	v_mul_f32_e32 v175, v70, v105
	;; [unrolled: 1-line block ×4, first 2 shown]
	v_fma_f32 v176, v56, v96, -v176
	v_fmac_f32_e32 v177, v57, v96
	v_fma_f32 v56, v56, v98, -v178
	v_fmac_f32_e32 v179, v57, v98
	;; [unrolled: 2-line block ×8, first 2 shown]
	v_mul_f32_e32 v69, v79, v101
	v_mul_f32_e32 v73, v78, v101
	;; [unrolled: 1-line block ×4, first 2 shown]
	v_fmac_f32_e32 v136, v59, v100
	v_fmac_f32_e32 v140, v59, v102
	;; [unrolled: 1-line block ×4, first 2 shown]
	v_mul_f32_e32 v59, v79, v105
	v_mul_f32_e32 v96, v78, v105
	;; [unrolled: 1-line block ×4, first 2 shown]
	v_add_f32_e32 v6, v6, v124
	v_add_f32_e32 v7, v7, v135
	;; [unrolled: 1-line block ×32, first 2 shown]
	v_fma_f32 v55, v58, v100, -v55
	v_fma_f32 v82, v58, v102, -v138
	;; [unrolled: 1-line block ×5, first 2 shown]
	v_fmac_f32_e32 v156, v63, v100
	v_fma_f32 v103, v62, v102, -v158
	v_fmac_f32_e32 v159, v63, v102
	v_fma_f32 v75, v62, v104, -v75
	;; [unrolled: 2-line block ×11, first 2 shown]
	v_fmac_f32_e32 v101, v79, v106
	v_add_f32_e32 v6, v6, v162
	v_add_f32_e32 v7, v7, v163
	;; [unrolled: 1-line block ×64, first 2 shown]
	s_cbranch_vccnz .LBB226_2
.LBB226_3:
	s_lshl_b64 s[0:1], s[30:31], 3
	s_waitcnt lgkmcnt(0)
	s_add_u32 s8, s8, s0
	s_addc_u32 s9, s9, s1
	v_add_co_u32 v4, s1, s10, v1
	v_add_co_ci_u32_e64 v5, null, s11, 0, s1
	v_add_co_u32 v0, s1, s6, v0
	s_or_b32 s0, s2, s3
	v_add_co_ci_u32_e64 v1, null, s7, 0, s1
	s_bitset0_b32 s0, 31
	s_mov_b32 s6, 0
	s_cmp_lg_u32 s0, 0
	s_cbranch_scc1 .LBB226_5
; %bb.4:
	v_mul_lo_u32 v6, v5, s28
	v_mul_lo_u32 v40, v4, s29
	v_mad_u64_u32 v[2:3], null, v4, s28, 0
	v_mul_f32_e32 v42, s15, v39
	v_mul_f32_e32 v7, s14, v39
	;; [unrolled: 1-line block ×6, first 2 shown]
	v_add3_u32 v3, v3, v40, v6
	v_lshlrev_b64 v[40:41], 3, v[0:1]
	v_mul_f32_e32 v48, s15, v33
	v_mul_f32_e32 v47, s14, v33
	v_fma_f32 v6, v38, s14, -v42
	v_lshlrev_b64 v[2:3], 3, v[2:3]
	v_fmac_f32_e32 v7, s15, v38
	v_fma_f32 v42, v36, s14, -v44
	v_fmac_f32_e32 v43, s15, v36
	s_lshl_b64 s[0:1], s[28:29], 7
	v_fma_f32 v44, v34, s14, -v46
	v_add_co_u32 v49, vcc_lo, s8, v2
	v_add_co_ci_u32_e64 v50, null, s9, v3, vcc_lo
	v_fmac_f32_e32 v45, s15, v34
	v_add_co_u32 v2, vcc_lo, v49, v40
	v_add_co_ci_u32_e64 v3, null, v50, v41, vcc_lo
	v_fma_f32 v46, v32, s14, -v48
	v_fmac_f32_e32 v47, s15, v32
	v_add_co_u32 v48, vcc_lo, v49, s0
	flat_store_dwordx2 v[2:3], v[6:7]
	flat_store_dwordx2 v[2:3], v[42:43] offset:128
	flat_store_dwordx2 v[2:3], v[44:45] offset:256
	;; [unrolled: 1-line block ×3, first 2 shown]
	v_mul_f32_e32 v2, s15, v31
	v_mul_f32_e32 v3, s14, v31
	v_add_co_ci_u32_e64 v49, null, s1, v50, vcc_lo
	v_mul_f32_e32 v6, s15, v29
	v_mul_f32_e32 v7, s14, v29
	;; [unrolled: 1-line block ×4, first 2 shown]
	v_add_co_u32 v44, vcc_lo, v48, v40
	v_fma_f32 v2, v30, s14, -v2
	v_fmac_f32_e32 v3, s15, v30
	v_add_co_ci_u32_e64 v45, null, v49, v41, vcc_lo
	v_fma_f32 v6, v28, s14, -v6
	v_fmac_f32_e32 v7, s15, v28
	v_fma_f32 v42, v26, s14, -v42
	v_fmac_f32_e32 v43, s15, v26
	v_add_co_u32 v52, vcc_lo, v48, s0
	v_mul_f32_e32 v46, s15, v25
	v_mul_f32_e32 v47, s14, v25
	flat_store_dwordx2 v[44:45], v[2:3]
	flat_store_dwordx2 v[44:45], v[6:7] offset:128
	flat_store_dwordx2 v[44:45], v[42:43] offset:256
	v_mul_f32_e32 v2, s15, v23
	v_mul_f32_e32 v3, s14, v23
	v_add_co_ci_u32_e64 v53, null, s1, v49, vcc_lo
	v_mul_f32_e32 v42, s15, v21
	v_mul_f32_e32 v43, s14, v21
	v_mul_f32_e32 v48, s15, v19
	v_mul_f32_e32 v49, s14, v19
	v_add_co_u32 v6, vcc_lo, v52, v40
	v_mul_f32_e32 v50, s15, v17
	v_mul_f32_e32 v51, s14, v17
	v_fma_f32 v46, v24, s14, -v46
	v_fmac_f32_e32 v47, s15, v24
	v_fma_f32 v2, v22, s14, -v2
	v_fmac_f32_e32 v3, s15, v22
	v_add_co_ci_u32_e64 v7, null, v53, v41, vcc_lo
	v_fma_f32 v42, v20, s14, -v42
	v_fmac_f32_e32 v43, s15, v20
	v_fma_f32 v48, v18, s14, -v48
	v_fmac_f32_e32 v49, s15, v18
	;; [unrolled: 2-line block ×3, first 2 shown]
	flat_store_dwordx2 v[44:45], v[46:47] offset:384
	flat_store_dwordx2 v[6:7], v[2:3]
	flat_store_dwordx2 v[6:7], v[42:43] offset:128
	flat_store_dwordx2 v[6:7], v[48:49] offset:256
	;; [unrolled: 1-line block ×3, first 2 shown]
	v_mul_f32_e32 v2, s15, v15
	v_add_co_u32 v3, vcc_lo, v52, s0
	v_add_co_ci_u32_e64 v6, null, s1, v53, vcc_lo
	v_fma_f32 v42, v14, s14, -v2
	v_mul_f32_e32 v2, s15, v13
	v_add_co_u32 v40, vcc_lo, v3, v40
	v_mul_f32_e32 v43, s14, v15
	v_add_co_ci_u32_e64 v41, null, v6, v41, vcc_lo
	v_fma_f32 v44, v12, s14, -v2
	v_mul_f32_e32 v2, s15, v11
	v_mul_f32_e32 v3, s15, v8
	;; [unrolled: 1-line block ×5, first 2 shown]
	v_fma_f32 v46, v10, s14, -v2
	v_add_co_u32 v2, vcc_lo, 0x180, v40
	v_fmac_f32_e32 v43, s15, v14
	v_fma_f32 v7, v9, s14, -v3
	v_fmac_f32_e32 v6, s15, v9
	v_add_co_ci_u32_e64 v3, null, 0, v41, vcc_lo
	v_fmac_f32_e32 v45, s15, v12
	v_fmac_f32_e32 v47, s15, v10
	flat_store_dwordx2 v[40:41], v[42:43]
	flat_store_dwordx2 v[40:41], v[44:45] offset:128
	flat_store_dwordx2 v[40:41], v[46:47] offset:256
	flat_store_dword v[40:41], v7 offset:384
	s_andn2_b32 vcc_lo, exec_lo, s6
	s_cbranch_vccz .LBB226_6
	s_branch .LBB226_7
.LBB226_5:
                                        ; implicit-def: $vgpr6
                                        ; implicit-def: $vgpr2_vgpr3
.LBB226_6:
	v_mul_lo_u32 v6, v5, s38
	v_mul_lo_u32 v7, v4, s39
	v_mad_u64_u32 v[2:3], null, v4, s38, 0
	s_lshl_b64 s[0:1], s[40:41], 3
	v_lshlrev_b64 v[0:1], 3, v[0:1]
	s_add_u32 s0, s4, s0
	s_addc_u32 s1, s5, s1
	v_mul_lo_u32 v42, v5, s28
	v_mul_lo_u32 v43, v4, s29
	v_add3_u32 v3, v3, v7, v6
	v_mad_u64_u32 v[4:5], null, v4, s28, 0
	s_lshl_b64 s[4:5], s[28:29], 7
	v_lshlrev_b64 v[2:3], 3, v[2:3]
	v_add3_u32 v5, v5, v43, v42
	v_mul_f32_e32 v42, s15, v39
	v_add_co_u32 v40, vcc_lo, s0, v2
	v_add_co_ci_u32_e64 v41, null, s1, v3, vcc_lo
	v_mul_f32_e32 v39, s14, v39
	v_add_co_u32 v2, vcc_lo, v40, v0
	v_add_co_ci_u32_e64 v3, null, v41, v1, vcc_lo
	v_lshlrev_b64 v[4:5], 3, v[4:5]
	v_fma_f32 v42, v38, s14, -v42
	v_fmac_f32_e32 v39, s15, v38
	flat_load_dwordx2 v[6:7], v[2:3]
	s_lshl_b64 s[0:1], s[38:39], 7
	v_add_co_u32 v43, vcc_lo, s8, v4
	v_add_co_ci_u32_e64 v44, null, s9, v5, vcc_lo
	v_add_co_u32 v4, vcc_lo, v43, v0
	v_add_co_ci_u32_e64 v5, null, v44, v1, vcc_lo
	s_waitcnt vmcnt(0) lgkmcnt(0)
	v_mul_f32_e32 v38, s3, v7
	v_mul_f32_e32 v7, s2, v7
	v_fma_f32 v38, v6, s2, -v38
	v_fmac_f32_e32 v7, s3, v6
	v_add_f32_e32 v6, v42, v38
	v_add_f32_e32 v7, v39, v7
	v_mul_f32_e32 v38, s15, v37
	v_mul_f32_e32 v37, s14, v37
	flat_store_dwordx2 v[4:5], v[6:7]
	flat_load_dwordx2 v[6:7], v[2:3] offset:128
	v_fma_f32 v38, v36, s14, -v38
	v_fmac_f32_e32 v37, s15, v36
	s_waitcnt vmcnt(0) lgkmcnt(0)
	v_mul_f32_e32 v39, s3, v7
	v_mul_f32_e32 v7, s2, v7
	v_fma_f32 v36, v6, s2, -v39
	v_fmac_f32_e32 v7, s3, v6
	v_add_f32_e32 v6, v38, v36
	v_add_f32_e32 v7, v37, v7
	v_mul_f32_e32 v36, s15, v35
	v_mul_f32_e32 v35, s14, v35
	flat_store_dwordx2 v[4:5], v[6:7] offset:128
	flat_load_dwordx2 v[6:7], v[2:3] offset:256
	v_fma_f32 v36, v34, s14, -v36
	v_fmac_f32_e32 v35, s15, v34
	s_waitcnt vmcnt(0) lgkmcnt(0)
	v_mul_f32_e32 v37, s3, v7
	v_mul_f32_e32 v7, s2, v7
	v_fma_f32 v34, v6, s2, -v37
	v_fmac_f32_e32 v7, s3, v6
	v_add_f32_e32 v6, v36, v34
	v_add_f32_e32 v7, v35, v7
	flat_store_dwordx2 v[4:5], v[6:7] offset:256
	flat_load_dwordx2 v[2:3], v[2:3] offset:384
	v_mul_f32_e32 v6, s15, v33
	v_mul_f32_e32 v7, s14, v33
	v_fma_f32 v6, v32, s14, -v6
	v_fmac_f32_e32 v7, s15, v32
	s_waitcnt vmcnt(0) lgkmcnt(0)
	v_mul_f32_e32 v33, s3, v3
	v_mul_f32_e32 v3, s2, v3
	v_fma_f32 v32, v2, s2, -v33
	v_add_co_u32 v33, vcc_lo, v40, s0
	v_fmac_f32_e32 v3, s3, v2
	v_add_co_ci_u32_e64 v34, null, s1, v41, vcc_lo
	v_add_f32_e32 v2, v6, v32
	v_add_co_u32 v6, vcc_lo, v33, v0
	v_add_f32_e32 v3, v7, v3
	v_add_co_ci_u32_e64 v7, null, v34, v1, vcc_lo
	v_add_co_u32 v32, vcc_lo, v43, s4
	flat_store_dwordx2 v[4:5], v[2:3] offset:384
	flat_load_dwordx2 v[2:3], v[6:7]
	v_mul_f32_e32 v4, s15, v31
	v_mul_f32_e32 v5, s14, v31
	v_add_co_ci_u32_e64 v35, null, s5, v44, vcc_lo
	v_fma_f32 v4, v30, s14, -v4
	v_fmac_f32_e32 v5, s15, v30
	s_waitcnt vmcnt(0) lgkmcnt(0)
	v_mul_f32_e32 v30, s3, v3
	v_mul_f32_e32 v31, s2, v3
	v_fma_f32 v30, v2, s2, -v30
	v_fmac_f32_e32 v31, s3, v2
	v_add_co_u32 v2, vcc_lo, v32, v0
	v_add_co_ci_u32_e64 v3, null, v35, v1, vcc_lo
	v_add_f32_e32 v4, v4, v30
	v_add_f32_e32 v5, v5, v31
	v_mul_f32_e32 v30, s15, v29
	v_mul_f32_e32 v29, s14, v29
	flat_store_dwordx2 v[2:3], v[4:5]
	flat_load_dwordx2 v[4:5], v[6:7] offset:128
	v_fma_f32 v30, v28, s14, -v30
	v_fmac_f32_e32 v29, s15, v28
	s_waitcnt vmcnt(0) lgkmcnt(0)
	v_mul_f32_e32 v31, s3, v5
	v_mul_f32_e32 v5, s2, v5
	v_fma_f32 v28, v4, s2, -v31
	v_fmac_f32_e32 v5, s3, v4
	v_add_f32_e32 v4, v30, v28
	v_add_f32_e32 v5, v29, v5
	v_mul_f32_e32 v28, s15, v27
	v_mul_f32_e32 v27, s14, v27
	flat_store_dwordx2 v[2:3], v[4:5] offset:128
	flat_load_dwordx2 v[4:5], v[6:7] offset:256
	v_fma_f32 v28, v26, s14, -v28
	v_fmac_f32_e32 v27, s15, v26
	s_waitcnt vmcnt(0) lgkmcnt(0)
	v_mul_f32_e32 v29, s3, v5
	v_mul_f32_e32 v5, s2, v5
	v_fma_f32 v26, v4, s2, -v29
	v_fmac_f32_e32 v5, s3, v4
	v_add_f32_e32 v4, v28, v26
	v_add_f32_e32 v5, v27, v5
	flat_store_dwordx2 v[2:3], v[4:5] offset:256
	flat_load_dwordx2 v[4:5], v[6:7] offset:384
	v_mul_f32_e32 v6, s15, v25
	v_mul_f32_e32 v7, s14, v25
	v_fma_f32 v6, v24, s14, -v6
	v_fmac_f32_e32 v7, s15, v24
	s_waitcnt vmcnt(0) lgkmcnt(0)
	v_mul_f32_e32 v25, s3, v5
	v_mul_f32_e32 v5, s2, v5
	v_fma_f32 v24, v4, s2, -v25
	v_add_co_u32 v25, vcc_lo, v33, s0
	v_fmac_f32_e32 v5, s3, v4
	v_add_co_ci_u32_e64 v26, null, s1, v34, vcc_lo
	v_add_f32_e32 v4, v6, v24
	v_add_co_u32 v6, vcc_lo, v25, v0
	v_add_f32_e32 v5, v7, v5
	v_add_co_ci_u32_e64 v7, null, v26, v1, vcc_lo
	v_add_co_u32 v24, vcc_lo, v32, s4
	flat_store_dwordx2 v[2:3], v[4:5] offset:384
	flat_load_dwordx2 v[2:3], v[6:7]
	v_mul_f32_e32 v4, s15, v23
	v_mul_f32_e32 v5, s14, v23
	v_add_co_ci_u32_e64 v27, null, s5, v35, vcc_lo
	v_fma_f32 v4, v22, s14, -v4
	v_fmac_f32_e32 v5, s15, v22
	s_waitcnt vmcnt(0) lgkmcnt(0)
	v_mul_f32_e32 v22, s3, v3
	v_mul_f32_e32 v23, s2, v3
	v_fma_f32 v22, v2, s2, -v22
	v_fmac_f32_e32 v23, s3, v2
	v_add_co_u32 v2, vcc_lo, v24, v0
	v_add_co_ci_u32_e64 v3, null, v27, v1, vcc_lo
	v_add_f32_e32 v4, v4, v22
	v_add_f32_e32 v5, v5, v23
	v_mul_f32_e32 v22, s15, v21
	v_mul_f32_e32 v21, s14, v21
	flat_store_dwordx2 v[2:3], v[4:5]
	flat_load_dwordx2 v[4:5], v[6:7] offset:128
	v_fma_f32 v22, v20, s14, -v22
	v_fmac_f32_e32 v21, s15, v20
	s_waitcnt vmcnt(0) lgkmcnt(0)
	v_mul_f32_e32 v23, s3, v5
	v_mul_f32_e32 v5, s2, v5
	v_fma_f32 v20, v4, s2, -v23
	v_fmac_f32_e32 v5, s3, v4
	v_add_f32_e32 v4, v22, v20
	v_add_f32_e32 v5, v21, v5
	v_mul_f32_e32 v20, s15, v19
	v_mul_f32_e32 v19, s14, v19
	flat_store_dwordx2 v[2:3], v[4:5] offset:128
	flat_load_dwordx2 v[4:5], v[6:7] offset:256
	v_fma_f32 v20, v18, s14, -v20
	v_fmac_f32_e32 v19, s15, v18
	s_waitcnt vmcnt(0) lgkmcnt(0)
	v_mul_f32_e32 v21, s3, v5
	v_mul_f32_e32 v5, s2, v5
	v_fma_f32 v18, v4, s2, -v21
	v_fmac_f32_e32 v5, s3, v4
	v_add_f32_e32 v4, v20, v18
	v_add_f32_e32 v5, v19, v5
	flat_store_dwordx2 v[2:3], v[4:5] offset:256
	flat_load_dwordx2 v[4:5], v[6:7] offset:384
	v_mul_f32_e32 v6, s15, v17
	v_mul_f32_e32 v7, s14, v17
	v_fma_f32 v6, v16, s14, -v6
	v_fmac_f32_e32 v7, s15, v16
	s_waitcnt vmcnt(0) lgkmcnt(0)
	v_mul_f32_e32 v17, s3, v5
	v_mul_f32_e32 v5, s2, v5
	v_fma_f32 v16, v4, s2, -v17
	v_add_co_u32 v17, vcc_lo, v25, s0
	v_fmac_f32_e32 v5, s3, v4
	v_add_co_ci_u32_e64 v18, null, s1, v26, vcc_lo
	v_add_f32_e32 v4, v6, v16
	v_add_co_u32 v6, vcc_lo, v17, v0
	v_add_f32_e32 v5, v7, v5
	v_add_co_ci_u32_e64 v7, null, v18, v1, vcc_lo
	flat_store_dwordx2 v[2:3], v[4:5] offset:384
	flat_load_dwordx2 v[2:3], v[6:7]
	v_mul_f32_e32 v4, s15, v15
	v_mul_f32_e32 v5, s14, v15
	v_add_co_u32 v15, vcc_lo, v24, s4
	v_add_co_ci_u32_e64 v16, null, s5, v27, vcc_lo
	v_fma_f32 v4, v14, s14, -v4
	v_fmac_f32_e32 v5, s15, v14
	v_add_co_u32 v0, vcc_lo, v15, v0
	v_add_co_ci_u32_e64 v1, null, v16, v1, vcc_lo
	s_waitcnt vmcnt(0) lgkmcnt(0)
	v_mul_f32_e32 v14, s3, v3
	v_mul_f32_e32 v3, s2, v3
	v_fma_f32 v14, v2, s2, -v14
	v_fmac_f32_e32 v3, s3, v2
	v_add_f32_e32 v2, v4, v14
	v_add_f32_e32 v3, v5, v3
	v_mul_f32_e32 v4, s15, v13
	v_mul_f32_e32 v5, s14, v13
	flat_store_dwordx2 v[0:1], v[2:3]
	flat_load_dwordx2 v[2:3], v[6:7] offset:128
	v_fma_f32 v4, v12, s14, -v4
	v_fmac_f32_e32 v5, s15, v12
	s_waitcnt vmcnt(0) lgkmcnt(0)
	v_mul_f32_e32 v13, s3, v3
	v_mul_f32_e32 v3, s2, v3
	v_fma_f32 v12, v2, s2, -v13
	v_fmac_f32_e32 v3, s3, v2
	v_add_f32_e32 v2, v4, v12
	v_add_f32_e32 v3, v5, v3
	v_mul_f32_e32 v4, s15, v11
	v_mul_f32_e32 v5, s14, v11
	flat_store_dwordx2 v[0:1], v[2:3] offset:128
	flat_load_dwordx2 v[2:3], v[6:7] offset:256
	v_fma_f32 v4, v10, s14, -v4
	v_fmac_f32_e32 v5, s15, v10
	s_waitcnt vmcnt(0) lgkmcnt(0)
	v_mul_f32_e32 v11, s3, v3
	v_mul_f32_e32 v3, s2, v3
	v_fma_f32 v10, v2, s2, -v11
	v_fmac_f32_e32 v3, s3, v2
	v_add_f32_e32 v2, v4, v10
	v_add_f32_e32 v3, v5, v3
	v_mul_f32_e32 v4, s15, v8
	v_mul_f32_e32 v5, s14, v8
	flat_store_dwordx2 v[0:1], v[2:3] offset:256
	flat_load_dwordx2 v[2:3], v[6:7] offset:384
	v_fma_f32 v4, v9, s14, -v4
	v_fmac_f32_e32 v5, s15, v9
	s_waitcnt vmcnt(0) lgkmcnt(0)
	v_mul_f32_e32 v6, s3, v3
	v_mul_f32_e32 v3, s2, v3
	v_fma_f32 v6, v2, s2, -v6
	v_fmac_f32_e32 v3, s3, v2
	v_add_co_u32 v2, vcc_lo, 0x180, v0
	v_add_f32_e32 v4, v4, v6
	v_add_f32_e32 v6, v5, v3
	v_add_co_ci_u32_e64 v3, null, 0, v1, vcc_lo
	flat_store_dword v[0:1], v4 offset:384
.LBB226_7:
	flat_store_dword v[2:3], v6 offset:4
	s_endpgm
	.section	.rodata,"a",@progbits
	.p2align	6, 0x0
	.amdhsa_kernel _ZN12_GLOBAL__N_127rocblas_gemm_batched_kernelI19rocblas_complex_numIfELi16ELi16ELi64ELi64ELi4ELi64ELi4ELi4ELi64ELc84ELc84EKPKS2_S5_KPS2_EEvlllT_PT11_llSA_llS8_PT12_llPT13_lli
		.amdhsa_group_segment_fixed_size 4096
		.amdhsa_private_segment_fixed_size 0
		.amdhsa_kernarg_size 140
		.amdhsa_user_sgpr_count 6
		.amdhsa_user_sgpr_private_segment_buffer 1
		.amdhsa_user_sgpr_dispatch_ptr 0
		.amdhsa_user_sgpr_queue_ptr 0
		.amdhsa_user_sgpr_kernarg_segment_ptr 1
		.amdhsa_user_sgpr_dispatch_id 0
		.amdhsa_user_sgpr_flat_scratch_init 0
		.amdhsa_user_sgpr_private_segment_size 0
		.amdhsa_wavefront_size32 1
		.amdhsa_uses_dynamic_stack 0
		.amdhsa_system_sgpr_private_segment_wavefront_offset 0
		.amdhsa_system_sgpr_workgroup_id_x 1
		.amdhsa_system_sgpr_workgroup_id_y 1
		.amdhsa_system_sgpr_workgroup_id_z 1
		.amdhsa_system_sgpr_workgroup_info 0
		.amdhsa_system_vgpr_workitem_id 1
		.amdhsa_next_free_vgpr 188
		.amdhsa_next_free_sgpr 44
		.amdhsa_reserve_vcc 1
		.amdhsa_reserve_flat_scratch 0
		.amdhsa_float_round_mode_32 0
		.amdhsa_float_round_mode_16_64 0
		.amdhsa_float_denorm_mode_32 3
		.amdhsa_float_denorm_mode_16_64 3
		.amdhsa_dx10_clamp 1
		.amdhsa_ieee_mode 1
		.amdhsa_fp16_overflow 0
		.amdhsa_workgroup_processor_mode 1
		.amdhsa_memory_ordered 1
		.amdhsa_forward_progress 1
		.amdhsa_shared_vgpr_count 0
		.amdhsa_exception_fp_ieee_invalid_op 0
		.amdhsa_exception_fp_denorm_src 0
		.amdhsa_exception_fp_ieee_div_zero 0
		.amdhsa_exception_fp_ieee_overflow 0
		.amdhsa_exception_fp_ieee_underflow 0
		.amdhsa_exception_fp_ieee_inexact 0
		.amdhsa_exception_int_div_zero 0
	.end_amdhsa_kernel
	.section	.text._ZN12_GLOBAL__N_127rocblas_gemm_batched_kernelI19rocblas_complex_numIfELi16ELi16ELi64ELi64ELi4ELi64ELi4ELi4ELi64ELc84ELc84EKPKS2_S5_KPS2_EEvlllT_PT11_llSA_llS8_PT12_llPT13_lli,"axG",@progbits,_ZN12_GLOBAL__N_127rocblas_gemm_batched_kernelI19rocblas_complex_numIfELi16ELi16ELi64ELi64ELi4ELi64ELi4ELi4ELi64ELc84ELc84EKPKS2_S5_KPS2_EEvlllT_PT11_llSA_llS8_PT12_llPT13_lli,comdat
.Lfunc_end226:
	.size	_ZN12_GLOBAL__N_127rocblas_gemm_batched_kernelI19rocblas_complex_numIfELi16ELi16ELi64ELi64ELi4ELi64ELi4ELi4ELi64ELc84ELc84EKPKS2_S5_KPS2_EEvlllT_PT11_llSA_llS8_PT12_llPT13_lli, .Lfunc_end226-_ZN12_GLOBAL__N_127rocblas_gemm_batched_kernelI19rocblas_complex_numIfELi16ELi16ELi64ELi64ELi4ELi64ELi4ELi4ELi64ELc84ELc84EKPKS2_S5_KPS2_EEvlllT_PT11_llSA_llS8_PT12_llPT13_lli
                                        ; -- End function
	.set _ZN12_GLOBAL__N_127rocblas_gemm_batched_kernelI19rocblas_complex_numIfELi16ELi16ELi64ELi64ELi4ELi64ELi4ELi4ELi64ELc84ELc84EKPKS2_S5_KPS2_EEvlllT_PT11_llSA_llS8_PT12_llPT13_lli.num_vgpr, 188
	.set _ZN12_GLOBAL__N_127rocblas_gemm_batched_kernelI19rocblas_complex_numIfELi16ELi16ELi64ELi64ELi4ELi64ELi4ELi4ELi64ELc84ELc84EKPKS2_S5_KPS2_EEvlllT_PT11_llSA_llS8_PT12_llPT13_lli.num_agpr, 0
	.set _ZN12_GLOBAL__N_127rocblas_gemm_batched_kernelI19rocblas_complex_numIfELi16ELi16ELi64ELi64ELi4ELi64ELi4ELi4ELi64ELc84ELc84EKPKS2_S5_KPS2_EEvlllT_PT11_llSA_llS8_PT12_llPT13_lli.numbered_sgpr, 44
	.set _ZN12_GLOBAL__N_127rocblas_gemm_batched_kernelI19rocblas_complex_numIfELi16ELi16ELi64ELi64ELi4ELi64ELi4ELi4ELi64ELc84ELc84EKPKS2_S5_KPS2_EEvlllT_PT11_llSA_llS8_PT12_llPT13_lli.num_named_barrier, 0
	.set _ZN12_GLOBAL__N_127rocblas_gemm_batched_kernelI19rocblas_complex_numIfELi16ELi16ELi64ELi64ELi4ELi64ELi4ELi4ELi64ELc84ELc84EKPKS2_S5_KPS2_EEvlllT_PT11_llSA_llS8_PT12_llPT13_lli.private_seg_size, 0
	.set _ZN12_GLOBAL__N_127rocblas_gemm_batched_kernelI19rocblas_complex_numIfELi16ELi16ELi64ELi64ELi4ELi64ELi4ELi4ELi64ELc84ELc84EKPKS2_S5_KPS2_EEvlllT_PT11_llSA_llS8_PT12_llPT13_lli.uses_vcc, 1
	.set _ZN12_GLOBAL__N_127rocblas_gemm_batched_kernelI19rocblas_complex_numIfELi16ELi16ELi64ELi64ELi4ELi64ELi4ELi4ELi64ELc84ELc84EKPKS2_S5_KPS2_EEvlllT_PT11_llSA_llS8_PT12_llPT13_lli.uses_flat_scratch, 0
	.set _ZN12_GLOBAL__N_127rocblas_gemm_batched_kernelI19rocblas_complex_numIfELi16ELi16ELi64ELi64ELi4ELi64ELi4ELi4ELi64ELc84ELc84EKPKS2_S5_KPS2_EEvlllT_PT11_llSA_llS8_PT12_llPT13_lli.has_dyn_sized_stack, 0
	.set _ZN12_GLOBAL__N_127rocblas_gemm_batched_kernelI19rocblas_complex_numIfELi16ELi16ELi64ELi64ELi4ELi64ELi4ELi4ELi64ELc84ELc84EKPKS2_S5_KPS2_EEvlllT_PT11_llSA_llS8_PT12_llPT13_lli.has_recursion, 0
	.set _ZN12_GLOBAL__N_127rocblas_gemm_batched_kernelI19rocblas_complex_numIfELi16ELi16ELi64ELi64ELi4ELi64ELi4ELi4ELi64ELc84ELc84EKPKS2_S5_KPS2_EEvlllT_PT11_llSA_llS8_PT12_llPT13_lli.has_indirect_call, 0
	.section	.AMDGPU.csdata,"",@progbits
; Kernel info:
; codeLenInByte = 4936
; TotalNumSgprs: 46
; NumVgprs: 188
; ScratchSize: 0
; MemoryBound: 0
; FloatMode: 240
; IeeeMode: 1
; LDSByteSize: 4096 bytes/workgroup (compile time only)
; SGPRBlocks: 0
; VGPRBlocks: 23
; NumSGPRsForWavesPerEU: 46
; NumVGPRsForWavesPerEU: 188
; Occupancy: 5
; WaveLimiterHint : 1
; COMPUTE_PGM_RSRC2:SCRATCH_EN: 0
; COMPUTE_PGM_RSRC2:USER_SGPR: 6
; COMPUTE_PGM_RSRC2:TRAP_HANDLER: 0
; COMPUTE_PGM_RSRC2:TGID_X_EN: 1
; COMPUTE_PGM_RSRC2:TGID_Y_EN: 1
; COMPUTE_PGM_RSRC2:TGID_Z_EN: 1
; COMPUTE_PGM_RSRC2:TIDIG_COMP_CNT: 1
	.section	.text._ZN12_GLOBAL__N_127rocblas_gemm_batched_kernelI19rocblas_complex_numIfELi16ELi16ELi64ELi64ELi4ELi64ELi4ELi4ELi64ELc67ELc67EKPKS2_S5_KPS2_EEvlllT_PT11_llSA_llS8_PT12_llPT13_lli,"axG",@progbits,_ZN12_GLOBAL__N_127rocblas_gemm_batched_kernelI19rocblas_complex_numIfELi16ELi16ELi64ELi64ELi4ELi64ELi4ELi4ELi64ELc67ELc67EKPKS2_S5_KPS2_EEvlllT_PT11_llSA_llS8_PT12_llPT13_lli,comdat
	.globl	_ZN12_GLOBAL__N_127rocblas_gemm_batched_kernelI19rocblas_complex_numIfELi16ELi16ELi64ELi64ELi4ELi64ELi4ELi4ELi64ELc67ELc67EKPKS2_S5_KPS2_EEvlllT_PT11_llSA_llS8_PT12_llPT13_lli ; -- Begin function _ZN12_GLOBAL__N_127rocblas_gemm_batched_kernelI19rocblas_complex_numIfELi16ELi16ELi64ELi64ELi4ELi64ELi4ELi4ELi64ELc67ELc67EKPKS2_S5_KPS2_EEvlllT_PT11_llSA_llS8_PT12_llPT13_lli
	.p2align	8
	.type	_ZN12_GLOBAL__N_127rocblas_gemm_batched_kernelI19rocblas_complex_numIfELi16ELi16ELi64ELi64ELi4ELi64ELi4ELi4ELi64ELc67ELc67EKPKS2_S5_KPS2_EEvlllT_PT11_llSA_llS8_PT12_llPT13_lli,@function
_ZN12_GLOBAL__N_127rocblas_gemm_batched_kernelI19rocblas_complex_numIfELi16ELi16ELi64ELi64ELi4ELi64ELi4ELi4ELi64ELc67ELc67EKPKS2_S5_KPS2_EEvlllT_PT11_llSA_llS8_PT12_llPT13_lli: ; @_ZN12_GLOBAL__N_127rocblas_gemm_batched_kernelI19rocblas_complex_numIfELi16ELi16ELi64ELi64ELi4ELi64ELi4ELi4ELi64ELc67ELc67EKPKS2_S5_KPS2_EEvlllT_PT11_llSA_llS8_PT12_llPT13_lli
; %bb.0:
	s_clause 0x1
	s_load_dwordx8 s[36:43], s[4:5], 0x58
	s_load_dwordx16 s[12:27], s[4:5], 0x10
	s_mov_b32 s9, 0
	s_clause 0x1
	s_load_dwordx4 s[28:31], s[4:5], 0x78
	s_load_dwordx2 s[2:3], s[4:5], 0x50
	s_lshl_b64 s[0:1], s[8:9], 3
	s_mov_b32 s10, s7
	v_mov_b32_e32 v38, 0
	v_mov_b32_e32 v39, 0
	;; [unrolled: 1-line block ×13, first 2 shown]
	s_waitcnt lgkmcnt(0)
	s_add_u32 s4, s36, s0
	s_addc_u32 s5, s37, s1
	s_add_u32 s8, s42, s0
	s_addc_u32 s9, s43, s1
	s_load_dwordx2 s[4:5], s[4:5], 0x0
	s_load_dwordx2 s[8:9], s[8:9], 0x0
	v_cmp_lt_i64_e64 s33, s[12:13], 1
	v_mov_b32_e32 v27, 0
	v_mov_b32_e32 v24, 0
	;; [unrolled: 1-line block ×19, first 2 shown]
	s_ashr_i32 s7, s6, 31
	s_ashr_i32 s11, s10, 31
	s_lshl_b64 s[6:7], s[6:7], 6
	s_and_b32 vcc_lo, exec_lo, s33
	s_lshl_b64 s[10:11], s[10:11], 6
	s_cbranch_vccnz .LBB227_3
; %bb.1:
	v_lshl_add_u32 v6, v1, 4, v0
	v_and_b32_e32 v7, 3, v0
	s_add_u32 s16, s16, s0
	s_addc_u32 s17, s17, s1
	s_add_u32 s0, s22, s0
	v_lshrrev_b32_e32 v9, 2, v6
	v_and_b32_e32 v10, 63, v6
	s_addc_u32 s1, s23, s1
	v_lshlrev_b32_e32 v13, 3, v7
	s_load_dwordx2 s[16:17], s[16:17], 0x0
	s_load_dwordx2 s[0:1], s[0:1], 0x0
	v_add_co_u32 v2, s33, v9, s10
	v_add_co_ci_u32_e64 v3, null, 0, s11, s33
	v_add_co_u32 v4, s33, s6, v10
	v_add_co_ci_u32_e64 v5, null, s7, 0, s33
	v_mad_u64_u32 v[2:3], null, s24, v7, v[2:3]
	v_mul_lo_u32 v11, s19, v4
	v_mul_lo_u32 v12, s18, v5
	v_mad_u64_u32 v[4:5], null, s18, v4, 0
	v_lshrrev_b32_e32 v14, 6, v6
	s_lshl_b64 s[18:19], s[20:21], 3
	v_lshlrev_b32_e32 v10, 3, v10
	v_mov_b32_e32 v8, 0
	v_lshlrev_b32_e32 v42, 3, v0
	v_lshl_add_u32 v43, v1, 5, 0x800
	v_add3_u32 v5, v5, v12, v11
	v_mad_u64_u32 v[6:7], null, s25, v7, v[3:4]
	v_lshl_or_b32 v3, v9, 5, v13
	v_lshl_or_b32 v40, v14, 9, v10
	v_lshlrev_b64 v[4:5], 3, v[4:5]
	v_mov_b32_e32 v9, 0
	v_mov_b32_e32 v11, 0
	v_add_nc_u32_e32 v41, 0x800, v3
	v_mov_b32_e32 v3, v6
	v_lshlrev_b32_e32 v6, 3, v14
	v_add_co_u32 v4, vcc_lo, v4, s18
	v_add_co_ci_u32_e64 v5, null, s19, v5, vcc_lo
	s_lshl_b64 s[18:19], s[26:27], 3
	v_add_co_u32 v6, vcc_lo, v4, v6
	v_add_co_ci_u32_e64 v7, null, 0, v5, vcc_lo
	v_lshlrev_b64 v[4:5], 3, v[2:3]
	s_waitcnt lgkmcnt(0)
	v_add_co_u32 v2, vcc_lo, s16, v6
	s_add_u32 s0, s0, s18
	v_add_co_ci_u32_e64 v3, null, s17, v7, vcc_lo
	s_addc_u32 s1, s1, s19
	v_add_co_u32 v4, vcc_lo, s0, v4
	v_add_co_ci_u32_e64 v5, null, s1, v5, vcc_lo
	v_mov_b32_e32 v10, 0
	v_mov_b32_e32 v13, 0
	;; [unrolled: 1-line block ×29, first 2 shown]
	s_lshl_b64 s[16:17], s[24:25], 5
	s_mov_b64 s[18:19], 0
.LBB227_2:                              ; =>This Inner Loop Header: Depth=1
	flat_load_dwordx2 v[6:7], v[2:3]
	s_add_u32 s18, s18, 4
	s_addc_u32 s19, s19, 0
	v_add_co_u32 v2, vcc_lo, v2, 32
	v_cmp_lt_i64_e64 s0, s[18:19], s[12:13]
	v_add_co_ci_u32_e64 v3, null, 0, v3, vcc_lo
	s_and_b32 vcc_lo, exec_lo, s0
	s_waitcnt vmcnt(0) lgkmcnt(0)
	v_xor_b32_e32 v7, 0x80000000, v7
	ds_write_b64 v40, v[6:7]
	flat_load_dwordx2 v[6:7], v[4:5]
	v_add_co_u32 v4, s0, v4, s16
	v_add_co_ci_u32_e64 v5, null, s17, v5, s0
	s_waitcnt vmcnt(0) lgkmcnt(0)
	v_xor_b32_e32 v7, 0x80000000, v7
	ds_write_b64 v41, v[6:7]
	s_waitcnt lgkmcnt(0)
	s_barrier
	buffer_gl0_inv
	ds_read_b128 v[44:47], v43
	ds_read2_b64 v[48:51], v42 offset1:16
	ds_read_b128 v[52:55], v43 offset:512
	ds_read_b128 v[56:59], v43 offset:16
	;; [unrolled: 1-line block ×7, first 2 shown]
	ds_read2_b64 v[80:83], v42 offset0:32 offset1:48
	ds_read2_b64 v[84:87], v42 offset0:64 offset1:80
	;; [unrolled: 1-line block ×7, first 2 shown]
	s_waitcnt lgkmcnt(0)
	s_barrier
	buffer_gl0_inv
	v_mul_f32_e32 v6, v45, v49
	v_mul_f32_e32 v7, v44, v49
	v_mul_f32_e32 v108, v45, v51
	v_mul_f32_e32 v109, v44, v51
	v_mul_f32_e32 v110, v53, v49
	v_mul_f32_e32 v111, v52, v49
	v_mul_f32_e32 v112, v53, v51
	v_mul_f32_e32 v113, v52, v51
	v_mul_f32_e32 v114, v65, v49
	v_mul_f32_e32 v115, v64, v49
	v_mul_f32_e32 v116, v65, v51
	v_mul_f32_e32 v117, v64, v51
	v_mul_f32_e32 v118, v73, v49
	v_mul_f32_e32 v49, v72, v49
	v_mul_f32_e32 v119, v73, v51
	v_mul_f32_e32 v51, v72, v51
	v_mul_f32_e32 v120, v45, v81
	v_mul_f32_e32 v121, v44, v81
	v_mul_f32_e32 v122, v45, v83
	v_mul_f32_e32 v123, v44, v83
	v_mul_f32_e32 v124, v53, v81
	v_mul_f32_e32 v125, v52, v81
	v_mul_f32_e32 v126, v53, v83
	v_mul_f32_e32 v127, v52, v83
	v_mul_f32_e32 v128, v65, v81
	v_mul_f32_e32 v129, v64, v81
	v_mul_f32_e32 v130, v65, v83
	v_mul_f32_e32 v131, v64, v83
	v_mul_f32_e32 v132, v73, v81
	v_mul_f32_e32 v81, v72, v81
	v_mul_f32_e32 v133, v73, v83
	v_mul_f32_e32 v83, v72, v83
	v_mul_f32_e32 v134, v47, v85
	v_mul_f32_e32 v135, v46, v85
	v_mul_f32_e32 v136, v47, v87
	v_mul_f32_e32 v137, v46, v87
	v_mul_f32_e32 v138, v47, v89
	v_mul_f32_e32 v139, v46, v89
	v_mul_f32_e32 v140, v47, v91
	v_mul_f32_e32 v141, v46, v91
	v_mul_f32_e32 v142, v55, v85
	v_mul_f32_e32 v143, v54, v85
	v_mul_f32_e32 v144, v55, v87
	v_mul_f32_e32 v145, v54, v87
	v_mul_f32_e32 v146, v55, v89
	v_mul_f32_e32 v147, v54, v89
	v_mul_f32_e32 v148, v55, v91
	v_mul_f32_e32 v149, v54, v91
	v_mul_f32_e32 v150, v67, v85
	v_mul_f32_e32 v151, v66, v85
	v_mul_f32_e32 v152, v67, v87
	v_mul_f32_e32 v153, v66, v87
	v_mul_f32_e32 v154, v67, v89
	v_mul_f32_e32 v155, v66, v89
	v_mul_f32_e32 v156, v67, v91
	v_mul_f32_e32 v157, v66, v91
	v_mul_f32_e32 v158, v75, v85
	v_mul_f32_e32 v85, v74, v85
	v_mul_f32_e32 v159, v75, v87
	v_mul_f32_e32 v87, v74, v87
	v_mul_f32_e32 v160, v75, v89
	v_mul_f32_e32 v89, v74, v89
	v_mul_f32_e32 v161, v75, v91
	v_mul_f32_e32 v91, v74, v91
	v_fma_f32 v6, v44, v48, -v6
	v_fmac_f32_e32 v7, v45, v48
	v_fma_f32 v108, v44, v50, -v108
	v_fmac_f32_e32 v109, v45, v50
	;; [unrolled: 2-line block ×16, first 2 shown]
	v_mul_f32_e32 v162, v57, v93
	v_mul_f32_e32 v163, v56, v93
	;; [unrolled: 1-line block ×28, first 2 shown]
	v_fma_f32 v124, v46, v84, -v134
	v_fmac_f32_e32 v135, v47, v84
	v_fma_f32 v126, v46, v86, -v136
	v_fmac_f32_e32 v137, v47, v86
	;; [unrolled: 2-line block ×4, first 2 shown]
	v_mul_f32_e32 v47, v77, v97
	v_mul_f32_e32 v97, v76, v97
	;; [unrolled: 1-line block ×4, first 2 shown]
	v_fma_f32 v132, v54, v84, -v142
	v_fmac_f32_e32 v143, v55, v84
	v_fma_f32 v133, v54, v86, -v144
	v_fmac_f32_e32 v145, v55, v86
	;; [unrolled: 2-line block ×4, first 2 shown]
	v_mul_f32_e32 v136, v58, v101
	v_mul_f32_e32 v140, v58, v103
	v_fma_f32 v142, v66, v84, -v150
	v_fmac_f32_e32 v151, v67, v84
	v_fma_f32 v144, v66, v86, -v152
	v_fmac_f32_e32 v153, v67, v86
	;; [unrolled: 2-line block ×4, first 2 shown]
	v_mul_f32_e32 v148, v58, v105
	v_mul_f32_e32 v152, v58, v107
	v_fma_f32 v154, v74, v84, -v158
	v_fmac_f32_e32 v85, v75, v84
	v_fma_f32 v84, v74, v86, -v159
	v_fmac_f32_e32 v87, v75, v86
	;; [unrolled: 2-line block ×4, first 2 shown]
	v_add_f32_e32 v6, v38, v6
	v_add_f32_e32 v7, v39, v7
	;; [unrolled: 1-line block ×32, first 2 shown]
	v_mul_f32_e32 v55, v59, v101
	v_mul_f32_e32 v138, v59, v103
	;; [unrolled: 1-line block ×16, first 2 shown]
	v_fma_f32 v162, v56, v92, -v162
	v_fmac_f32_e32 v163, v57, v92
	v_fma_f32 v164, v56, v94, -v164
	v_fmac_f32_e32 v165, v57, v94
	;; [unrolled: 2-line block ×8, first 2 shown]
	v_mul_f32_e32 v94, v71, v105
	v_mul_f32_e32 v175, v70, v105
	;; [unrolled: 1-line block ×4, first 2 shown]
	v_fma_f32 v176, v56, v96, -v176
	v_fmac_f32_e32 v177, v57, v96
	v_fma_f32 v56, v56, v98, -v178
	v_fmac_f32_e32 v179, v57, v98
	v_fma_f32 v50, v60, v96, -v50
	v_fmac_f32_e32 v119, v61, v96
	v_fma_f32 v57, v60, v98, -v180
	v_fmac_f32_e32 v181, v61, v98
	v_fma_f32 v60, v68, v96, -v73
	v_fmac_f32_e32 v80, v69, v96
	v_fma_f32 v61, v68, v98, -v82
	v_fmac_f32_e32 v122, v69, v98
	v_fma_f32 v47, v76, v96, -v47
	v_fmac_f32_e32 v97, v77, v96
	v_fma_f32 v68, v76, v98, -v130
	v_fmac_f32_e32 v99, v77, v98
	v_mul_f32_e32 v69, v79, v101
	v_mul_f32_e32 v73, v78, v101
	;; [unrolled: 1-line block ×4, first 2 shown]
	v_fmac_f32_e32 v136, v59, v100
	v_fmac_f32_e32 v140, v59, v102
	;; [unrolled: 1-line block ×4, first 2 shown]
	v_mul_f32_e32 v59, v79, v105
	v_mul_f32_e32 v96, v78, v105
	v_mul_f32_e32 v98, v79, v107
	v_mul_f32_e32 v101, v78, v107
	v_add_f32_e32 v6, v6, v124
	v_add_f32_e32 v7, v7, v135
	;; [unrolled: 1-line block ×32, first 2 shown]
	v_fma_f32 v55, v58, v100, -v55
	v_fma_f32 v82, v58, v102, -v138
	;; [unrolled: 1-line block ×5, first 2 shown]
	v_fmac_f32_e32 v156, v63, v100
	v_fma_f32 v103, v62, v102, -v158
	v_fmac_f32_e32 v159, v63, v102
	v_fma_f32 v75, v62, v104, -v75
	;; [unrolled: 2-line block ×11, first 2 shown]
	v_fmac_f32_e32 v101, v79, v106
	v_add_f32_e32 v6, v6, v162
	v_add_f32_e32 v7, v7, v163
	;; [unrolled: 1-line block ×64, first 2 shown]
	s_cbranch_vccnz .LBB227_2
.LBB227_3:
	s_lshl_b64 s[0:1], s[30:31], 3
	s_waitcnt lgkmcnt(0)
	s_add_u32 s8, s8, s0
	s_addc_u32 s9, s9, s1
	v_add_co_u32 v4, s1, s10, v1
	v_add_co_ci_u32_e64 v5, null, s11, 0, s1
	v_add_co_u32 v0, s1, s6, v0
	s_or_b32 s0, s2, s3
	v_add_co_ci_u32_e64 v1, null, s7, 0, s1
	s_bitset0_b32 s0, 31
	s_mov_b32 s6, 0
	s_cmp_lg_u32 s0, 0
	s_cbranch_scc1 .LBB227_5
; %bb.4:
	v_mul_lo_u32 v6, v5, s28
	v_mul_lo_u32 v40, v4, s29
	v_mad_u64_u32 v[2:3], null, v4, s28, 0
	v_mul_f32_e32 v42, s15, v39
	v_mul_f32_e32 v7, s14, v39
	;; [unrolled: 1-line block ×6, first 2 shown]
	v_add3_u32 v3, v3, v40, v6
	v_lshlrev_b64 v[40:41], 3, v[0:1]
	v_mul_f32_e32 v48, s15, v33
	v_mul_f32_e32 v47, s14, v33
	v_fma_f32 v6, v38, s14, -v42
	v_lshlrev_b64 v[2:3], 3, v[2:3]
	v_fmac_f32_e32 v7, s15, v38
	v_fma_f32 v42, v36, s14, -v44
	v_fmac_f32_e32 v43, s15, v36
	s_lshl_b64 s[0:1], s[28:29], 7
	v_fma_f32 v44, v34, s14, -v46
	v_add_co_u32 v49, vcc_lo, s8, v2
	v_add_co_ci_u32_e64 v50, null, s9, v3, vcc_lo
	v_fmac_f32_e32 v45, s15, v34
	v_add_co_u32 v2, vcc_lo, v49, v40
	v_add_co_ci_u32_e64 v3, null, v50, v41, vcc_lo
	v_fma_f32 v46, v32, s14, -v48
	v_fmac_f32_e32 v47, s15, v32
	v_add_co_u32 v48, vcc_lo, v49, s0
	flat_store_dwordx2 v[2:3], v[6:7]
	flat_store_dwordx2 v[2:3], v[42:43] offset:128
	flat_store_dwordx2 v[2:3], v[44:45] offset:256
	;; [unrolled: 1-line block ×3, first 2 shown]
	v_mul_f32_e32 v2, s15, v31
	v_mul_f32_e32 v3, s14, v31
	v_add_co_ci_u32_e64 v49, null, s1, v50, vcc_lo
	v_mul_f32_e32 v6, s15, v29
	v_mul_f32_e32 v7, s14, v29
	;; [unrolled: 1-line block ×4, first 2 shown]
	v_add_co_u32 v44, vcc_lo, v48, v40
	v_fma_f32 v2, v30, s14, -v2
	v_fmac_f32_e32 v3, s15, v30
	v_add_co_ci_u32_e64 v45, null, v49, v41, vcc_lo
	v_fma_f32 v6, v28, s14, -v6
	v_fmac_f32_e32 v7, s15, v28
	v_fma_f32 v42, v26, s14, -v42
	v_fmac_f32_e32 v43, s15, v26
	v_add_co_u32 v52, vcc_lo, v48, s0
	v_mul_f32_e32 v46, s15, v25
	v_mul_f32_e32 v47, s14, v25
	flat_store_dwordx2 v[44:45], v[2:3]
	flat_store_dwordx2 v[44:45], v[6:7] offset:128
	flat_store_dwordx2 v[44:45], v[42:43] offset:256
	v_mul_f32_e32 v2, s15, v23
	v_mul_f32_e32 v3, s14, v23
	v_add_co_ci_u32_e64 v53, null, s1, v49, vcc_lo
	v_mul_f32_e32 v42, s15, v21
	v_mul_f32_e32 v43, s14, v21
	;; [unrolled: 1-line block ×4, first 2 shown]
	v_add_co_u32 v6, vcc_lo, v52, v40
	v_mul_f32_e32 v50, s15, v17
	v_mul_f32_e32 v51, s14, v17
	v_fma_f32 v46, v24, s14, -v46
	v_fmac_f32_e32 v47, s15, v24
	v_fma_f32 v2, v22, s14, -v2
	v_fmac_f32_e32 v3, s15, v22
	v_add_co_ci_u32_e64 v7, null, v53, v41, vcc_lo
	v_fma_f32 v42, v20, s14, -v42
	v_fmac_f32_e32 v43, s15, v20
	v_fma_f32 v48, v18, s14, -v48
	v_fmac_f32_e32 v49, s15, v18
	;; [unrolled: 2-line block ×3, first 2 shown]
	flat_store_dwordx2 v[44:45], v[46:47] offset:384
	flat_store_dwordx2 v[6:7], v[2:3]
	flat_store_dwordx2 v[6:7], v[42:43] offset:128
	flat_store_dwordx2 v[6:7], v[48:49] offset:256
	;; [unrolled: 1-line block ×3, first 2 shown]
	v_mul_f32_e32 v2, s15, v15
	v_add_co_u32 v3, vcc_lo, v52, s0
	v_add_co_ci_u32_e64 v6, null, s1, v53, vcc_lo
	v_fma_f32 v42, v14, s14, -v2
	v_mul_f32_e32 v2, s15, v13
	v_add_co_u32 v40, vcc_lo, v3, v40
	v_mul_f32_e32 v43, s14, v15
	v_add_co_ci_u32_e64 v41, null, v6, v41, vcc_lo
	v_fma_f32 v44, v12, s14, -v2
	v_mul_f32_e32 v2, s15, v11
	v_mul_f32_e32 v3, s15, v8
	;; [unrolled: 1-line block ×5, first 2 shown]
	v_fma_f32 v46, v10, s14, -v2
	v_add_co_u32 v2, vcc_lo, 0x180, v40
	v_fmac_f32_e32 v43, s15, v14
	v_fma_f32 v7, v9, s14, -v3
	v_fmac_f32_e32 v6, s15, v9
	v_add_co_ci_u32_e64 v3, null, 0, v41, vcc_lo
	v_fmac_f32_e32 v45, s15, v12
	v_fmac_f32_e32 v47, s15, v10
	flat_store_dwordx2 v[40:41], v[42:43]
	flat_store_dwordx2 v[40:41], v[44:45] offset:128
	flat_store_dwordx2 v[40:41], v[46:47] offset:256
	flat_store_dword v[40:41], v7 offset:384
	s_andn2_b32 vcc_lo, exec_lo, s6
	s_cbranch_vccz .LBB227_6
	s_branch .LBB227_7
.LBB227_5:
                                        ; implicit-def: $vgpr6
                                        ; implicit-def: $vgpr2_vgpr3
.LBB227_6:
	v_mul_lo_u32 v6, v5, s38
	v_mul_lo_u32 v7, v4, s39
	v_mad_u64_u32 v[2:3], null, v4, s38, 0
	s_lshl_b64 s[0:1], s[40:41], 3
	v_lshlrev_b64 v[0:1], 3, v[0:1]
	s_add_u32 s0, s4, s0
	s_addc_u32 s1, s5, s1
	v_mul_lo_u32 v42, v5, s28
	v_mul_lo_u32 v43, v4, s29
	v_add3_u32 v3, v3, v7, v6
	v_mad_u64_u32 v[4:5], null, v4, s28, 0
	s_lshl_b64 s[4:5], s[28:29], 7
	v_lshlrev_b64 v[2:3], 3, v[2:3]
	v_add3_u32 v5, v5, v43, v42
	v_mul_f32_e32 v42, s15, v39
	v_add_co_u32 v40, vcc_lo, s0, v2
	v_add_co_ci_u32_e64 v41, null, s1, v3, vcc_lo
	v_mul_f32_e32 v39, s14, v39
	v_add_co_u32 v2, vcc_lo, v40, v0
	v_add_co_ci_u32_e64 v3, null, v41, v1, vcc_lo
	v_lshlrev_b64 v[4:5], 3, v[4:5]
	v_fma_f32 v42, v38, s14, -v42
	v_fmac_f32_e32 v39, s15, v38
	flat_load_dwordx2 v[6:7], v[2:3]
	s_lshl_b64 s[0:1], s[38:39], 7
	v_add_co_u32 v43, vcc_lo, s8, v4
	v_add_co_ci_u32_e64 v44, null, s9, v5, vcc_lo
	v_add_co_u32 v4, vcc_lo, v43, v0
	v_add_co_ci_u32_e64 v5, null, v44, v1, vcc_lo
	s_waitcnt vmcnt(0) lgkmcnt(0)
	v_mul_f32_e32 v38, s3, v7
	v_mul_f32_e32 v7, s2, v7
	v_fma_f32 v38, v6, s2, -v38
	v_fmac_f32_e32 v7, s3, v6
	v_add_f32_e32 v6, v42, v38
	v_add_f32_e32 v7, v39, v7
	v_mul_f32_e32 v38, s15, v37
	v_mul_f32_e32 v37, s14, v37
	flat_store_dwordx2 v[4:5], v[6:7]
	flat_load_dwordx2 v[6:7], v[2:3] offset:128
	v_fma_f32 v38, v36, s14, -v38
	v_fmac_f32_e32 v37, s15, v36
	s_waitcnt vmcnt(0) lgkmcnt(0)
	v_mul_f32_e32 v39, s3, v7
	v_mul_f32_e32 v7, s2, v7
	v_fma_f32 v36, v6, s2, -v39
	v_fmac_f32_e32 v7, s3, v6
	v_add_f32_e32 v6, v38, v36
	v_add_f32_e32 v7, v37, v7
	v_mul_f32_e32 v36, s15, v35
	v_mul_f32_e32 v35, s14, v35
	flat_store_dwordx2 v[4:5], v[6:7] offset:128
	flat_load_dwordx2 v[6:7], v[2:3] offset:256
	v_fma_f32 v36, v34, s14, -v36
	v_fmac_f32_e32 v35, s15, v34
	s_waitcnt vmcnt(0) lgkmcnt(0)
	v_mul_f32_e32 v37, s3, v7
	v_mul_f32_e32 v7, s2, v7
	v_fma_f32 v34, v6, s2, -v37
	v_fmac_f32_e32 v7, s3, v6
	v_add_f32_e32 v6, v36, v34
	v_add_f32_e32 v7, v35, v7
	flat_store_dwordx2 v[4:5], v[6:7] offset:256
	flat_load_dwordx2 v[2:3], v[2:3] offset:384
	v_mul_f32_e32 v6, s15, v33
	v_mul_f32_e32 v7, s14, v33
	v_fma_f32 v6, v32, s14, -v6
	v_fmac_f32_e32 v7, s15, v32
	s_waitcnt vmcnt(0) lgkmcnt(0)
	v_mul_f32_e32 v33, s3, v3
	v_mul_f32_e32 v3, s2, v3
	v_fma_f32 v32, v2, s2, -v33
	v_add_co_u32 v33, vcc_lo, v40, s0
	v_fmac_f32_e32 v3, s3, v2
	v_add_co_ci_u32_e64 v34, null, s1, v41, vcc_lo
	v_add_f32_e32 v2, v6, v32
	v_add_co_u32 v6, vcc_lo, v33, v0
	v_add_f32_e32 v3, v7, v3
	v_add_co_ci_u32_e64 v7, null, v34, v1, vcc_lo
	v_add_co_u32 v32, vcc_lo, v43, s4
	flat_store_dwordx2 v[4:5], v[2:3] offset:384
	flat_load_dwordx2 v[2:3], v[6:7]
	v_mul_f32_e32 v4, s15, v31
	v_mul_f32_e32 v5, s14, v31
	v_add_co_ci_u32_e64 v35, null, s5, v44, vcc_lo
	v_fma_f32 v4, v30, s14, -v4
	v_fmac_f32_e32 v5, s15, v30
	s_waitcnt vmcnt(0) lgkmcnt(0)
	v_mul_f32_e32 v30, s3, v3
	v_mul_f32_e32 v31, s2, v3
	v_fma_f32 v30, v2, s2, -v30
	v_fmac_f32_e32 v31, s3, v2
	v_add_co_u32 v2, vcc_lo, v32, v0
	v_add_co_ci_u32_e64 v3, null, v35, v1, vcc_lo
	v_add_f32_e32 v4, v4, v30
	v_add_f32_e32 v5, v5, v31
	v_mul_f32_e32 v30, s15, v29
	v_mul_f32_e32 v29, s14, v29
	flat_store_dwordx2 v[2:3], v[4:5]
	flat_load_dwordx2 v[4:5], v[6:7] offset:128
	v_fma_f32 v30, v28, s14, -v30
	v_fmac_f32_e32 v29, s15, v28
	s_waitcnt vmcnt(0) lgkmcnt(0)
	v_mul_f32_e32 v31, s3, v5
	v_mul_f32_e32 v5, s2, v5
	v_fma_f32 v28, v4, s2, -v31
	v_fmac_f32_e32 v5, s3, v4
	v_add_f32_e32 v4, v30, v28
	v_add_f32_e32 v5, v29, v5
	v_mul_f32_e32 v28, s15, v27
	v_mul_f32_e32 v27, s14, v27
	flat_store_dwordx2 v[2:3], v[4:5] offset:128
	flat_load_dwordx2 v[4:5], v[6:7] offset:256
	v_fma_f32 v28, v26, s14, -v28
	v_fmac_f32_e32 v27, s15, v26
	s_waitcnt vmcnt(0) lgkmcnt(0)
	v_mul_f32_e32 v29, s3, v5
	v_mul_f32_e32 v5, s2, v5
	v_fma_f32 v26, v4, s2, -v29
	v_fmac_f32_e32 v5, s3, v4
	v_add_f32_e32 v4, v28, v26
	v_add_f32_e32 v5, v27, v5
	flat_store_dwordx2 v[2:3], v[4:5] offset:256
	flat_load_dwordx2 v[4:5], v[6:7] offset:384
	v_mul_f32_e32 v6, s15, v25
	v_mul_f32_e32 v7, s14, v25
	v_fma_f32 v6, v24, s14, -v6
	v_fmac_f32_e32 v7, s15, v24
	s_waitcnt vmcnt(0) lgkmcnt(0)
	v_mul_f32_e32 v25, s3, v5
	v_mul_f32_e32 v5, s2, v5
	v_fma_f32 v24, v4, s2, -v25
	v_add_co_u32 v25, vcc_lo, v33, s0
	v_fmac_f32_e32 v5, s3, v4
	v_add_co_ci_u32_e64 v26, null, s1, v34, vcc_lo
	v_add_f32_e32 v4, v6, v24
	v_add_co_u32 v6, vcc_lo, v25, v0
	v_add_f32_e32 v5, v7, v5
	v_add_co_ci_u32_e64 v7, null, v26, v1, vcc_lo
	v_add_co_u32 v24, vcc_lo, v32, s4
	flat_store_dwordx2 v[2:3], v[4:5] offset:384
	flat_load_dwordx2 v[2:3], v[6:7]
	v_mul_f32_e32 v4, s15, v23
	v_mul_f32_e32 v5, s14, v23
	v_add_co_ci_u32_e64 v27, null, s5, v35, vcc_lo
	v_fma_f32 v4, v22, s14, -v4
	v_fmac_f32_e32 v5, s15, v22
	s_waitcnt vmcnt(0) lgkmcnt(0)
	v_mul_f32_e32 v22, s3, v3
	v_mul_f32_e32 v23, s2, v3
	v_fma_f32 v22, v2, s2, -v22
	v_fmac_f32_e32 v23, s3, v2
	v_add_co_u32 v2, vcc_lo, v24, v0
	v_add_co_ci_u32_e64 v3, null, v27, v1, vcc_lo
	v_add_f32_e32 v4, v4, v22
	v_add_f32_e32 v5, v5, v23
	v_mul_f32_e32 v22, s15, v21
	v_mul_f32_e32 v21, s14, v21
	flat_store_dwordx2 v[2:3], v[4:5]
	flat_load_dwordx2 v[4:5], v[6:7] offset:128
	v_fma_f32 v22, v20, s14, -v22
	v_fmac_f32_e32 v21, s15, v20
	s_waitcnt vmcnt(0) lgkmcnt(0)
	v_mul_f32_e32 v23, s3, v5
	v_mul_f32_e32 v5, s2, v5
	v_fma_f32 v20, v4, s2, -v23
	v_fmac_f32_e32 v5, s3, v4
	v_add_f32_e32 v4, v22, v20
	v_add_f32_e32 v5, v21, v5
	v_mul_f32_e32 v20, s15, v19
	v_mul_f32_e32 v19, s14, v19
	flat_store_dwordx2 v[2:3], v[4:5] offset:128
	flat_load_dwordx2 v[4:5], v[6:7] offset:256
	v_fma_f32 v20, v18, s14, -v20
	v_fmac_f32_e32 v19, s15, v18
	s_waitcnt vmcnt(0) lgkmcnt(0)
	v_mul_f32_e32 v21, s3, v5
	v_mul_f32_e32 v5, s2, v5
	v_fma_f32 v18, v4, s2, -v21
	v_fmac_f32_e32 v5, s3, v4
	v_add_f32_e32 v4, v20, v18
	v_add_f32_e32 v5, v19, v5
	flat_store_dwordx2 v[2:3], v[4:5] offset:256
	flat_load_dwordx2 v[4:5], v[6:7] offset:384
	v_mul_f32_e32 v6, s15, v17
	v_mul_f32_e32 v7, s14, v17
	v_fma_f32 v6, v16, s14, -v6
	v_fmac_f32_e32 v7, s15, v16
	s_waitcnt vmcnt(0) lgkmcnt(0)
	v_mul_f32_e32 v17, s3, v5
	v_mul_f32_e32 v5, s2, v5
	v_fma_f32 v16, v4, s2, -v17
	v_add_co_u32 v17, vcc_lo, v25, s0
	v_fmac_f32_e32 v5, s3, v4
	v_add_co_ci_u32_e64 v18, null, s1, v26, vcc_lo
	v_add_f32_e32 v4, v6, v16
	v_add_co_u32 v6, vcc_lo, v17, v0
	v_add_f32_e32 v5, v7, v5
	v_add_co_ci_u32_e64 v7, null, v18, v1, vcc_lo
	flat_store_dwordx2 v[2:3], v[4:5] offset:384
	flat_load_dwordx2 v[2:3], v[6:7]
	v_mul_f32_e32 v4, s15, v15
	v_mul_f32_e32 v5, s14, v15
	v_add_co_u32 v15, vcc_lo, v24, s4
	v_add_co_ci_u32_e64 v16, null, s5, v27, vcc_lo
	v_fma_f32 v4, v14, s14, -v4
	v_fmac_f32_e32 v5, s15, v14
	v_add_co_u32 v0, vcc_lo, v15, v0
	v_add_co_ci_u32_e64 v1, null, v16, v1, vcc_lo
	s_waitcnt vmcnt(0) lgkmcnt(0)
	v_mul_f32_e32 v14, s3, v3
	v_mul_f32_e32 v3, s2, v3
	v_fma_f32 v14, v2, s2, -v14
	v_fmac_f32_e32 v3, s3, v2
	v_add_f32_e32 v2, v4, v14
	v_add_f32_e32 v3, v5, v3
	v_mul_f32_e32 v4, s15, v13
	v_mul_f32_e32 v5, s14, v13
	flat_store_dwordx2 v[0:1], v[2:3]
	flat_load_dwordx2 v[2:3], v[6:7] offset:128
	v_fma_f32 v4, v12, s14, -v4
	v_fmac_f32_e32 v5, s15, v12
	s_waitcnt vmcnt(0) lgkmcnt(0)
	v_mul_f32_e32 v13, s3, v3
	v_mul_f32_e32 v3, s2, v3
	v_fma_f32 v12, v2, s2, -v13
	v_fmac_f32_e32 v3, s3, v2
	v_add_f32_e32 v2, v4, v12
	v_add_f32_e32 v3, v5, v3
	v_mul_f32_e32 v4, s15, v11
	v_mul_f32_e32 v5, s14, v11
	flat_store_dwordx2 v[0:1], v[2:3] offset:128
	flat_load_dwordx2 v[2:3], v[6:7] offset:256
	v_fma_f32 v4, v10, s14, -v4
	v_fmac_f32_e32 v5, s15, v10
	s_waitcnt vmcnt(0) lgkmcnt(0)
	v_mul_f32_e32 v11, s3, v3
	v_mul_f32_e32 v3, s2, v3
	v_fma_f32 v10, v2, s2, -v11
	v_fmac_f32_e32 v3, s3, v2
	v_add_f32_e32 v2, v4, v10
	v_add_f32_e32 v3, v5, v3
	v_mul_f32_e32 v4, s15, v8
	v_mul_f32_e32 v5, s14, v8
	flat_store_dwordx2 v[0:1], v[2:3] offset:256
	flat_load_dwordx2 v[2:3], v[6:7] offset:384
	v_fma_f32 v4, v9, s14, -v4
	v_fmac_f32_e32 v5, s15, v9
	s_waitcnt vmcnt(0) lgkmcnt(0)
	v_mul_f32_e32 v6, s3, v3
	v_mul_f32_e32 v3, s2, v3
	v_fma_f32 v6, v2, s2, -v6
	v_fmac_f32_e32 v3, s3, v2
	v_add_co_u32 v2, vcc_lo, 0x180, v0
	v_add_f32_e32 v4, v4, v6
	v_add_f32_e32 v6, v5, v3
	v_add_co_ci_u32_e64 v3, null, 0, v1, vcc_lo
	flat_store_dword v[0:1], v4 offset:384
.LBB227_7:
	flat_store_dword v[2:3], v6 offset:4
	s_endpgm
	.section	.rodata,"a",@progbits
	.p2align	6, 0x0
	.amdhsa_kernel _ZN12_GLOBAL__N_127rocblas_gemm_batched_kernelI19rocblas_complex_numIfELi16ELi16ELi64ELi64ELi4ELi64ELi4ELi4ELi64ELc67ELc67EKPKS2_S5_KPS2_EEvlllT_PT11_llSA_llS8_PT12_llPT13_lli
		.amdhsa_group_segment_fixed_size 4096
		.amdhsa_private_segment_fixed_size 0
		.amdhsa_kernarg_size 140
		.amdhsa_user_sgpr_count 6
		.amdhsa_user_sgpr_private_segment_buffer 1
		.amdhsa_user_sgpr_dispatch_ptr 0
		.amdhsa_user_sgpr_queue_ptr 0
		.amdhsa_user_sgpr_kernarg_segment_ptr 1
		.amdhsa_user_sgpr_dispatch_id 0
		.amdhsa_user_sgpr_flat_scratch_init 0
		.amdhsa_user_sgpr_private_segment_size 0
		.amdhsa_wavefront_size32 1
		.amdhsa_uses_dynamic_stack 0
		.amdhsa_system_sgpr_private_segment_wavefront_offset 0
		.amdhsa_system_sgpr_workgroup_id_x 1
		.amdhsa_system_sgpr_workgroup_id_y 1
		.amdhsa_system_sgpr_workgroup_id_z 1
		.amdhsa_system_sgpr_workgroup_info 0
		.amdhsa_system_vgpr_workitem_id 1
		.amdhsa_next_free_vgpr 188
		.amdhsa_next_free_sgpr 44
		.amdhsa_reserve_vcc 1
		.amdhsa_reserve_flat_scratch 0
		.amdhsa_float_round_mode_32 0
		.amdhsa_float_round_mode_16_64 0
		.amdhsa_float_denorm_mode_32 3
		.amdhsa_float_denorm_mode_16_64 3
		.amdhsa_dx10_clamp 1
		.amdhsa_ieee_mode 1
		.amdhsa_fp16_overflow 0
		.amdhsa_workgroup_processor_mode 1
		.amdhsa_memory_ordered 1
		.amdhsa_forward_progress 1
		.amdhsa_shared_vgpr_count 0
		.amdhsa_exception_fp_ieee_invalid_op 0
		.amdhsa_exception_fp_denorm_src 0
		.amdhsa_exception_fp_ieee_div_zero 0
		.amdhsa_exception_fp_ieee_overflow 0
		.amdhsa_exception_fp_ieee_underflow 0
		.amdhsa_exception_fp_ieee_inexact 0
		.amdhsa_exception_int_div_zero 0
	.end_amdhsa_kernel
	.section	.text._ZN12_GLOBAL__N_127rocblas_gemm_batched_kernelI19rocblas_complex_numIfELi16ELi16ELi64ELi64ELi4ELi64ELi4ELi4ELi64ELc67ELc67EKPKS2_S5_KPS2_EEvlllT_PT11_llSA_llS8_PT12_llPT13_lli,"axG",@progbits,_ZN12_GLOBAL__N_127rocblas_gemm_batched_kernelI19rocblas_complex_numIfELi16ELi16ELi64ELi64ELi4ELi64ELi4ELi4ELi64ELc67ELc67EKPKS2_S5_KPS2_EEvlllT_PT11_llSA_llS8_PT12_llPT13_lli,comdat
.Lfunc_end227:
	.size	_ZN12_GLOBAL__N_127rocblas_gemm_batched_kernelI19rocblas_complex_numIfELi16ELi16ELi64ELi64ELi4ELi64ELi4ELi4ELi64ELc67ELc67EKPKS2_S5_KPS2_EEvlllT_PT11_llSA_llS8_PT12_llPT13_lli, .Lfunc_end227-_ZN12_GLOBAL__N_127rocblas_gemm_batched_kernelI19rocblas_complex_numIfELi16ELi16ELi64ELi64ELi4ELi64ELi4ELi4ELi64ELc67ELc67EKPKS2_S5_KPS2_EEvlllT_PT11_llSA_llS8_PT12_llPT13_lli
                                        ; -- End function
	.set _ZN12_GLOBAL__N_127rocblas_gemm_batched_kernelI19rocblas_complex_numIfELi16ELi16ELi64ELi64ELi4ELi64ELi4ELi4ELi64ELc67ELc67EKPKS2_S5_KPS2_EEvlllT_PT11_llSA_llS8_PT12_llPT13_lli.num_vgpr, 188
	.set _ZN12_GLOBAL__N_127rocblas_gemm_batched_kernelI19rocblas_complex_numIfELi16ELi16ELi64ELi64ELi4ELi64ELi4ELi4ELi64ELc67ELc67EKPKS2_S5_KPS2_EEvlllT_PT11_llSA_llS8_PT12_llPT13_lli.num_agpr, 0
	.set _ZN12_GLOBAL__N_127rocblas_gemm_batched_kernelI19rocblas_complex_numIfELi16ELi16ELi64ELi64ELi4ELi64ELi4ELi4ELi64ELc67ELc67EKPKS2_S5_KPS2_EEvlllT_PT11_llSA_llS8_PT12_llPT13_lli.numbered_sgpr, 44
	.set _ZN12_GLOBAL__N_127rocblas_gemm_batched_kernelI19rocblas_complex_numIfELi16ELi16ELi64ELi64ELi4ELi64ELi4ELi4ELi64ELc67ELc67EKPKS2_S5_KPS2_EEvlllT_PT11_llSA_llS8_PT12_llPT13_lli.num_named_barrier, 0
	.set _ZN12_GLOBAL__N_127rocblas_gemm_batched_kernelI19rocblas_complex_numIfELi16ELi16ELi64ELi64ELi4ELi64ELi4ELi4ELi64ELc67ELc67EKPKS2_S5_KPS2_EEvlllT_PT11_llSA_llS8_PT12_llPT13_lli.private_seg_size, 0
	.set _ZN12_GLOBAL__N_127rocblas_gemm_batched_kernelI19rocblas_complex_numIfELi16ELi16ELi64ELi64ELi4ELi64ELi4ELi4ELi64ELc67ELc67EKPKS2_S5_KPS2_EEvlllT_PT11_llSA_llS8_PT12_llPT13_lli.uses_vcc, 1
	.set _ZN12_GLOBAL__N_127rocblas_gemm_batched_kernelI19rocblas_complex_numIfELi16ELi16ELi64ELi64ELi4ELi64ELi4ELi4ELi64ELc67ELc67EKPKS2_S5_KPS2_EEvlllT_PT11_llSA_llS8_PT12_llPT13_lli.uses_flat_scratch, 0
	.set _ZN12_GLOBAL__N_127rocblas_gemm_batched_kernelI19rocblas_complex_numIfELi16ELi16ELi64ELi64ELi4ELi64ELi4ELi4ELi64ELc67ELc67EKPKS2_S5_KPS2_EEvlllT_PT11_llSA_llS8_PT12_llPT13_lli.has_dyn_sized_stack, 0
	.set _ZN12_GLOBAL__N_127rocblas_gemm_batched_kernelI19rocblas_complex_numIfELi16ELi16ELi64ELi64ELi4ELi64ELi4ELi4ELi64ELc67ELc67EKPKS2_S5_KPS2_EEvlllT_PT11_llSA_llS8_PT12_llPT13_lli.has_recursion, 0
	.set _ZN12_GLOBAL__N_127rocblas_gemm_batched_kernelI19rocblas_complex_numIfELi16ELi16ELi64ELi64ELi4ELi64ELi4ELi4ELi64ELc67ELc67EKPKS2_S5_KPS2_EEvlllT_PT11_llSA_llS8_PT12_llPT13_lli.has_indirect_call, 0
	.section	.AMDGPU.csdata,"",@progbits
; Kernel info:
; codeLenInByte = 4952
; TotalNumSgprs: 46
; NumVgprs: 188
; ScratchSize: 0
; MemoryBound: 0
; FloatMode: 240
; IeeeMode: 1
; LDSByteSize: 4096 bytes/workgroup (compile time only)
; SGPRBlocks: 0
; VGPRBlocks: 23
; NumSGPRsForWavesPerEU: 46
; NumVGPRsForWavesPerEU: 188
; Occupancy: 5
; WaveLimiterHint : 1
; COMPUTE_PGM_RSRC2:SCRATCH_EN: 0
; COMPUTE_PGM_RSRC2:USER_SGPR: 6
; COMPUTE_PGM_RSRC2:TRAP_HANDLER: 0
; COMPUTE_PGM_RSRC2:TGID_X_EN: 1
; COMPUTE_PGM_RSRC2:TGID_Y_EN: 1
; COMPUTE_PGM_RSRC2:TGID_Z_EN: 1
; COMPUTE_PGM_RSRC2:TIDIG_COMP_CNT: 1
	.section	.text._ZN12_GLOBAL__N_127rocblas_gemm_batched_kernelI19rocblas_complex_numIfELi16ELi16ELi64ELi64ELi4ELi64ELi4ELi4ELi64ELc67ELc78EKPKS2_S5_KPS2_EEvlllT_PT11_llSA_llS8_PT12_llPT13_lli,"axG",@progbits,_ZN12_GLOBAL__N_127rocblas_gemm_batched_kernelI19rocblas_complex_numIfELi16ELi16ELi64ELi64ELi4ELi64ELi4ELi4ELi64ELc67ELc78EKPKS2_S5_KPS2_EEvlllT_PT11_llSA_llS8_PT12_llPT13_lli,comdat
	.globl	_ZN12_GLOBAL__N_127rocblas_gemm_batched_kernelI19rocblas_complex_numIfELi16ELi16ELi64ELi64ELi4ELi64ELi4ELi4ELi64ELc67ELc78EKPKS2_S5_KPS2_EEvlllT_PT11_llSA_llS8_PT12_llPT13_lli ; -- Begin function _ZN12_GLOBAL__N_127rocblas_gemm_batched_kernelI19rocblas_complex_numIfELi16ELi16ELi64ELi64ELi4ELi64ELi4ELi4ELi64ELc67ELc78EKPKS2_S5_KPS2_EEvlllT_PT11_llSA_llS8_PT12_llPT13_lli
	.p2align	8
	.type	_ZN12_GLOBAL__N_127rocblas_gemm_batched_kernelI19rocblas_complex_numIfELi16ELi16ELi64ELi64ELi4ELi64ELi4ELi4ELi64ELc67ELc78EKPKS2_S5_KPS2_EEvlllT_PT11_llSA_llS8_PT12_llPT13_lli,@function
_ZN12_GLOBAL__N_127rocblas_gemm_batched_kernelI19rocblas_complex_numIfELi16ELi16ELi64ELi64ELi4ELi64ELi4ELi4ELi64ELc67ELc78EKPKS2_S5_KPS2_EEvlllT_PT11_llSA_llS8_PT12_llPT13_lli: ; @_ZN12_GLOBAL__N_127rocblas_gemm_batched_kernelI19rocblas_complex_numIfELi16ELi16ELi64ELi64ELi4ELi64ELi4ELi4ELi64ELc67ELc78EKPKS2_S5_KPS2_EEvlllT_PT11_llSA_llS8_PT12_llPT13_lli
; %bb.0:
	s_clause 0x1
	s_load_dwordx8 s[36:43], s[4:5], 0x58
	s_load_dwordx16 s[12:27], s[4:5], 0x10
	s_mov_b32 s9, 0
	s_clause 0x1
	s_load_dwordx4 s[28:31], s[4:5], 0x78
	s_load_dwordx2 s[2:3], s[4:5], 0x50
	s_lshl_b64 s[0:1], s[8:9], 3
	s_mov_b32 s10, s7
	v_mov_b32_e32 v38, 0
	v_mov_b32_e32 v39, 0
	;; [unrolled: 1-line block ×13, first 2 shown]
	s_waitcnt lgkmcnt(0)
	s_add_u32 s4, s36, s0
	s_addc_u32 s5, s37, s1
	s_add_u32 s8, s42, s0
	s_addc_u32 s9, s43, s1
	s_load_dwordx2 s[4:5], s[4:5], 0x0
	s_load_dwordx2 s[8:9], s[8:9], 0x0
	v_cmp_lt_i64_e64 s33, s[12:13], 1
	v_mov_b32_e32 v27, 0
	v_mov_b32_e32 v24, 0
	;; [unrolled: 1-line block ×19, first 2 shown]
	s_ashr_i32 s7, s6, 31
	s_ashr_i32 s11, s10, 31
	s_lshl_b64 s[6:7], s[6:7], 6
	s_and_b32 vcc_lo, exec_lo, s33
	s_lshl_b64 s[10:11], s[10:11], 6
	s_cbranch_vccnz .LBB228_3
; %bb.1:
	v_lshl_add_u32 v2, v1, 4, v0
	s_add_u32 s16, s16, s0
	s_addc_u32 s17, s17, s1
	s_add_u32 s0, s22, s0
	v_and_b32_e32 v3, 3, v0
	v_and_b32_e32 v6, 63, v2
	v_lshrrev_b32_e32 v7, 2, v2
	v_lshrrev_b32_e32 v10, 6, v2
	s_load_dwordx2 s[16:17], s[16:17], 0x0
	v_lshlrev_b32_e32 v11, 3, v3
	v_add_co_u32 v4, s22, s6, v6
	v_add_co_ci_u32_e64 v5, null, s7, 0, s22
	v_add_co_u32 v8, s22, v7, s10
	v_add_co_ci_u32_e64 v9, null, 0, s11, s22
	v_mul_lo_u32 v12, s19, v4
	v_mul_lo_u32 v13, s18, v5
	v_mad_u64_u32 v[2:3], null, s18, v4, 0
	v_mul_lo_u32 v14, s25, v8
	v_mul_lo_u32 v9, s24, v9
	v_mad_u64_u32 v[4:5], null, s24, v8, 0
	s_addc_u32 s1, s23, s1
	v_lshlrev_b32_e32 v6, 3, v6
	v_add3_u32 v3, v3, v13, v12
	s_load_dwordx2 s[0:1], s[0:1], 0x0
	s_lshl_b64 s[18:19], s[20:21], 3
	v_lshl_or_b32 v7, v7, 5, v11
	v_add3_u32 v5, v5, v9, v14
	v_lshlrev_b64 v[2:3], 3, v[2:3]
	v_lshl_or_b32 v40, v10, 9, v6
	v_lshlrev_b32_e32 v6, 3, v10
	v_mov_b32_e32 v8, 0
	v_lshlrev_b64 v[4:5], 3, v[4:5]
	v_add_nc_u32_e32 v41, 0x800, v7
	v_add_co_u32 v2, vcc_lo, v2, s18
	v_add_co_ci_u32_e64 v3, null, s19, v3, vcc_lo
	s_lshl_b64 s[18:19], s[26:27], 3
	v_lshlrev_b32_e32 v42, 3, v0
	v_add_co_u32 v4, vcc_lo, v4, s18
	v_add_co_ci_u32_e64 v5, null, s19, v5, vcc_lo
	v_add_co_u32 v2, vcc_lo, v2, v6
	v_add_co_ci_u32_e64 v3, null, 0, v3, vcc_lo
	;; [unrolled: 2-line block ×3, first 2 shown]
	s_waitcnt lgkmcnt(0)
	v_add_co_u32 v2, vcc_lo, s16, v2
	v_add_co_ci_u32_e64 v3, null, s17, v3, vcc_lo
	v_add_co_u32 v4, vcc_lo, s0, v4
	v_lshl_add_u32 v43, v1, 5, 0x800
	v_add_co_ci_u32_e64 v5, null, s1, v5, vcc_lo
	v_mov_b32_e32 v9, 0
	v_mov_b32_e32 v11, 0
	;; [unrolled: 1-line block ×31, first 2 shown]
	s_mov_b64 s[16:17], 0
.LBB228_2:                              ; =>This Inner Loop Header: Depth=1
	flat_load_dwordx2 v[6:7], v[2:3]
	s_add_u32 s16, s16, 4
	s_addc_u32 s17, s17, 0
	v_add_co_u32 v2, vcc_lo, v2, 32
	v_cmp_lt_i64_e64 s0, s[16:17], s[12:13]
	v_add_co_ci_u32_e64 v3, null, 0, v3, vcc_lo
	s_and_b32 vcc_lo, exec_lo, s0
	s_waitcnt vmcnt(0) lgkmcnt(0)
	v_xor_b32_e32 v7, 0x80000000, v7
	ds_write_b64 v40, v[6:7]
	flat_load_dwordx2 v[6:7], v[4:5]
	v_add_co_u32 v4, s0, v4, 32
	v_add_co_ci_u32_e64 v5, null, 0, v5, s0
	s_waitcnt vmcnt(0) lgkmcnt(0)
	ds_write_b64 v41, v[6:7]
	s_waitcnt lgkmcnt(0)
	s_barrier
	buffer_gl0_inv
	ds_read_b128 v[44:47], v43
	ds_read2_b64 v[48:51], v42 offset1:16
	ds_read_b128 v[52:55], v43 offset:512
	ds_read_b128 v[56:59], v43 offset:16
	;; [unrolled: 1-line block ×7, first 2 shown]
	ds_read2_b64 v[80:83], v42 offset0:32 offset1:48
	ds_read2_b64 v[84:87], v42 offset0:64 offset1:80
	;; [unrolled: 1-line block ×7, first 2 shown]
	s_waitcnt lgkmcnt(0)
	s_barrier
	buffer_gl0_inv
	v_mul_f32_e32 v6, v45, v49
	v_mul_f32_e32 v7, v44, v49
	;; [unrolled: 1-line block ×64, first 2 shown]
	v_fma_f32 v6, v44, v48, -v6
	v_fmac_f32_e32 v7, v45, v48
	v_fma_f32 v108, v44, v50, -v108
	v_fmac_f32_e32 v109, v45, v50
	;; [unrolled: 2-line block ×16, first 2 shown]
	v_mul_f32_e32 v162, v57, v93
	v_mul_f32_e32 v163, v56, v93
	;; [unrolled: 1-line block ×28, first 2 shown]
	v_fma_f32 v124, v46, v84, -v134
	v_fmac_f32_e32 v135, v47, v84
	v_fma_f32 v126, v46, v86, -v136
	v_fmac_f32_e32 v137, v47, v86
	;; [unrolled: 2-line block ×4, first 2 shown]
	v_mul_f32_e32 v47, v77, v97
	v_mul_f32_e32 v97, v76, v97
	;; [unrolled: 1-line block ×4, first 2 shown]
	v_fma_f32 v132, v54, v84, -v142
	v_fmac_f32_e32 v143, v55, v84
	v_fma_f32 v133, v54, v86, -v144
	v_fmac_f32_e32 v145, v55, v86
	;; [unrolled: 2-line block ×4, first 2 shown]
	v_mul_f32_e32 v136, v58, v101
	v_mul_f32_e32 v140, v58, v103
	v_fma_f32 v142, v66, v84, -v150
	v_fmac_f32_e32 v151, v67, v84
	v_fma_f32 v144, v66, v86, -v152
	v_fmac_f32_e32 v153, v67, v86
	;; [unrolled: 2-line block ×4, first 2 shown]
	v_mul_f32_e32 v148, v58, v105
	v_mul_f32_e32 v152, v58, v107
	v_fma_f32 v154, v74, v84, -v158
	v_fmac_f32_e32 v85, v75, v84
	v_fma_f32 v84, v74, v86, -v159
	v_fmac_f32_e32 v87, v75, v86
	;; [unrolled: 2-line block ×4, first 2 shown]
	v_add_f32_e32 v6, v38, v6
	v_add_f32_e32 v7, v39, v7
	;; [unrolled: 1-line block ×32, first 2 shown]
	v_mul_f32_e32 v55, v59, v101
	v_mul_f32_e32 v138, v59, v103
	;; [unrolled: 1-line block ×16, first 2 shown]
	v_fma_f32 v162, v56, v92, -v162
	v_fmac_f32_e32 v163, v57, v92
	v_fma_f32 v164, v56, v94, -v164
	v_fmac_f32_e32 v165, v57, v94
	;; [unrolled: 2-line block ×8, first 2 shown]
	v_mul_f32_e32 v94, v71, v105
	v_mul_f32_e32 v175, v70, v105
	;; [unrolled: 1-line block ×4, first 2 shown]
	v_fma_f32 v176, v56, v96, -v176
	v_fmac_f32_e32 v177, v57, v96
	v_fma_f32 v56, v56, v98, -v178
	v_fmac_f32_e32 v179, v57, v98
	;; [unrolled: 2-line block ×8, first 2 shown]
	v_mul_f32_e32 v69, v79, v101
	v_mul_f32_e32 v73, v78, v101
	;; [unrolled: 1-line block ×4, first 2 shown]
	v_fmac_f32_e32 v136, v59, v100
	v_fmac_f32_e32 v140, v59, v102
	;; [unrolled: 1-line block ×4, first 2 shown]
	v_mul_f32_e32 v59, v79, v105
	v_mul_f32_e32 v96, v78, v105
	;; [unrolled: 1-line block ×4, first 2 shown]
	v_add_f32_e32 v6, v6, v124
	v_add_f32_e32 v7, v7, v135
	;; [unrolled: 1-line block ×32, first 2 shown]
	v_fma_f32 v55, v58, v100, -v55
	v_fma_f32 v82, v58, v102, -v138
	;; [unrolled: 1-line block ×5, first 2 shown]
	v_fmac_f32_e32 v156, v63, v100
	v_fma_f32 v103, v62, v102, -v158
	v_fmac_f32_e32 v159, v63, v102
	v_fma_f32 v75, v62, v104, -v75
	;; [unrolled: 2-line block ×11, first 2 shown]
	v_fmac_f32_e32 v101, v79, v106
	v_add_f32_e32 v6, v6, v162
	v_add_f32_e32 v7, v7, v163
	;; [unrolled: 1-line block ×64, first 2 shown]
	s_cbranch_vccnz .LBB228_2
.LBB228_3:
	s_lshl_b64 s[0:1], s[30:31], 3
	s_waitcnt lgkmcnt(0)
	s_add_u32 s8, s8, s0
	s_addc_u32 s9, s9, s1
	v_add_co_u32 v4, s1, s10, v1
	v_add_co_ci_u32_e64 v5, null, s11, 0, s1
	v_add_co_u32 v0, s1, s6, v0
	s_or_b32 s0, s2, s3
	v_add_co_ci_u32_e64 v1, null, s7, 0, s1
	s_bitset0_b32 s0, 31
	s_mov_b32 s6, 0
	s_cmp_lg_u32 s0, 0
	s_cbranch_scc1 .LBB228_5
; %bb.4:
	v_mul_lo_u32 v6, v5, s28
	v_mul_lo_u32 v40, v4, s29
	v_mad_u64_u32 v[2:3], null, v4, s28, 0
	v_mul_f32_e32 v42, s15, v39
	v_mul_f32_e32 v7, s14, v39
	;; [unrolled: 1-line block ×6, first 2 shown]
	v_add3_u32 v3, v3, v40, v6
	v_lshlrev_b64 v[40:41], 3, v[0:1]
	v_mul_f32_e32 v48, s15, v33
	v_mul_f32_e32 v47, s14, v33
	v_fma_f32 v6, v38, s14, -v42
	v_lshlrev_b64 v[2:3], 3, v[2:3]
	v_fmac_f32_e32 v7, s15, v38
	v_fma_f32 v42, v36, s14, -v44
	v_fmac_f32_e32 v43, s15, v36
	s_lshl_b64 s[0:1], s[28:29], 7
	v_fma_f32 v44, v34, s14, -v46
	v_add_co_u32 v49, vcc_lo, s8, v2
	v_add_co_ci_u32_e64 v50, null, s9, v3, vcc_lo
	v_fmac_f32_e32 v45, s15, v34
	v_add_co_u32 v2, vcc_lo, v49, v40
	v_add_co_ci_u32_e64 v3, null, v50, v41, vcc_lo
	v_fma_f32 v46, v32, s14, -v48
	v_fmac_f32_e32 v47, s15, v32
	v_add_co_u32 v48, vcc_lo, v49, s0
	flat_store_dwordx2 v[2:3], v[6:7]
	flat_store_dwordx2 v[2:3], v[42:43] offset:128
	flat_store_dwordx2 v[2:3], v[44:45] offset:256
	;; [unrolled: 1-line block ×3, first 2 shown]
	v_mul_f32_e32 v2, s15, v31
	v_mul_f32_e32 v3, s14, v31
	v_add_co_ci_u32_e64 v49, null, s1, v50, vcc_lo
	v_mul_f32_e32 v6, s15, v29
	v_mul_f32_e32 v7, s14, v29
	;; [unrolled: 1-line block ×4, first 2 shown]
	v_add_co_u32 v44, vcc_lo, v48, v40
	v_fma_f32 v2, v30, s14, -v2
	v_fmac_f32_e32 v3, s15, v30
	v_add_co_ci_u32_e64 v45, null, v49, v41, vcc_lo
	v_fma_f32 v6, v28, s14, -v6
	v_fmac_f32_e32 v7, s15, v28
	v_fma_f32 v42, v26, s14, -v42
	v_fmac_f32_e32 v43, s15, v26
	v_add_co_u32 v52, vcc_lo, v48, s0
	v_mul_f32_e32 v46, s15, v25
	v_mul_f32_e32 v47, s14, v25
	flat_store_dwordx2 v[44:45], v[2:3]
	flat_store_dwordx2 v[44:45], v[6:7] offset:128
	flat_store_dwordx2 v[44:45], v[42:43] offset:256
	v_mul_f32_e32 v2, s15, v23
	v_mul_f32_e32 v3, s14, v23
	v_add_co_ci_u32_e64 v53, null, s1, v49, vcc_lo
	v_mul_f32_e32 v42, s15, v21
	v_mul_f32_e32 v43, s14, v21
	;; [unrolled: 1-line block ×4, first 2 shown]
	v_add_co_u32 v6, vcc_lo, v52, v40
	v_mul_f32_e32 v50, s15, v17
	v_mul_f32_e32 v51, s14, v17
	v_fma_f32 v46, v24, s14, -v46
	v_fmac_f32_e32 v47, s15, v24
	v_fma_f32 v2, v22, s14, -v2
	v_fmac_f32_e32 v3, s15, v22
	v_add_co_ci_u32_e64 v7, null, v53, v41, vcc_lo
	v_fma_f32 v42, v20, s14, -v42
	v_fmac_f32_e32 v43, s15, v20
	v_fma_f32 v48, v18, s14, -v48
	v_fmac_f32_e32 v49, s15, v18
	;; [unrolled: 2-line block ×3, first 2 shown]
	flat_store_dwordx2 v[44:45], v[46:47] offset:384
	flat_store_dwordx2 v[6:7], v[2:3]
	flat_store_dwordx2 v[6:7], v[42:43] offset:128
	flat_store_dwordx2 v[6:7], v[48:49] offset:256
	;; [unrolled: 1-line block ×3, first 2 shown]
	v_mul_f32_e32 v2, s15, v15
	v_add_co_u32 v3, vcc_lo, v52, s0
	v_add_co_ci_u32_e64 v6, null, s1, v53, vcc_lo
	v_fma_f32 v42, v14, s14, -v2
	v_mul_f32_e32 v2, s15, v13
	v_add_co_u32 v40, vcc_lo, v3, v40
	v_mul_f32_e32 v43, s14, v15
	v_add_co_ci_u32_e64 v41, null, v6, v41, vcc_lo
	v_fma_f32 v44, v12, s14, -v2
	v_mul_f32_e32 v2, s15, v11
	v_mul_f32_e32 v3, s15, v8
	;; [unrolled: 1-line block ×5, first 2 shown]
	v_fma_f32 v46, v10, s14, -v2
	v_add_co_u32 v2, vcc_lo, 0x180, v40
	v_fmac_f32_e32 v43, s15, v14
	v_fma_f32 v7, v9, s14, -v3
	v_fmac_f32_e32 v6, s15, v9
	v_add_co_ci_u32_e64 v3, null, 0, v41, vcc_lo
	v_fmac_f32_e32 v45, s15, v12
	v_fmac_f32_e32 v47, s15, v10
	flat_store_dwordx2 v[40:41], v[42:43]
	flat_store_dwordx2 v[40:41], v[44:45] offset:128
	flat_store_dwordx2 v[40:41], v[46:47] offset:256
	flat_store_dword v[40:41], v7 offset:384
	s_andn2_b32 vcc_lo, exec_lo, s6
	s_cbranch_vccz .LBB228_6
	s_branch .LBB228_7
.LBB228_5:
                                        ; implicit-def: $vgpr6
                                        ; implicit-def: $vgpr2_vgpr3
.LBB228_6:
	v_mul_lo_u32 v6, v5, s38
	v_mul_lo_u32 v7, v4, s39
	v_mad_u64_u32 v[2:3], null, v4, s38, 0
	s_lshl_b64 s[0:1], s[40:41], 3
	v_lshlrev_b64 v[0:1], 3, v[0:1]
	s_add_u32 s0, s4, s0
	s_addc_u32 s1, s5, s1
	v_mul_lo_u32 v42, v5, s28
	v_mul_lo_u32 v43, v4, s29
	v_add3_u32 v3, v3, v7, v6
	v_mad_u64_u32 v[4:5], null, v4, s28, 0
	s_lshl_b64 s[4:5], s[28:29], 7
	v_lshlrev_b64 v[2:3], 3, v[2:3]
	v_add3_u32 v5, v5, v43, v42
	v_mul_f32_e32 v42, s15, v39
	v_add_co_u32 v40, vcc_lo, s0, v2
	v_add_co_ci_u32_e64 v41, null, s1, v3, vcc_lo
	v_mul_f32_e32 v39, s14, v39
	v_add_co_u32 v2, vcc_lo, v40, v0
	v_add_co_ci_u32_e64 v3, null, v41, v1, vcc_lo
	v_lshlrev_b64 v[4:5], 3, v[4:5]
	v_fma_f32 v42, v38, s14, -v42
	v_fmac_f32_e32 v39, s15, v38
	flat_load_dwordx2 v[6:7], v[2:3]
	s_lshl_b64 s[0:1], s[38:39], 7
	v_add_co_u32 v43, vcc_lo, s8, v4
	v_add_co_ci_u32_e64 v44, null, s9, v5, vcc_lo
	v_add_co_u32 v4, vcc_lo, v43, v0
	v_add_co_ci_u32_e64 v5, null, v44, v1, vcc_lo
	s_waitcnt vmcnt(0) lgkmcnt(0)
	v_mul_f32_e32 v38, s3, v7
	v_mul_f32_e32 v7, s2, v7
	v_fma_f32 v38, v6, s2, -v38
	v_fmac_f32_e32 v7, s3, v6
	v_add_f32_e32 v6, v42, v38
	v_add_f32_e32 v7, v39, v7
	v_mul_f32_e32 v38, s15, v37
	v_mul_f32_e32 v37, s14, v37
	flat_store_dwordx2 v[4:5], v[6:7]
	flat_load_dwordx2 v[6:7], v[2:3] offset:128
	v_fma_f32 v38, v36, s14, -v38
	v_fmac_f32_e32 v37, s15, v36
	s_waitcnt vmcnt(0) lgkmcnt(0)
	v_mul_f32_e32 v39, s3, v7
	v_mul_f32_e32 v7, s2, v7
	v_fma_f32 v36, v6, s2, -v39
	v_fmac_f32_e32 v7, s3, v6
	v_add_f32_e32 v6, v38, v36
	v_add_f32_e32 v7, v37, v7
	v_mul_f32_e32 v36, s15, v35
	v_mul_f32_e32 v35, s14, v35
	flat_store_dwordx2 v[4:5], v[6:7] offset:128
	flat_load_dwordx2 v[6:7], v[2:3] offset:256
	v_fma_f32 v36, v34, s14, -v36
	v_fmac_f32_e32 v35, s15, v34
	s_waitcnt vmcnt(0) lgkmcnt(0)
	v_mul_f32_e32 v37, s3, v7
	v_mul_f32_e32 v7, s2, v7
	v_fma_f32 v34, v6, s2, -v37
	v_fmac_f32_e32 v7, s3, v6
	v_add_f32_e32 v6, v36, v34
	v_add_f32_e32 v7, v35, v7
	flat_store_dwordx2 v[4:5], v[6:7] offset:256
	flat_load_dwordx2 v[2:3], v[2:3] offset:384
	v_mul_f32_e32 v6, s15, v33
	v_mul_f32_e32 v7, s14, v33
	v_fma_f32 v6, v32, s14, -v6
	v_fmac_f32_e32 v7, s15, v32
	s_waitcnt vmcnt(0) lgkmcnt(0)
	v_mul_f32_e32 v33, s3, v3
	v_mul_f32_e32 v3, s2, v3
	v_fma_f32 v32, v2, s2, -v33
	v_add_co_u32 v33, vcc_lo, v40, s0
	v_fmac_f32_e32 v3, s3, v2
	v_add_co_ci_u32_e64 v34, null, s1, v41, vcc_lo
	v_add_f32_e32 v2, v6, v32
	v_add_co_u32 v6, vcc_lo, v33, v0
	v_add_f32_e32 v3, v7, v3
	v_add_co_ci_u32_e64 v7, null, v34, v1, vcc_lo
	v_add_co_u32 v32, vcc_lo, v43, s4
	flat_store_dwordx2 v[4:5], v[2:3] offset:384
	flat_load_dwordx2 v[2:3], v[6:7]
	v_mul_f32_e32 v4, s15, v31
	v_mul_f32_e32 v5, s14, v31
	v_add_co_ci_u32_e64 v35, null, s5, v44, vcc_lo
	v_fma_f32 v4, v30, s14, -v4
	v_fmac_f32_e32 v5, s15, v30
	s_waitcnt vmcnt(0) lgkmcnt(0)
	v_mul_f32_e32 v30, s3, v3
	v_mul_f32_e32 v31, s2, v3
	v_fma_f32 v30, v2, s2, -v30
	v_fmac_f32_e32 v31, s3, v2
	v_add_co_u32 v2, vcc_lo, v32, v0
	v_add_co_ci_u32_e64 v3, null, v35, v1, vcc_lo
	v_add_f32_e32 v4, v4, v30
	v_add_f32_e32 v5, v5, v31
	v_mul_f32_e32 v30, s15, v29
	v_mul_f32_e32 v29, s14, v29
	flat_store_dwordx2 v[2:3], v[4:5]
	flat_load_dwordx2 v[4:5], v[6:7] offset:128
	v_fma_f32 v30, v28, s14, -v30
	v_fmac_f32_e32 v29, s15, v28
	s_waitcnt vmcnt(0) lgkmcnt(0)
	v_mul_f32_e32 v31, s3, v5
	v_mul_f32_e32 v5, s2, v5
	v_fma_f32 v28, v4, s2, -v31
	v_fmac_f32_e32 v5, s3, v4
	v_add_f32_e32 v4, v30, v28
	v_add_f32_e32 v5, v29, v5
	v_mul_f32_e32 v28, s15, v27
	v_mul_f32_e32 v27, s14, v27
	flat_store_dwordx2 v[2:3], v[4:5] offset:128
	flat_load_dwordx2 v[4:5], v[6:7] offset:256
	v_fma_f32 v28, v26, s14, -v28
	v_fmac_f32_e32 v27, s15, v26
	s_waitcnt vmcnt(0) lgkmcnt(0)
	v_mul_f32_e32 v29, s3, v5
	v_mul_f32_e32 v5, s2, v5
	v_fma_f32 v26, v4, s2, -v29
	v_fmac_f32_e32 v5, s3, v4
	v_add_f32_e32 v4, v28, v26
	v_add_f32_e32 v5, v27, v5
	flat_store_dwordx2 v[2:3], v[4:5] offset:256
	flat_load_dwordx2 v[4:5], v[6:7] offset:384
	v_mul_f32_e32 v6, s15, v25
	v_mul_f32_e32 v7, s14, v25
	v_fma_f32 v6, v24, s14, -v6
	v_fmac_f32_e32 v7, s15, v24
	s_waitcnt vmcnt(0) lgkmcnt(0)
	v_mul_f32_e32 v25, s3, v5
	v_mul_f32_e32 v5, s2, v5
	v_fma_f32 v24, v4, s2, -v25
	v_add_co_u32 v25, vcc_lo, v33, s0
	v_fmac_f32_e32 v5, s3, v4
	v_add_co_ci_u32_e64 v26, null, s1, v34, vcc_lo
	v_add_f32_e32 v4, v6, v24
	v_add_co_u32 v6, vcc_lo, v25, v0
	v_add_f32_e32 v5, v7, v5
	v_add_co_ci_u32_e64 v7, null, v26, v1, vcc_lo
	v_add_co_u32 v24, vcc_lo, v32, s4
	flat_store_dwordx2 v[2:3], v[4:5] offset:384
	flat_load_dwordx2 v[2:3], v[6:7]
	v_mul_f32_e32 v4, s15, v23
	v_mul_f32_e32 v5, s14, v23
	v_add_co_ci_u32_e64 v27, null, s5, v35, vcc_lo
	v_fma_f32 v4, v22, s14, -v4
	v_fmac_f32_e32 v5, s15, v22
	s_waitcnt vmcnt(0) lgkmcnt(0)
	v_mul_f32_e32 v22, s3, v3
	v_mul_f32_e32 v23, s2, v3
	v_fma_f32 v22, v2, s2, -v22
	v_fmac_f32_e32 v23, s3, v2
	v_add_co_u32 v2, vcc_lo, v24, v0
	v_add_co_ci_u32_e64 v3, null, v27, v1, vcc_lo
	v_add_f32_e32 v4, v4, v22
	v_add_f32_e32 v5, v5, v23
	v_mul_f32_e32 v22, s15, v21
	v_mul_f32_e32 v21, s14, v21
	flat_store_dwordx2 v[2:3], v[4:5]
	flat_load_dwordx2 v[4:5], v[6:7] offset:128
	v_fma_f32 v22, v20, s14, -v22
	v_fmac_f32_e32 v21, s15, v20
	s_waitcnt vmcnt(0) lgkmcnt(0)
	v_mul_f32_e32 v23, s3, v5
	v_mul_f32_e32 v5, s2, v5
	v_fma_f32 v20, v4, s2, -v23
	v_fmac_f32_e32 v5, s3, v4
	v_add_f32_e32 v4, v22, v20
	v_add_f32_e32 v5, v21, v5
	v_mul_f32_e32 v20, s15, v19
	v_mul_f32_e32 v19, s14, v19
	flat_store_dwordx2 v[2:3], v[4:5] offset:128
	flat_load_dwordx2 v[4:5], v[6:7] offset:256
	v_fma_f32 v20, v18, s14, -v20
	v_fmac_f32_e32 v19, s15, v18
	s_waitcnt vmcnt(0) lgkmcnt(0)
	v_mul_f32_e32 v21, s3, v5
	v_mul_f32_e32 v5, s2, v5
	v_fma_f32 v18, v4, s2, -v21
	v_fmac_f32_e32 v5, s3, v4
	v_add_f32_e32 v4, v20, v18
	v_add_f32_e32 v5, v19, v5
	flat_store_dwordx2 v[2:3], v[4:5] offset:256
	flat_load_dwordx2 v[4:5], v[6:7] offset:384
	v_mul_f32_e32 v6, s15, v17
	v_mul_f32_e32 v7, s14, v17
	v_fma_f32 v6, v16, s14, -v6
	v_fmac_f32_e32 v7, s15, v16
	s_waitcnt vmcnt(0) lgkmcnt(0)
	v_mul_f32_e32 v17, s3, v5
	v_mul_f32_e32 v5, s2, v5
	v_fma_f32 v16, v4, s2, -v17
	v_add_co_u32 v17, vcc_lo, v25, s0
	v_fmac_f32_e32 v5, s3, v4
	v_add_co_ci_u32_e64 v18, null, s1, v26, vcc_lo
	v_add_f32_e32 v4, v6, v16
	v_add_co_u32 v6, vcc_lo, v17, v0
	v_add_f32_e32 v5, v7, v5
	v_add_co_ci_u32_e64 v7, null, v18, v1, vcc_lo
	flat_store_dwordx2 v[2:3], v[4:5] offset:384
	flat_load_dwordx2 v[2:3], v[6:7]
	v_mul_f32_e32 v4, s15, v15
	v_mul_f32_e32 v5, s14, v15
	v_add_co_u32 v15, vcc_lo, v24, s4
	v_add_co_ci_u32_e64 v16, null, s5, v27, vcc_lo
	v_fma_f32 v4, v14, s14, -v4
	v_fmac_f32_e32 v5, s15, v14
	v_add_co_u32 v0, vcc_lo, v15, v0
	v_add_co_ci_u32_e64 v1, null, v16, v1, vcc_lo
	s_waitcnt vmcnt(0) lgkmcnt(0)
	v_mul_f32_e32 v14, s3, v3
	v_mul_f32_e32 v3, s2, v3
	v_fma_f32 v14, v2, s2, -v14
	v_fmac_f32_e32 v3, s3, v2
	v_add_f32_e32 v2, v4, v14
	v_add_f32_e32 v3, v5, v3
	v_mul_f32_e32 v4, s15, v13
	v_mul_f32_e32 v5, s14, v13
	flat_store_dwordx2 v[0:1], v[2:3]
	flat_load_dwordx2 v[2:3], v[6:7] offset:128
	v_fma_f32 v4, v12, s14, -v4
	v_fmac_f32_e32 v5, s15, v12
	s_waitcnt vmcnt(0) lgkmcnt(0)
	v_mul_f32_e32 v13, s3, v3
	v_mul_f32_e32 v3, s2, v3
	v_fma_f32 v12, v2, s2, -v13
	v_fmac_f32_e32 v3, s3, v2
	v_add_f32_e32 v2, v4, v12
	v_add_f32_e32 v3, v5, v3
	v_mul_f32_e32 v4, s15, v11
	v_mul_f32_e32 v5, s14, v11
	flat_store_dwordx2 v[0:1], v[2:3] offset:128
	flat_load_dwordx2 v[2:3], v[6:7] offset:256
	v_fma_f32 v4, v10, s14, -v4
	v_fmac_f32_e32 v5, s15, v10
	s_waitcnt vmcnt(0) lgkmcnt(0)
	v_mul_f32_e32 v11, s3, v3
	v_mul_f32_e32 v3, s2, v3
	v_fma_f32 v10, v2, s2, -v11
	v_fmac_f32_e32 v3, s3, v2
	v_add_f32_e32 v2, v4, v10
	v_add_f32_e32 v3, v5, v3
	v_mul_f32_e32 v4, s15, v8
	v_mul_f32_e32 v5, s14, v8
	flat_store_dwordx2 v[0:1], v[2:3] offset:256
	flat_load_dwordx2 v[2:3], v[6:7] offset:384
	v_fma_f32 v4, v9, s14, -v4
	v_fmac_f32_e32 v5, s15, v9
	s_waitcnt vmcnt(0) lgkmcnt(0)
	v_mul_f32_e32 v6, s3, v3
	v_mul_f32_e32 v3, s2, v3
	v_fma_f32 v6, v2, s2, -v6
	v_fmac_f32_e32 v3, s3, v2
	v_add_co_u32 v2, vcc_lo, 0x180, v0
	v_add_f32_e32 v4, v4, v6
	v_add_f32_e32 v6, v5, v3
	v_add_co_ci_u32_e64 v3, null, 0, v1, vcc_lo
	flat_store_dword v[0:1], v4 offset:384
.LBB228_7:
	flat_store_dword v[2:3], v6 offset:4
	s_endpgm
	.section	.rodata,"a",@progbits
	.p2align	6, 0x0
	.amdhsa_kernel _ZN12_GLOBAL__N_127rocblas_gemm_batched_kernelI19rocblas_complex_numIfELi16ELi16ELi64ELi64ELi4ELi64ELi4ELi4ELi64ELc67ELc78EKPKS2_S5_KPS2_EEvlllT_PT11_llSA_llS8_PT12_llPT13_lli
		.amdhsa_group_segment_fixed_size 4096
		.amdhsa_private_segment_fixed_size 0
		.amdhsa_kernarg_size 140
		.amdhsa_user_sgpr_count 6
		.amdhsa_user_sgpr_private_segment_buffer 1
		.amdhsa_user_sgpr_dispatch_ptr 0
		.amdhsa_user_sgpr_queue_ptr 0
		.amdhsa_user_sgpr_kernarg_segment_ptr 1
		.amdhsa_user_sgpr_dispatch_id 0
		.amdhsa_user_sgpr_flat_scratch_init 0
		.amdhsa_user_sgpr_private_segment_size 0
		.amdhsa_wavefront_size32 1
		.amdhsa_uses_dynamic_stack 0
		.amdhsa_system_sgpr_private_segment_wavefront_offset 0
		.amdhsa_system_sgpr_workgroup_id_x 1
		.amdhsa_system_sgpr_workgroup_id_y 1
		.amdhsa_system_sgpr_workgroup_id_z 1
		.amdhsa_system_sgpr_workgroup_info 0
		.amdhsa_system_vgpr_workitem_id 1
		.amdhsa_next_free_vgpr 188
		.amdhsa_next_free_sgpr 44
		.amdhsa_reserve_vcc 1
		.amdhsa_reserve_flat_scratch 0
		.amdhsa_float_round_mode_32 0
		.amdhsa_float_round_mode_16_64 0
		.amdhsa_float_denorm_mode_32 3
		.amdhsa_float_denorm_mode_16_64 3
		.amdhsa_dx10_clamp 1
		.amdhsa_ieee_mode 1
		.amdhsa_fp16_overflow 0
		.amdhsa_workgroup_processor_mode 1
		.amdhsa_memory_ordered 1
		.amdhsa_forward_progress 1
		.amdhsa_shared_vgpr_count 0
		.amdhsa_exception_fp_ieee_invalid_op 0
		.amdhsa_exception_fp_denorm_src 0
		.amdhsa_exception_fp_ieee_div_zero 0
		.amdhsa_exception_fp_ieee_overflow 0
		.amdhsa_exception_fp_ieee_underflow 0
		.amdhsa_exception_fp_ieee_inexact 0
		.amdhsa_exception_int_div_zero 0
	.end_amdhsa_kernel
	.section	.text._ZN12_GLOBAL__N_127rocblas_gemm_batched_kernelI19rocblas_complex_numIfELi16ELi16ELi64ELi64ELi4ELi64ELi4ELi4ELi64ELc67ELc78EKPKS2_S5_KPS2_EEvlllT_PT11_llSA_llS8_PT12_llPT13_lli,"axG",@progbits,_ZN12_GLOBAL__N_127rocblas_gemm_batched_kernelI19rocblas_complex_numIfELi16ELi16ELi64ELi64ELi4ELi64ELi4ELi4ELi64ELc67ELc78EKPKS2_S5_KPS2_EEvlllT_PT11_llSA_llS8_PT12_llPT13_lli,comdat
.Lfunc_end228:
	.size	_ZN12_GLOBAL__N_127rocblas_gemm_batched_kernelI19rocblas_complex_numIfELi16ELi16ELi64ELi64ELi4ELi64ELi4ELi4ELi64ELc67ELc78EKPKS2_S5_KPS2_EEvlllT_PT11_llSA_llS8_PT12_llPT13_lli, .Lfunc_end228-_ZN12_GLOBAL__N_127rocblas_gemm_batched_kernelI19rocblas_complex_numIfELi16ELi16ELi64ELi64ELi4ELi64ELi4ELi4ELi64ELc67ELc78EKPKS2_S5_KPS2_EEvlllT_PT11_llSA_llS8_PT12_llPT13_lli
                                        ; -- End function
	.set _ZN12_GLOBAL__N_127rocblas_gemm_batched_kernelI19rocblas_complex_numIfELi16ELi16ELi64ELi64ELi4ELi64ELi4ELi4ELi64ELc67ELc78EKPKS2_S5_KPS2_EEvlllT_PT11_llSA_llS8_PT12_llPT13_lli.num_vgpr, 188
	.set _ZN12_GLOBAL__N_127rocblas_gemm_batched_kernelI19rocblas_complex_numIfELi16ELi16ELi64ELi64ELi4ELi64ELi4ELi4ELi64ELc67ELc78EKPKS2_S5_KPS2_EEvlllT_PT11_llSA_llS8_PT12_llPT13_lli.num_agpr, 0
	.set _ZN12_GLOBAL__N_127rocblas_gemm_batched_kernelI19rocblas_complex_numIfELi16ELi16ELi64ELi64ELi4ELi64ELi4ELi4ELi64ELc67ELc78EKPKS2_S5_KPS2_EEvlllT_PT11_llSA_llS8_PT12_llPT13_lli.numbered_sgpr, 44
	.set _ZN12_GLOBAL__N_127rocblas_gemm_batched_kernelI19rocblas_complex_numIfELi16ELi16ELi64ELi64ELi4ELi64ELi4ELi4ELi64ELc67ELc78EKPKS2_S5_KPS2_EEvlllT_PT11_llSA_llS8_PT12_llPT13_lli.num_named_barrier, 0
	.set _ZN12_GLOBAL__N_127rocblas_gemm_batched_kernelI19rocblas_complex_numIfELi16ELi16ELi64ELi64ELi4ELi64ELi4ELi4ELi64ELc67ELc78EKPKS2_S5_KPS2_EEvlllT_PT11_llSA_llS8_PT12_llPT13_lli.private_seg_size, 0
	.set _ZN12_GLOBAL__N_127rocblas_gemm_batched_kernelI19rocblas_complex_numIfELi16ELi16ELi64ELi64ELi4ELi64ELi4ELi4ELi64ELc67ELc78EKPKS2_S5_KPS2_EEvlllT_PT11_llSA_llS8_PT12_llPT13_lli.uses_vcc, 1
	.set _ZN12_GLOBAL__N_127rocblas_gemm_batched_kernelI19rocblas_complex_numIfELi16ELi16ELi64ELi64ELi4ELi64ELi4ELi4ELi64ELc67ELc78EKPKS2_S5_KPS2_EEvlllT_PT11_llSA_llS8_PT12_llPT13_lli.uses_flat_scratch, 0
	.set _ZN12_GLOBAL__N_127rocblas_gemm_batched_kernelI19rocblas_complex_numIfELi16ELi16ELi64ELi64ELi4ELi64ELi4ELi4ELi64ELc67ELc78EKPKS2_S5_KPS2_EEvlllT_PT11_llSA_llS8_PT12_llPT13_lli.has_dyn_sized_stack, 0
	.set _ZN12_GLOBAL__N_127rocblas_gemm_batched_kernelI19rocblas_complex_numIfELi16ELi16ELi64ELi64ELi4ELi64ELi4ELi4ELi64ELc67ELc78EKPKS2_S5_KPS2_EEvlllT_PT11_llSA_llS8_PT12_llPT13_lli.has_recursion, 0
	.set _ZN12_GLOBAL__N_127rocblas_gemm_batched_kernelI19rocblas_complex_numIfELi16ELi16ELi64ELi64ELi4ELi64ELi4ELi4ELi64ELc67ELc78EKPKS2_S5_KPS2_EEvlllT_PT11_llSA_llS8_PT12_llPT13_lli.has_indirect_call, 0
	.section	.AMDGPU.csdata,"",@progbits
; Kernel info:
; codeLenInByte = 4976
; TotalNumSgprs: 46
; NumVgprs: 188
; ScratchSize: 0
; MemoryBound: 0
; FloatMode: 240
; IeeeMode: 1
; LDSByteSize: 4096 bytes/workgroup (compile time only)
; SGPRBlocks: 0
; VGPRBlocks: 23
; NumSGPRsForWavesPerEU: 46
; NumVGPRsForWavesPerEU: 188
; Occupancy: 5
; WaveLimiterHint : 1
; COMPUTE_PGM_RSRC2:SCRATCH_EN: 0
; COMPUTE_PGM_RSRC2:USER_SGPR: 6
; COMPUTE_PGM_RSRC2:TRAP_HANDLER: 0
; COMPUTE_PGM_RSRC2:TGID_X_EN: 1
; COMPUTE_PGM_RSRC2:TGID_Y_EN: 1
; COMPUTE_PGM_RSRC2:TGID_Z_EN: 1
; COMPUTE_PGM_RSRC2:TIDIG_COMP_CNT: 1
	.section	.text._ZN12_GLOBAL__N_127rocblas_gemm_batched_kernelI19rocblas_complex_numIfELi16ELi16ELi64ELi64ELi4ELi64ELi4ELi4ELi64ELc67ELc84EKPKS2_S5_KPS2_EEvlllT_PT11_llSA_llS8_PT12_llPT13_lli,"axG",@progbits,_ZN12_GLOBAL__N_127rocblas_gemm_batched_kernelI19rocblas_complex_numIfELi16ELi16ELi64ELi64ELi4ELi64ELi4ELi4ELi64ELc67ELc84EKPKS2_S5_KPS2_EEvlllT_PT11_llSA_llS8_PT12_llPT13_lli,comdat
	.globl	_ZN12_GLOBAL__N_127rocblas_gemm_batched_kernelI19rocblas_complex_numIfELi16ELi16ELi64ELi64ELi4ELi64ELi4ELi4ELi64ELc67ELc84EKPKS2_S5_KPS2_EEvlllT_PT11_llSA_llS8_PT12_llPT13_lli ; -- Begin function _ZN12_GLOBAL__N_127rocblas_gemm_batched_kernelI19rocblas_complex_numIfELi16ELi16ELi64ELi64ELi4ELi64ELi4ELi4ELi64ELc67ELc84EKPKS2_S5_KPS2_EEvlllT_PT11_llSA_llS8_PT12_llPT13_lli
	.p2align	8
	.type	_ZN12_GLOBAL__N_127rocblas_gemm_batched_kernelI19rocblas_complex_numIfELi16ELi16ELi64ELi64ELi4ELi64ELi4ELi4ELi64ELc67ELc84EKPKS2_S5_KPS2_EEvlllT_PT11_llSA_llS8_PT12_llPT13_lli,@function
_ZN12_GLOBAL__N_127rocblas_gemm_batched_kernelI19rocblas_complex_numIfELi16ELi16ELi64ELi64ELi4ELi64ELi4ELi4ELi64ELc67ELc84EKPKS2_S5_KPS2_EEvlllT_PT11_llSA_llS8_PT12_llPT13_lli: ; @_ZN12_GLOBAL__N_127rocblas_gemm_batched_kernelI19rocblas_complex_numIfELi16ELi16ELi64ELi64ELi4ELi64ELi4ELi4ELi64ELc67ELc84EKPKS2_S5_KPS2_EEvlllT_PT11_llSA_llS8_PT12_llPT13_lli
; %bb.0:
	s_clause 0x1
	s_load_dwordx8 s[36:43], s[4:5], 0x58
	s_load_dwordx16 s[12:27], s[4:5], 0x10
	s_mov_b32 s9, 0
	s_clause 0x1
	s_load_dwordx4 s[28:31], s[4:5], 0x78
	s_load_dwordx2 s[2:3], s[4:5], 0x50
	s_lshl_b64 s[0:1], s[8:9], 3
	s_mov_b32 s10, s7
	v_mov_b32_e32 v38, 0
	v_mov_b32_e32 v39, 0
	;; [unrolled: 1-line block ×13, first 2 shown]
	s_waitcnt lgkmcnt(0)
	s_add_u32 s4, s36, s0
	s_addc_u32 s5, s37, s1
	s_add_u32 s8, s42, s0
	s_addc_u32 s9, s43, s1
	s_load_dwordx2 s[4:5], s[4:5], 0x0
	s_load_dwordx2 s[8:9], s[8:9], 0x0
	v_cmp_lt_i64_e64 s33, s[12:13], 1
	v_mov_b32_e32 v27, 0
	v_mov_b32_e32 v24, 0
	;; [unrolled: 1-line block ×19, first 2 shown]
	s_ashr_i32 s7, s6, 31
	s_ashr_i32 s11, s10, 31
	s_lshl_b64 s[6:7], s[6:7], 6
	s_and_b32 vcc_lo, exec_lo, s33
	s_lshl_b64 s[10:11], s[10:11], 6
	s_cbranch_vccnz .LBB229_3
; %bb.1:
	v_lshl_add_u32 v6, v1, 4, v0
	v_and_b32_e32 v7, 3, v0
	s_add_u32 s16, s16, s0
	s_addc_u32 s17, s17, s1
	s_add_u32 s0, s22, s0
	v_lshrrev_b32_e32 v9, 2, v6
	v_and_b32_e32 v10, 63, v6
	s_addc_u32 s1, s23, s1
	v_lshlrev_b32_e32 v13, 3, v7
	s_load_dwordx2 s[16:17], s[16:17], 0x0
	s_load_dwordx2 s[0:1], s[0:1], 0x0
	v_add_co_u32 v2, s33, v9, s10
	v_add_co_ci_u32_e64 v3, null, 0, s11, s33
	v_add_co_u32 v4, s33, s6, v10
	v_add_co_ci_u32_e64 v5, null, s7, 0, s33
	v_mad_u64_u32 v[2:3], null, s24, v7, v[2:3]
	v_mul_lo_u32 v11, s19, v4
	v_mul_lo_u32 v12, s18, v5
	v_mad_u64_u32 v[4:5], null, s18, v4, 0
	v_lshrrev_b32_e32 v14, 6, v6
	s_lshl_b64 s[18:19], s[20:21], 3
	v_lshlrev_b32_e32 v10, 3, v10
	v_mov_b32_e32 v8, 0
	v_lshlrev_b32_e32 v42, 3, v0
	v_lshl_add_u32 v43, v1, 5, 0x800
	v_add3_u32 v5, v5, v12, v11
	v_mad_u64_u32 v[6:7], null, s25, v7, v[3:4]
	v_lshl_or_b32 v3, v9, 5, v13
	v_lshl_or_b32 v40, v14, 9, v10
	v_lshlrev_b64 v[4:5], 3, v[4:5]
	v_mov_b32_e32 v9, 0
	v_mov_b32_e32 v11, 0
	v_add_nc_u32_e32 v41, 0x800, v3
	v_mov_b32_e32 v3, v6
	v_lshlrev_b32_e32 v6, 3, v14
	v_add_co_u32 v4, vcc_lo, v4, s18
	v_add_co_ci_u32_e64 v5, null, s19, v5, vcc_lo
	s_lshl_b64 s[18:19], s[26:27], 3
	v_add_co_u32 v6, vcc_lo, v4, v6
	v_add_co_ci_u32_e64 v7, null, 0, v5, vcc_lo
	v_lshlrev_b64 v[4:5], 3, v[2:3]
	s_waitcnt lgkmcnt(0)
	v_add_co_u32 v2, vcc_lo, s16, v6
	s_add_u32 s0, s0, s18
	v_add_co_ci_u32_e64 v3, null, s17, v7, vcc_lo
	s_addc_u32 s1, s1, s19
	v_add_co_u32 v4, vcc_lo, s0, v4
	v_add_co_ci_u32_e64 v5, null, s1, v5, vcc_lo
	v_mov_b32_e32 v10, 0
	v_mov_b32_e32 v13, 0
	;; [unrolled: 1-line block ×29, first 2 shown]
	s_lshl_b64 s[16:17], s[24:25], 5
	s_mov_b64 s[18:19], 0
.LBB229_2:                              ; =>This Inner Loop Header: Depth=1
	flat_load_dwordx2 v[6:7], v[2:3]
	s_add_u32 s18, s18, 4
	s_addc_u32 s19, s19, 0
	v_add_co_u32 v2, vcc_lo, v2, 32
	v_cmp_lt_i64_e64 s0, s[18:19], s[12:13]
	v_add_co_ci_u32_e64 v3, null, 0, v3, vcc_lo
	s_and_b32 vcc_lo, exec_lo, s0
	s_waitcnt vmcnt(0) lgkmcnt(0)
	v_xor_b32_e32 v7, 0x80000000, v7
	ds_write_b64 v40, v[6:7]
	flat_load_dwordx2 v[6:7], v[4:5]
	v_add_co_u32 v4, s0, v4, s16
	v_add_co_ci_u32_e64 v5, null, s17, v5, s0
	s_waitcnt vmcnt(0) lgkmcnt(0)
	ds_write_b64 v41, v[6:7]
	s_waitcnt lgkmcnt(0)
	s_barrier
	buffer_gl0_inv
	ds_read_b128 v[44:47], v43
	ds_read2_b64 v[48:51], v42 offset1:16
	ds_read_b128 v[52:55], v43 offset:512
	ds_read_b128 v[56:59], v43 offset:16
	;; [unrolled: 1-line block ×7, first 2 shown]
	ds_read2_b64 v[80:83], v42 offset0:32 offset1:48
	ds_read2_b64 v[84:87], v42 offset0:64 offset1:80
	;; [unrolled: 1-line block ×7, first 2 shown]
	s_waitcnt lgkmcnt(0)
	s_barrier
	buffer_gl0_inv
	v_mul_f32_e32 v6, v45, v49
	v_mul_f32_e32 v7, v44, v49
	;; [unrolled: 1-line block ×64, first 2 shown]
	v_fma_f32 v6, v44, v48, -v6
	v_fmac_f32_e32 v7, v45, v48
	v_fma_f32 v108, v44, v50, -v108
	v_fmac_f32_e32 v109, v45, v50
	;; [unrolled: 2-line block ×16, first 2 shown]
	v_mul_f32_e32 v162, v57, v93
	v_mul_f32_e32 v163, v56, v93
	;; [unrolled: 1-line block ×28, first 2 shown]
	v_fma_f32 v124, v46, v84, -v134
	v_fmac_f32_e32 v135, v47, v84
	v_fma_f32 v126, v46, v86, -v136
	v_fmac_f32_e32 v137, v47, v86
	;; [unrolled: 2-line block ×4, first 2 shown]
	v_mul_f32_e32 v47, v77, v97
	v_mul_f32_e32 v97, v76, v97
	;; [unrolled: 1-line block ×4, first 2 shown]
	v_fma_f32 v132, v54, v84, -v142
	v_fmac_f32_e32 v143, v55, v84
	v_fma_f32 v133, v54, v86, -v144
	v_fmac_f32_e32 v145, v55, v86
	v_fma_f32 v134, v54, v88, -v146
	v_fmac_f32_e32 v147, v55, v88
	v_fma_f32 v54, v54, v90, -v148
	v_fmac_f32_e32 v149, v55, v90
	v_mul_f32_e32 v136, v58, v101
	v_mul_f32_e32 v140, v58, v103
	v_fma_f32 v142, v66, v84, -v150
	v_fmac_f32_e32 v151, v67, v84
	v_fma_f32 v144, v66, v86, -v152
	v_fmac_f32_e32 v153, v67, v86
	;; [unrolled: 2-line block ×4, first 2 shown]
	v_mul_f32_e32 v148, v58, v105
	v_mul_f32_e32 v152, v58, v107
	v_fma_f32 v154, v74, v84, -v158
	v_fmac_f32_e32 v85, v75, v84
	v_fma_f32 v84, v74, v86, -v159
	v_fmac_f32_e32 v87, v75, v86
	;; [unrolled: 2-line block ×4, first 2 shown]
	v_add_f32_e32 v6, v38, v6
	v_add_f32_e32 v7, v39, v7
	;; [unrolled: 1-line block ×32, first 2 shown]
	v_mul_f32_e32 v55, v59, v101
	v_mul_f32_e32 v138, v59, v103
	;; [unrolled: 1-line block ×16, first 2 shown]
	v_fma_f32 v162, v56, v92, -v162
	v_fmac_f32_e32 v163, v57, v92
	v_fma_f32 v164, v56, v94, -v164
	v_fmac_f32_e32 v165, v57, v94
	;; [unrolled: 2-line block ×8, first 2 shown]
	v_mul_f32_e32 v94, v71, v105
	v_mul_f32_e32 v175, v70, v105
	;; [unrolled: 1-line block ×4, first 2 shown]
	v_fma_f32 v176, v56, v96, -v176
	v_fmac_f32_e32 v177, v57, v96
	v_fma_f32 v56, v56, v98, -v178
	v_fmac_f32_e32 v179, v57, v98
	;; [unrolled: 2-line block ×8, first 2 shown]
	v_mul_f32_e32 v69, v79, v101
	v_mul_f32_e32 v73, v78, v101
	;; [unrolled: 1-line block ×4, first 2 shown]
	v_fmac_f32_e32 v136, v59, v100
	v_fmac_f32_e32 v140, v59, v102
	;; [unrolled: 1-line block ×4, first 2 shown]
	v_mul_f32_e32 v59, v79, v105
	v_mul_f32_e32 v96, v78, v105
	;; [unrolled: 1-line block ×4, first 2 shown]
	v_add_f32_e32 v6, v6, v124
	v_add_f32_e32 v7, v7, v135
	v_add_f32_e32 v36, v36, v126
	v_add_f32_e32 v37, v37, v137
	v_add_f32_e32 v34, v34, v128
	v_add_f32_e32 v35, v35, v139
	v_add_f32_e32 v32, v32, v46
	v_add_f32_e32 v33, v33, v141
	v_add_f32_e32 v30, v30, v132
	v_add_f32_e32 v31, v31, v143
	v_add_f32_e32 v28, v28, v133
	v_add_f32_e32 v29, v29, v145
	v_add_f32_e32 v26, v26, v134
	v_add_f32_e32 v27, v27, v147
	v_add_f32_e32 v24, v24, v54
	v_add_f32_e32 v25, v25, v149
	v_add_f32_e32 v22, v22, v142
	v_add_f32_e32 v23, v23, v151
	v_add_f32_e32 v20, v20, v144
	v_add_f32_e32 v21, v21, v153
	v_add_f32_e32 v18, v18, v146
	v_add_f32_e32 v19, v19, v155
	v_add_f32_e32 v16, v16, v66
	v_add_f32_e32 v17, v17, v157
	v_add_f32_e32 v14, v14, v154
	v_add_f32_e32 v15, v15, v85
	v_add_f32_e32 v12, v12, v84
	v_add_f32_e32 v13, v13, v87
	v_add_f32_e32 v10, v10, v160
	v_add_f32_e32 v11, v11, v89
	v_add_f32_e32 v9, v9, v74
	v_add_f32_e32 v8, v8, v91
	v_fma_f32 v55, v58, v100, -v55
	v_fma_f32 v82, v58, v102, -v138
	;; [unrolled: 1-line block ×5, first 2 shown]
	v_fmac_f32_e32 v156, v63, v100
	v_fma_f32 v103, v62, v102, -v158
	v_fmac_f32_e32 v159, v63, v102
	v_fma_f32 v75, v62, v104, -v75
	;; [unrolled: 2-line block ×11, first 2 shown]
	v_fmac_f32_e32 v101, v79, v106
	v_add_f32_e32 v6, v6, v162
	v_add_f32_e32 v7, v7, v163
	;; [unrolled: 1-line block ×64, first 2 shown]
	s_cbranch_vccnz .LBB229_2
.LBB229_3:
	s_lshl_b64 s[0:1], s[30:31], 3
	s_waitcnt lgkmcnt(0)
	s_add_u32 s8, s8, s0
	s_addc_u32 s9, s9, s1
	v_add_co_u32 v4, s1, s10, v1
	v_add_co_ci_u32_e64 v5, null, s11, 0, s1
	v_add_co_u32 v0, s1, s6, v0
	s_or_b32 s0, s2, s3
	v_add_co_ci_u32_e64 v1, null, s7, 0, s1
	s_bitset0_b32 s0, 31
	s_mov_b32 s6, 0
	s_cmp_lg_u32 s0, 0
	s_cbranch_scc1 .LBB229_5
; %bb.4:
	v_mul_lo_u32 v6, v5, s28
	v_mul_lo_u32 v40, v4, s29
	v_mad_u64_u32 v[2:3], null, v4, s28, 0
	v_mul_f32_e32 v42, s15, v39
	v_mul_f32_e32 v7, s14, v39
	;; [unrolled: 1-line block ×6, first 2 shown]
	v_add3_u32 v3, v3, v40, v6
	v_lshlrev_b64 v[40:41], 3, v[0:1]
	v_mul_f32_e32 v48, s15, v33
	v_mul_f32_e32 v47, s14, v33
	v_fma_f32 v6, v38, s14, -v42
	v_lshlrev_b64 v[2:3], 3, v[2:3]
	v_fmac_f32_e32 v7, s15, v38
	v_fma_f32 v42, v36, s14, -v44
	v_fmac_f32_e32 v43, s15, v36
	s_lshl_b64 s[0:1], s[28:29], 7
	v_fma_f32 v44, v34, s14, -v46
	v_add_co_u32 v49, vcc_lo, s8, v2
	v_add_co_ci_u32_e64 v50, null, s9, v3, vcc_lo
	v_fmac_f32_e32 v45, s15, v34
	v_add_co_u32 v2, vcc_lo, v49, v40
	v_add_co_ci_u32_e64 v3, null, v50, v41, vcc_lo
	v_fma_f32 v46, v32, s14, -v48
	v_fmac_f32_e32 v47, s15, v32
	v_add_co_u32 v48, vcc_lo, v49, s0
	flat_store_dwordx2 v[2:3], v[6:7]
	flat_store_dwordx2 v[2:3], v[42:43] offset:128
	flat_store_dwordx2 v[2:3], v[44:45] offset:256
	;; [unrolled: 1-line block ×3, first 2 shown]
	v_mul_f32_e32 v2, s15, v31
	v_mul_f32_e32 v3, s14, v31
	v_add_co_ci_u32_e64 v49, null, s1, v50, vcc_lo
	v_mul_f32_e32 v6, s15, v29
	v_mul_f32_e32 v7, s14, v29
	;; [unrolled: 1-line block ×4, first 2 shown]
	v_add_co_u32 v44, vcc_lo, v48, v40
	v_fma_f32 v2, v30, s14, -v2
	v_fmac_f32_e32 v3, s15, v30
	v_add_co_ci_u32_e64 v45, null, v49, v41, vcc_lo
	v_fma_f32 v6, v28, s14, -v6
	v_fmac_f32_e32 v7, s15, v28
	v_fma_f32 v42, v26, s14, -v42
	v_fmac_f32_e32 v43, s15, v26
	v_add_co_u32 v52, vcc_lo, v48, s0
	v_mul_f32_e32 v46, s15, v25
	v_mul_f32_e32 v47, s14, v25
	flat_store_dwordx2 v[44:45], v[2:3]
	flat_store_dwordx2 v[44:45], v[6:7] offset:128
	flat_store_dwordx2 v[44:45], v[42:43] offset:256
	v_mul_f32_e32 v2, s15, v23
	v_mul_f32_e32 v3, s14, v23
	v_add_co_ci_u32_e64 v53, null, s1, v49, vcc_lo
	v_mul_f32_e32 v42, s15, v21
	v_mul_f32_e32 v43, s14, v21
	;; [unrolled: 1-line block ×4, first 2 shown]
	v_add_co_u32 v6, vcc_lo, v52, v40
	v_mul_f32_e32 v50, s15, v17
	v_mul_f32_e32 v51, s14, v17
	v_fma_f32 v46, v24, s14, -v46
	v_fmac_f32_e32 v47, s15, v24
	v_fma_f32 v2, v22, s14, -v2
	v_fmac_f32_e32 v3, s15, v22
	v_add_co_ci_u32_e64 v7, null, v53, v41, vcc_lo
	v_fma_f32 v42, v20, s14, -v42
	v_fmac_f32_e32 v43, s15, v20
	v_fma_f32 v48, v18, s14, -v48
	v_fmac_f32_e32 v49, s15, v18
	;; [unrolled: 2-line block ×3, first 2 shown]
	flat_store_dwordx2 v[44:45], v[46:47] offset:384
	flat_store_dwordx2 v[6:7], v[2:3]
	flat_store_dwordx2 v[6:7], v[42:43] offset:128
	flat_store_dwordx2 v[6:7], v[48:49] offset:256
	flat_store_dwordx2 v[6:7], v[50:51] offset:384
	v_mul_f32_e32 v2, s15, v15
	v_add_co_u32 v3, vcc_lo, v52, s0
	v_add_co_ci_u32_e64 v6, null, s1, v53, vcc_lo
	v_fma_f32 v42, v14, s14, -v2
	v_mul_f32_e32 v2, s15, v13
	v_add_co_u32 v40, vcc_lo, v3, v40
	v_mul_f32_e32 v43, s14, v15
	v_add_co_ci_u32_e64 v41, null, v6, v41, vcc_lo
	v_fma_f32 v44, v12, s14, -v2
	v_mul_f32_e32 v2, s15, v11
	v_mul_f32_e32 v3, s15, v8
	;; [unrolled: 1-line block ×5, first 2 shown]
	v_fma_f32 v46, v10, s14, -v2
	v_add_co_u32 v2, vcc_lo, 0x180, v40
	v_fmac_f32_e32 v43, s15, v14
	v_fma_f32 v7, v9, s14, -v3
	v_fmac_f32_e32 v6, s15, v9
	v_add_co_ci_u32_e64 v3, null, 0, v41, vcc_lo
	v_fmac_f32_e32 v45, s15, v12
	v_fmac_f32_e32 v47, s15, v10
	flat_store_dwordx2 v[40:41], v[42:43]
	flat_store_dwordx2 v[40:41], v[44:45] offset:128
	flat_store_dwordx2 v[40:41], v[46:47] offset:256
	flat_store_dword v[40:41], v7 offset:384
	s_andn2_b32 vcc_lo, exec_lo, s6
	s_cbranch_vccz .LBB229_6
	s_branch .LBB229_7
.LBB229_5:
                                        ; implicit-def: $vgpr6
                                        ; implicit-def: $vgpr2_vgpr3
.LBB229_6:
	v_mul_lo_u32 v6, v5, s38
	v_mul_lo_u32 v7, v4, s39
	v_mad_u64_u32 v[2:3], null, v4, s38, 0
	s_lshl_b64 s[0:1], s[40:41], 3
	v_lshlrev_b64 v[0:1], 3, v[0:1]
	s_add_u32 s0, s4, s0
	s_addc_u32 s1, s5, s1
	v_mul_lo_u32 v42, v5, s28
	v_mul_lo_u32 v43, v4, s29
	v_add3_u32 v3, v3, v7, v6
	v_mad_u64_u32 v[4:5], null, v4, s28, 0
	s_lshl_b64 s[4:5], s[28:29], 7
	v_lshlrev_b64 v[2:3], 3, v[2:3]
	v_add3_u32 v5, v5, v43, v42
	v_mul_f32_e32 v42, s15, v39
	v_add_co_u32 v40, vcc_lo, s0, v2
	v_add_co_ci_u32_e64 v41, null, s1, v3, vcc_lo
	v_mul_f32_e32 v39, s14, v39
	v_add_co_u32 v2, vcc_lo, v40, v0
	v_add_co_ci_u32_e64 v3, null, v41, v1, vcc_lo
	v_lshlrev_b64 v[4:5], 3, v[4:5]
	v_fma_f32 v42, v38, s14, -v42
	v_fmac_f32_e32 v39, s15, v38
	flat_load_dwordx2 v[6:7], v[2:3]
	s_lshl_b64 s[0:1], s[38:39], 7
	v_add_co_u32 v43, vcc_lo, s8, v4
	v_add_co_ci_u32_e64 v44, null, s9, v5, vcc_lo
	v_add_co_u32 v4, vcc_lo, v43, v0
	v_add_co_ci_u32_e64 v5, null, v44, v1, vcc_lo
	s_waitcnt vmcnt(0) lgkmcnt(0)
	v_mul_f32_e32 v38, s3, v7
	v_mul_f32_e32 v7, s2, v7
	v_fma_f32 v38, v6, s2, -v38
	v_fmac_f32_e32 v7, s3, v6
	v_add_f32_e32 v6, v42, v38
	v_add_f32_e32 v7, v39, v7
	v_mul_f32_e32 v38, s15, v37
	v_mul_f32_e32 v37, s14, v37
	flat_store_dwordx2 v[4:5], v[6:7]
	flat_load_dwordx2 v[6:7], v[2:3] offset:128
	v_fma_f32 v38, v36, s14, -v38
	v_fmac_f32_e32 v37, s15, v36
	s_waitcnt vmcnt(0) lgkmcnt(0)
	v_mul_f32_e32 v39, s3, v7
	v_mul_f32_e32 v7, s2, v7
	v_fma_f32 v36, v6, s2, -v39
	v_fmac_f32_e32 v7, s3, v6
	v_add_f32_e32 v6, v38, v36
	v_add_f32_e32 v7, v37, v7
	v_mul_f32_e32 v36, s15, v35
	v_mul_f32_e32 v35, s14, v35
	flat_store_dwordx2 v[4:5], v[6:7] offset:128
	flat_load_dwordx2 v[6:7], v[2:3] offset:256
	v_fma_f32 v36, v34, s14, -v36
	v_fmac_f32_e32 v35, s15, v34
	s_waitcnt vmcnt(0) lgkmcnt(0)
	v_mul_f32_e32 v37, s3, v7
	v_mul_f32_e32 v7, s2, v7
	v_fma_f32 v34, v6, s2, -v37
	v_fmac_f32_e32 v7, s3, v6
	v_add_f32_e32 v6, v36, v34
	v_add_f32_e32 v7, v35, v7
	flat_store_dwordx2 v[4:5], v[6:7] offset:256
	flat_load_dwordx2 v[2:3], v[2:3] offset:384
	v_mul_f32_e32 v6, s15, v33
	v_mul_f32_e32 v7, s14, v33
	v_fma_f32 v6, v32, s14, -v6
	v_fmac_f32_e32 v7, s15, v32
	s_waitcnt vmcnt(0) lgkmcnt(0)
	v_mul_f32_e32 v33, s3, v3
	v_mul_f32_e32 v3, s2, v3
	v_fma_f32 v32, v2, s2, -v33
	v_add_co_u32 v33, vcc_lo, v40, s0
	v_fmac_f32_e32 v3, s3, v2
	v_add_co_ci_u32_e64 v34, null, s1, v41, vcc_lo
	v_add_f32_e32 v2, v6, v32
	v_add_co_u32 v6, vcc_lo, v33, v0
	v_add_f32_e32 v3, v7, v3
	v_add_co_ci_u32_e64 v7, null, v34, v1, vcc_lo
	v_add_co_u32 v32, vcc_lo, v43, s4
	flat_store_dwordx2 v[4:5], v[2:3] offset:384
	flat_load_dwordx2 v[2:3], v[6:7]
	v_mul_f32_e32 v4, s15, v31
	v_mul_f32_e32 v5, s14, v31
	v_add_co_ci_u32_e64 v35, null, s5, v44, vcc_lo
	v_fma_f32 v4, v30, s14, -v4
	v_fmac_f32_e32 v5, s15, v30
	s_waitcnt vmcnt(0) lgkmcnt(0)
	v_mul_f32_e32 v30, s3, v3
	v_mul_f32_e32 v31, s2, v3
	v_fma_f32 v30, v2, s2, -v30
	v_fmac_f32_e32 v31, s3, v2
	v_add_co_u32 v2, vcc_lo, v32, v0
	v_add_co_ci_u32_e64 v3, null, v35, v1, vcc_lo
	v_add_f32_e32 v4, v4, v30
	v_add_f32_e32 v5, v5, v31
	v_mul_f32_e32 v30, s15, v29
	v_mul_f32_e32 v29, s14, v29
	flat_store_dwordx2 v[2:3], v[4:5]
	flat_load_dwordx2 v[4:5], v[6:7] offset:128
	v_fma_f32 v30, v28, s14, -v30
	v_fmac_f32_e32 v29, s15, v28
	s_waitcnt vmcnt(0) lgkmcnt(0)
	v_mul_f32_e32 v31, s3, v5
	v_mul_f32_e32 v5, s2, v5
	v_fma_f32 v28, v4, s2, -v31
	v_fmac_f32_e32 v5, s3, v4
	v_add_f32_e32 v4, v30, v28
	v_add_f32_e32 v5, v29, v5
	v_mul_f32_e32 v28, s15, v27
	v_mul_f32_e32 v27, s14, v27
	flat_store_dwordx2 v[2:3], v[4:5] offset:128
	flat_load_dwordx2 v[4:5], v[6:7] offset:256
	v_fma_f32 v28, v26, s14, -v28
	v_fmac_f32_e32 v27, s15, v26
	s_waitcnt vmcnt(0) lgkmcnt(0)
	v_mul_f32_e32 v29, s3, v5
	v_mul_f32_e32 v5, s2, v5
	v_fma_f32 v26, v4, s2, -v29
	v_fmac_f32_e32 v5, s3, v4
	v_add_f32_e32 v4, v28, v26
	v_add_f32_e32 v5, v27, v5
	flat_store_dwordx2 v[2:3], v[4:5] offset:256
	flat_load_dwordx2 v[4:5], v[6:7] offset:384
	v_mul_f32_e32 v6, s15, v25
	v_mul_f32_e32 v7, s14, v25
	v_fma_f32 v6, v24, s14, -v6
	v_fmac_f32_e32 v7, s15, v24
	s_waitcnt vmcnt(0) lgkmcnt(0)
	v_mul_f32_e32 v25, s3, v5
	v_mul_f32_e32 v5, s2, v5
	v_fma_f32 v24, v4, s2, -v25
	v_add_co_u32 v25, vcc_lo, v33, s0
	v_fmac_f32_e32 v5, s3, v4
	v_add_co_ci_u32_e64 v26, null, s1, v34, vcc_lo
	v_add_f32_e32 v4, v6, v24
	v_add_co_u32 v6, vcc_lo, v25, v0
	v_add_f32_e32 v5, v7, v5
	v_add_co_ci_u32_e64 v7, null, v26, v1, vcc_lo
	v_add_co_u32 v24, vcc_lo, v32, s4
	flat_store_dwordx2 v[2:3], v[4:5] offset:384
	flat_load_dwordx2 v[2:3], v[6:7]
	v_mul_f32_e32 v4, s15, v23
	v_mul_f32_e32 v5, s14, v23
	v_add_co_ci_u32_e64 v27, null, s5, v35, vcc_lo
	v_fma_f32 v4, v22, s14, -v4
	v_fmac_f32_e32 v5, s15, v22
	s_waitcnt vmcnt(0) lgkmcnt(0)
	v_mul_f32_e32 v22, s3, v3
	v_mul_f32_e32 v23, s2, v3
	v_fma_f32 v22, v2, s2, -v22
	v_fmac_f32_e32 v23, s3, v2
	v_add_co_u32 v2, vcc_lo, v24, v0
	v_add_co_ci_u32_e64 v3, null, v27, v1, vcc_lo
	v_add_f32_e32 v4, v4, v22
	v_add_f32_e32 v5, v5, v23
	v_mul_f32_e32 v22, s15, v21
	v_mul_f32_e32 v21, s14, v21
	flat_store_dwordx2 v[2:3], v[4:5]
	flat_load_dwordx2 v[4:5], v[6:7] offset:128
	v_fma_f32 v22, v20, s14, -v22
	v_fmac_f32_e32 v21, s15, v20
	s_waitcnt vmcnt(0) lgkmcnt(0)
	v_mul_f32_e32 v23, s3, v5
	v_mul_f32_e32 v5, s2, v5
	v_fma_f32 v20, v4, s2, -v23
	v_fmac_f32_e32 v5, s3, v4
	v_add_f32_e32 v4, v22, v20
	v_add_f32_e32 v5, v21, v5
	v_mul_f32_e32 v20, s15, v19
	v_mul_f32_e32 v19, s14, v19
	flat_store_dwordx2 v[2:3], v[4:5] offset:128
	flat_load_dwordx2 v[4:5], v[6:7] offset:256
	v_fma_f32 v20, v18, s14, -v20
	v_fmac_f32_e32 v19, s15, v18
	s_waitcnt vmcnt(0) lgkmcnt(0)
	v_mul_f32_e32 v21, s3, v5
	v_mul_f32_e32 v5, s2, v5
	v_fma_f32 v18, v4, s2, -v21
	v_fmac_f32_e32 v5, s3, v4
	v_add_f32_e32 v4, v20, v18
	v_add_f32_e32 v5, v19, v5
	flat_store_dwordx2 v[2:3], v[4:5] offset:256
	flat_load_dwordx2 v[4:5], v[6:7] offset:384
	v_mul_f32_e32 v6, s15, v17
	v_mul_f32_e32 v7, s14, v17
	v_fma_f32 v6, v16, s14, -v6
	v_fmac_f32_e32 v7, s15, v16
	s_waitcnt vmcnt(0) lgkmcnt(0)
	v_mul_f32_e32 v17, s3, v5
	v_mul_f32_e32 v5, s2, v5
	v_fma_f32 v16, v4, s2, -v17
	v_add_co_u32 v17, vcc_lo, v25, s0
	v_fmac_f32_e32 v5, s3, v4
	v_add_co_ci_u32_e64 v18, null, s1, v26, vcc_lo
	v_add_f32_e32 v4, v6, v16
	v_add_co_u32 v6, vcc_lo, v17, v0
	v_add_f32_e32 v5, v7, v5
	v_add_co_ci_u32_e64 v7, null, v18, v1, vcc_lo
	flat_store_dwordx2 v[2:3], v[4:5] offset:384
	flat_load_dwordx2 v[2:3], v[6:7]
	v_mul_f32_e32 v4, s15, v15
	v_mul_f32_e32 v5, s14, v15
	v_add_co_u32 v15, vcc_lo, v24, s4
	v_add_co_ci_u32_e64 v16, null, s5, v27, vcc_lo
	v_fma_f32 v4, v14, s14, -v4
	v_fmac_f32_e32 v5, s15, v14
	v_add_co_u32 v0, vcc_lo, v15, v0
	v_add_co_ci_u32_e64 v1, null, v16, v1, vcc_lo
	s_waitcnt vmcnt(0) lgkmcnt(0)
	v_mul_f32_e32 v14, s3, v3
	v_mul_f32_e32 v3, s2, v3
	v_fma_f32 v14, v2, s2, -v14
	v_fmac_f32_e32 v3, s3, v2
	v_add_f32_e32 v2, v4, v14
	v_add_f32_e32 v3, v5, v3
	v_mul_f32_e32 v4, s15, v13
	v_mul_f32_e32 v5, s14, v13
	flat_store_dwordx2 v[0:1], v[2:3]
	flat_load_dwordx2 v[2:3], v[6:7] offset:128
	v_fma_f32 v4, v12, s14, -v4
	v_fmac_f32_e32 v5, s15, v12
	s_waitcnt vmcnt(0) lgkmcnt(0)
	v_mul_f32_e32 v13, s3, v3
	v_mul_f32_e32 v3, s2, v3
	v_fma_f32 v12, v2, s2, -v13
	v_fmac_f32_e32 v3, s3, v2
	v_add_f32_e32 v2, v4, v12
	v_add_f32_e32 v3, v5, v3
	v_mul_f32_e32 v4, s15, v11
	v_mul_f32_e32 v5, s14, v11
	flat_store_dwordx2 v[0:1], v[2:3] offset:128
	flat_load_dwordx2 v[2:3], v[6:7] offset:256
	v_fma_f32 v4, v10, s14, -v4
	v_fmac_f32_e32 v5, s15, v10
	s_waitcnt vmcnt(0) lgkmcnt(0)
	v_mul_f32_e32 v11, s3, v3
	v_mul_f32_e32 v3, s2, v3
	v_fma_f32 v10, v2, s2, -v11
	v_fmac_f32_e32 v3, s3, v2
	v_add_f32_e32 v2, v4, v10
	v_add_f32_e32 v3, v5, v3
	v_mul_f32_e32 v4, s15, v8
	v_mul_f32_e32 v5, s14, v8
	flat_store_dwordx2 v[0:1], v[2:3] offset:256
	flat_load_dwordx2 v[2:3], v[6:7] offset:384
	v_fma_f32 v4, v9, s14, -v4
	v_fmac_f32_e32 v5, s15, v9
	s_waitcnt vmcnt(0) lgkmcnt(0)
	v_mul_f32_e32 v6, s3, v3
	v_mul_f32_e32 v3, s2, v3
	v_fma_f32 v6, v2, s2, -v6
	v_fmac_f32_e32 v3, s3, v2
	v_add_co_u32 v2, vcc_lo, 0x180, v0
	v_add_f32_e32 v4, v4, v6
	v_add_f32_e32 v6, v5, v3
	v_add_co_ci_u32_e64 v3, null, 0, v1, vcc_lo
	flat_store_dword v[0:1], v4 offset:384
.LBB229_7:
	flat_store_dword v[2:3], v6 offset:4
	s_endpgm
	.section	.rodata,"a",@progbits
	.p2align	6, 0x0
	.amdhsa_kernel _ZN12_GLOBAL__N_127rocblas_gemm_batched_kernelI19rocblas_complex_numIfELi16ELi16ELi64ELi64ELi4ELi64ELi4ELi4ELi64ELc67ELc84EKPKS2_S5_KPS2_EEvlllT_PT11_llSA_llS8_PT12_llPT13_lli
		.amdhsa_group_segment_fixed_size 4096
		.amdhsa_private_segment_fixed_size 0
		.amdhsa_kernarg_size 140
		.amdhsa_user_sgpr_count 6
		.amdhsa_user_sgpr_private_segment_buffer 1
		.amdhsa_user_sgpr_dispatch_ptr 0
		.amdhsa_user_sgpr_queue_ptr 0
		.amdhsa_user_sgpr_kernarg_segment_ptr 1
		.amdhsa_user_sgpr_dispatch_id 0
		.amdhsa_user_sgpr_flat_scratch_init 0
		.amdhsa_user_sgpr_private_segment_size 0
		.amdhsa_wavefront_size32 1
		.amdhsa_uses_dynamic_stack 0
		.amdhsa_system_sgpr_private_segment_wavefront_offset 0
		.amdhsa_system_sgpr_workgroup_id_x 1
		.amdhsa_system_sgpr_workgroup_id_y 1
		.amdhsa_system_sgpr_workgroup_id_z 1
		.amdhsa_system_sgpr_workgroup_info 0
		.amdhsa_system_vgpr_workitem_id 1
		.amdhsa_next_free_vgpr 188
		.amdhsa_next_free_sgpr 44
		.amdhsa_reserve_vcc 1
		.amdhsa_reserve_flat_scratch 0
		.amdhsa_float_round_mode_32 0
		.amdhsa_float_round_mode_16_64 0
		.amdhsa_float_denorm_mode_32 3
		.amdhsa_float_denorm_mode_16_64 3
		.amdhsa_dx10_clamp 1
		.amdhsa_ieee_mode 1
		.amdhsa_fp16_overflow 0
		.amdhsa_workgroup_processor_mode 1
		.amdhsa_memory_ordered 1
		.amdhsa_forward_progress 1
		.amdhsa_shared_vgpr_count 0
		.amdhsa_exception_fp_ieee_invalid_op 0
		.amdhsa_exception_fp_denorm_src 0
		.amdhsa_exception_fp_ieee_div_zero 0
		.amdhsa_exception_fp_ieee_overflow 0
		.amdhsa_exception_fp_ieee_underflow 0
		.amdhsa_exception_fp_ieee_inexact 0
		.amdhsa_exception_int_div_zero 0
	.end_amdhsa_kernel
	.section	.text._ZN12_GLOBAL__N_127rocblas_gemm_batched_kernelI19rocblas_complex_numIfELi16ELi16ELi64ELi64ELi4ELi64ELi4ELi4ELi64ELc67ELc84EKPKS2_S5_KPS2_EEvlllT_PT11_llSA_llS8_PT12_llPT13_lli,"axG",@progbits,_ZN12_GLOBAL__N_127rocblas_gemm_batched_kernelI19rocblas_complex_numIfELi16ELi16ELi64ELi64ELi4ELi64ELi4ELi4ELi64ELc67ELc84EKPKS2_S5_KPS2_EEvlllT_PT11_llSA_llS8_PT12_llPT13_lli,comdat
.Lfunc_end229:
	.size	_ZN12_GLOBAL__N_127rocblas_gemm_batched_kernelI19rocblas_complex_numIfELi16ELi16ELi64ELi64ELi4ELi64ELi4ELi4ELi64ELc67ELc84EKPKS2_S5_KPS2_EEvlllT_PT11_llSA_llS8_PT12_llPT13_lli, .Lfunc_end229-_ZN12_GLOBAL__N_127rocblas_gemm_batched_kernelI19rocblas_complex_numIfELi16ELi16ELi64ELi64ELi4ELi64ELi4ELi4ELi64ELc67ELc84EKPKS2_S5_KPS2_EEvlllT_PT11_llSA_llS8_PT12_llPT13_lli
                                        ; -- End function
	.set _ZN12_GLOBAL__N_127rocblas_gemm_batched_kernelI19rocblas_complex_numIfELi16ELi16ELi64ELi64ELi4ELi64ELi4ELi4ELi64ELc67ELc84EKPKS2_S5_KPS2_EEvlllT_PT11_llSA_llS8_PT12_llPT13_lli.num_vgpr, 188
	.set _ZN12_GLOBAL__N_127rocblas_gemm_batched_kernelI19rocblas_complex_numIfELi16ELi16ELi64ELi64ELi4ELi64ELi4ELi4ELi64ELc67ELc84EKPKS2_S5_KPS2_EEvlllT_PT11_llSA_llS8_PT12_llPT13_lli.num_agpr, 0
	.set _ZN12_GLOBAL__N_127rocblas_gemm_batched_kernelI19rocblas_complex_numIfELi16ELi16ELi64ELi64ELi4ELi64ELi4ELi4ELi64ELc67ELc84EKPKS2_S5_KPS2_EEvlllT_PT11_llSA_llS8_PT12_llPT13_lli.numbered_sgpr, 44
	.set _ZN12_GLOBAL__N_127rocblas_gemm_batched_kernelI19rocblas_complex_numIfELi16ELi16ELi64ELi64ELi4ELi64ELi4ELi4ELi64ELc67ELc84EKPKS2_S5_KPS2_EEvlllT_PT11_llSA_llS8_PT12_llPT13_lli.num_named_barrier, 0
	.set _ZN12_GLOBAL__N_127rocblas_gemm_batched_kernelI19rocblas_complex_numIfELi16ELi16ELi64ELi64ELi4ELi64ELi4ELi4ELi64ELc67ELc84EKPKS2_S5_KPS2_EEvlllT_PT11_llSA_llS8_PT12_llPT13_lli.private_seg_size, 0
	.set _ZN12_GLOBAL__N_127rocblas_gemm_batched_kernelI19rocblas_complex_numIfELi16ELi16ELi64ELi64ELi4ELi64ELi4ELi4ELi64ELc67ELc84EKPKS2_S5_KPS2_EEvlllT_PT11_llSA_llS8_PT12_llPT13_lli.uses_vcc, 1
	.set _ZN12_GLOBAL__N_127rocblas_gemm_batched_kernelI19rocblas_complex_numIfELi16ELi16ELi64ELi64ELi4ELi64ELi4ELi4ELi64ELc67ELc84EKPKS2_S5_KPS2_EEvlllT_PT11_llSA_llS8_PT12_llPT13_lli.uses_flat_scratch, 0
	.set _ZN12_GLOBAL__N_127rocblas_gemm_batched_kernelI19rocblas_complex_numIfELi16ELi16ELi64ELi64ELi4ELi64ELi4ELi4ELi64ELc67ELc84EKPKS2_S5_KPS2_EEvlllT_PT11_llSA_llS8_PT12_llPT13_lli.has_dyn_sized_stack, 0
	.set _ZN12_GLOBAL__N_127rocblas_gemm_batched_kernelI19rocblas_complex_numIfELi16ELi16ELi64ELi64ELi4ELi64ELi4ELi4ELi64ELc67ELc84EKPKS2_S5_KPS2_EEvlllT_PT11_llSA_llS8_PT12_llPT13_lli.has_recursion, 0
	.set _ZN12_GLOBAL__N_127rocblas_gemm_batched_kernelI19rocblas_complex_numIfELi16ELi16ELi64ELi64ELi4ELi64ELi4ELi4ELi64ELc67ELc84EKPKS2_S5_KPS2_EEvlllT_PT11_llSA_llS8_PT12_llPT13_lli.has_indirect_call, 0
	.section	.AMDGPU.csdata,"",@progbits
; Kernel info:
; codeLenInByte = 4944
; TotalNumSgprs: 46
; NumVgprs: 188
; ScratchSize: 0
; MemoryBound: 0
; FloatMode: 240
; IeeeMode: 1
; LDSByteSize: 4096 bytes/workgroup (compile time only)
; SGPRBlocks: 0
; VGPRBlocks: 23
; NumSGPRsForWavesPerEU: 46
; NumVGPRsForWavesPerEU: 188
; Occupancy: 5
; WaveLimiterHint : 1
; COMPUTE_PGM_RSRC2:SCRATCH_EN: 0
; COMPUTE_PGM_RSRC2:USER_SGPR: 6
; COMPUTE_PGM_RSRC2:TRAP_HANDLER: 0
; COMPUTE_PGM_RSRC2:TGID_X_EN: 1
; COMPUTE_PGM_RSRC2:TGID_Y_EN: 1
; COMPUTE_PGM_RSRC2:TGID_Z_EN: 1
; COMPUTE_PGM_RSRC2:TIDIG_COMP_CNT: 1
	.section	.text._ZN12_GLOBAL__N_127rocblas_gemm_batched_kernelI19rocblas_complex_numIfELi16ELi16ELi64ELi64ELi4ELi64ELi4ELi4ELi64ELc78ELc67EKPKS2_S5_KPS2_EEvlllT_PT11_llSA_llS8_PT12_llPT13_lli,"axG",@progbits,_ZN12_GLOBAL__N_127rocblas_gemm_batched_kernelI19rocblas_complex_numIfELi16ELi16ELi64ELi64ELi4ELi64ELi4ELi4ELi64ELc78ELc67EKPKS2_S5_KPS2_EEvlllT_PT11_llSA_llS8_PT12_llPT13_lli,comdat
	.globl	_ZN12_GLOBAL__N_127rocblas_gemm_batched_kernelI19rocblas_complex_numIfELi16ELi16ELi64ELi64ELi4ELi64ELi4ELi4ELi64ELc78ELc67EKPKS2_S5_KPS2_EEvlllT_PT11_llSA_llS8_PT12_llPT13_lli ; -- Begin function _ZN12_GLOBAL__N_127rocblas_gemm_batched_kernelI19rocblas_complex_numIfELi16ELi16ELi64ELi64ELi4ELi64ELi4ELi4ELi64ELc78ELc67EKPKS2_S5_KPS2_EEvlllT_PT11_llSA_llS8_PT12_llPT13_lli
	.p2align	8
	.type	_ZN12_GLOBAL__N_127rocblas_gemm_batched_kernelI19rocblas_complex_numIfELi16ELi16ELi64ELi64ELi4ELi64ELi4ELi4ELi64ELc78ELc67EKPKS2_S5_KPS2_EEvlllT_PT11_llSA_llS8_PT12_llPT13_lli,@function
_ZN12_GLOBAL__N_127rocblas_gemm_batched_kernelI19rocblas_complex_numIfELi16ELi16ELi64ELi64ELi4ELi64ELi4ELi4ELi64ELc78ELc67EKPKS2_S5_KPS2_EEvlllT_PT11_llSA_llS8_PT12_llPT13_lli: ; @_ZN12_GLOBAL__N_127rocblas_gemm_batched_kernelI19rocblas_complex_numIfELi16ELi16ELi64ELi64ELi4ELi64ELi4ELi4ELi64ELc78ELc67EKPKS2_S5_KPS2_EEvlllT_PT11_llSA_llS8_PT12_llPT13_lli
; %bb.0:
	s_clause 0x1
	s_load_dwordx8 s[36:43], s[4:5], 0x58
	s_load_dwordx16 s[12:27], s[4:5], 0x10
	s_mov_b32 s9, 0
	s_clause 0x1
	s_load_dwordx4 s[28:31], s[4:5], 0x78
	s_load_dwordx2 s[2:3], s[4:5], 0x50
	s_lshl_b64 s[0:1], s[8:9], 3
	s_mov_b32 s10, s7
	v_mov_b32_e32 v38, 0
	v_mov_b32_e32 v39, 0
	;; [unrolled: 1-line block ×13, first 2 shown]
	s_waitcnt lgkmcnt(0)
	s_add_u32 s4, s36, s0
	s_addc_u32 s5, s37, s1
	s_add_u32 s8, s42, s0
	s_addc_u32 s9, s43, s1
	s_load_dwordx2 s[4:5], s[4:5], 0x0
	s_load_dwordx2 s[8:9], s[8:9], 0x0
	v_cmp_lt_i64_e64 s33, s[12:13], 1
	v_mov_b32_e32 v27, 0
	v_mov_b32_e32 v24, 0
	v_mov_b32_e32 v25, 0
	v_mov_b32_e32 v22, 0
	v_mov_b32_e32 v23, 0
	v_mov_b32_e32 v20, 0
	v_mov_b32_e32 v21, 0
	v_mov_b32_e32 v18, 0
	v_mov_b32_e32 v19, 0
	v_mov_b32_e32 v16, 0
	v_mov_b32_e32 v17, 0
	v_mov_b32_e32 v14, 0
	v_mov_b32_e32 v15, 0
	v_mov_b32_e32 v12, 0
	v_mov_b32_e32 v13, 0
	v_mov_b32_e32 v10, 0
	v_mov_b32_e32 v11, 0
	v_mov_b32_e32 v9, 0
	v_mov_b32_e32 v8, 0
	s_ashr_i32 s7, s6, 31
	s_ashr_i32 s11, s10, 31
	s_lshl_b64 s[6:7], s[6:7], 6
	s_and_b32 vcc_lo, exec_lo, s33
	s_lshl_b64 s[10:11], s[10:11], 6
	s_cbranch_vccnz .LBB230_3
; %bb.1:
	v_lshl_add_u32 v9, v1, 4, v0
	v_and_b32_e32 v12, 3, v0
	s_add_u32 s16, s16, s0
	s_addc_u32 s17, s17, s1
	s_add_u32 s0, s22, s0
	v_lshrrev_b32_e32 v11, 2, v9
	v_lshrrev_b32_e32 v13, 6, v9
	s_addc_u32 s1, s23, s1
	s_load_dwordx2 s[16:17], s[16:17], 0x0
	s_load_dwordx2 s[0:1], s[0:1], 0x0
	s_lshl_b64 s[20:21], s[20:21], 3
	v_add_co_u32 v2, s33, v11, s10
	v_add_co_ci_u32_e64 v3, null, 0, s11, s33
	v_mad_u64_u32 v[4:5], null, s18, v13, s[6:7]
	v_lshlrev_b32_e32 v14, 3, v12
	v_mad_u64_u32 v[6:7], null, s24, v12, v[2:3]
	v_mov_b32_e32 v8, 0
	v_lshlrev_b32_e32 v40, 3, v0
	v_lshl_add_u32 v43, v1, 5, 0x800
	v_mov_b32_e32 v2, v5
	v_and_b32_e32 v5, 63, v9
	v_mov_b32_e32 v15, 0
	v_mov_b32_e32 v3, v7
	;; [unrolled: 1-line block ×3, first 2 shown]
	s_waitcnt lgkmcnt(0)
	s_add_u32 s16, s16, s20
	v_lshlrev_b32_e32 v7, 3, v5
	s_addc_u32 s17, s17, s21
	v_mad_u64_u32 v[9:10], null, s19, v13, v[2:3]
	v_mad_u64_u32 v[2:3], null, s25, v12, v[3:4]
	v_add_co_u32 v3, vcc_lo, v4, v5
	v_lshl_or_b32 v41, v13, 9, v7
	s_lshl_b64 s[20:21], s[26:27], 3
	v_add_co_ci_u32_e64 v4, null, 0, v9, vcc_lo
	v_mov_b32_e32 v7, v2
	v_lshl_or_b32 v10, v11, 5, v14
	v_mov_b32_e32 v9, 0
	v_lshlrev_b64 v[2:3], 3, v[3:4]
	v_mov_b32_e32 v11, 0
	v_lshlrev_b64 v[4:5], 3, v[6:7]
	v_add_nc_u32_e32 v42, 0x800, v10
	v_mov_b32_e32 v10, 0
	v_mov_b32_e32 v13, 0
	v_add_co_u32 v2, vcc_lo, s16, v2
	v_add_co_ci_u32_e64 v3, null, s17, v3, vcc_lo
	s_lshl_b64 s[16:17], s[18:19], 5
	s_add_u32 s0, s0, s20
	s_addc_u32 s1, s1, s21
	v_add_co_u32 v4, vcc_lo, s0, v4
	v_add_co_ci_u32_e64 v5, null, s1, v5, vcc_lo
	v_mov_b32_e32 v12, 0
	v_mov_b32_e32 v14, 0
	;; [unrolled: 1-line block ×25, first 2 shown]
	s_lshl_b64 s[18:19], s[24:25], 5
	s_mov_b64 s[20:21], 0
.LBB230_2:                              ; =>This Inner Loop Header: Depth=1
	flat_load_dwordx2 v[6:7], v[2:3]
	s_add_u32 s20, s20, 4
	s_addc_u32 s21, s21, 0
	v_add_co_u32 v2, vcc_lo, v2, s16
	v_cmp_lt_i64_e64 s0, s[20:21], s[12:13]
	v_add_co_ci_u32_e64 v3, null, s17, v3, vcc_lo
	s_and_b32 vcc_lo, exec_lo, s0
	s_waitcnt vmcnt(0) lgkmcnt(0)
	ds_write_b64 v41, v[6:7]
	flat_load_dwordx2 v[6:7], v[4:5]
	v_add_co_u32 v4, s0, v4, s18
	v_add_co_ci_u32_e64 v5, null, s19, v5, s0
	s_waitcnt vmcnt(0) lgkmcnt(0)
	v_xor_b32_e32 v7, 0x80000000, v7
	ds_write_b64 v42, v[6:7]
	s_waitcnt lgkmcnt(0)
	s_barrier
	buffer_gl0_inv
	ds_read_b128 v[44:47], v43
	ds_read2_b64 v[48:51], v40 offset1:16
	ds_read_b128 v[52:55], v43 offset:512
	ds_read_b128 v[56:59], v43 offset:16
	;; [unrolled: 1-line block ×7, first 2 shown]
	ds_read2_b64 v[80:83], v40 offset0:32 offset1:48
	ds_read2_b64 v[84:87], v40 offset0:64 offset1:80
	;; [unrolled: 1-line block ×7, first 2 shown]
	s_waitcnt lgkmcnt(0)
	s_barrier
	buffer_gl0_inv
	v_mul_f32_e32 v6, v45, v49
	v_mul_f32_e32 v7, v44, v49
	;; [unrolled: 1-line block ×64, first 2 shown]
	v_fma_f32 v6, v44, v48, -v6
	v_fmac_f32_e32 v7, v45, v48
	v_fma_f32 v108, v44, v50, -v108
	v_fmac_f32_e32 v109, v45, v50
	;; [unrolled: 2-line block ×16, first 2 shown]
	v_mul_f32_e32 v162, v57, v93
	v_mul_f32_e32 v163, v56, v93
	;; [unrolled: 1-line block ×28, first 2 shown]
	v_fma_f32 v124, v46, v84, -v134
	v_fmac_f32_e32 v135, v47, v84
	v_fma_f32 v126, v46, v86, -v136
	v_fmac_f32_e32 v137, v47, v86
	;; [unrolled: 2-line block ×4, first 2 shown]
	v_mul_f32_e32 v47, v77, v97
	v_mul_f32_e32 v97, v76, v97
	;; [unrolled: 1-line block ×4, first 2 shown]
	v_fma_f32 v132, v54, v84, -v142
	v_fmac_f32_e32 v143, v55, v84
	v_fma_f32 v133, v54, v86, -v144
	v_fmac_f32_e32 v145, v55, v86
	;; [unrolled: 2-line block ×4, first 2 shown]
	v_mul_f32_e32 v136, v58, v101
	v_mul_f32_e32 v140, v58, v103
	v_fma_f32 v142, v66, v84, -v150
	v_fmac_f32_e32 v151, v67, v84
	v_fma_f32 v144, v66, v86, -v152
	v_fmac_f32_e32 v153, v67, v86
	;; [unrolled: 2-line block ×4, first 2 shown]
	v_mul_f32_e32 v148, v58, v105
	v_mul_f32_e32 v152, v58, v107
	v_fma_f32 v154, v74, v84, -v158
	v_fmac_f32_e32 v85, v75, v84
	v_fma_f32 v84, v74, v86, -v159
	v_fmac_f32_e32 v87, v75, v86
	;; [unrolled: 2-line block ×4, first 2 shown]
	v_add_f32_e32 v6, v38, v6
	v_add_f32_e32 v7, v39, v7
	;; [unrolled: 1-line block ×32, first 2 shown]
	v_mul_f32_e32 v55, v59, v101
	v_mul_f32_e32 v138, v59, v103
	;; [unrolled: 1-line block ×16, first 2 shown]
	v_fma_f32 v162, v56, v92, -v162
	v_fmac_f32_e32 v163, v57, v92
	v_fma_f32 v164, v56, v94, -v164
	v_fmac_f32_e32 v165, v57, v94
	;; [unrolled: 2-line block ×8, first 2 shown]
	v_mul_f32_e32 v94, v71, v105
	v_mul_f32_e32 v175, v70, v105
	;; [unrolled: 1-line block ×4, first 2 shown]
	v_fma_f32 v176, v56, v96, -v176
	v_fmac_f32_e32 v177, v57, v96
	v_fma_f32 v56, v56, v98, -v178
	v_fmac_f32_e32 v179, v57, v98
	;; [unrolled: 2-line block ×8, first 2 shown]
	v_mul_f32_e32 v69, v79, v101
	v_mul_f32_e32 v73, v78, v101
	;; [unrolled: 1-line block ×4, first 2 shown]
	v_fmac_f32_e32 v136, v59, v100
	v_fmac_f32_e32 v140, v59, v102
	;; [unrolled: 1-line block ×4, first 2 shown]
	v_mul_f32_e32 v59, v79, v105
	v_mul_f32_e32 v96, v78, v105
	;; [unrolled: 1-line block ×4, first 2 shown]
	v_add_f32_e32 v6, v6, v124
	v_add_f32_e32 v7, v7, v135
	;; [unrolled: 1-line block ×32, first 2 shown]
	v_fma_f32 v55, v58, v100, -v55
	v_fma_f32 v82, v58, v102, -v138
	;; [unrolled: 1-line block ×5, first 2 shown]
	v_fmac_f32_e32 v156, v63, v100
	v_fma_f32 v103, v62, v102, -v158
	v_fmac_f32_e32 v159, v63, v102
	v_fma_f32 v75, v62, v104, -v75
	;; [unrolled: 2-line block ×11, first 2 shown]
	v_fmac_f32_e32 v101, v79, v106
	v_add_f32_e32 v6, v6, v162
	v_add_f32_e32 v7, v7, v163
	;; [unrolled: 1-line block ×64, first 2 shown]
	s_cbranch_vccnz .LBB230_2
.LBB230_3:
	s_lshl_b64 s[0:1], s[30:31], 3
	s_waitcnt lgkmcnt(0)
	s_add_u32 s8, s8, s0
	s_addc_u32 s9, s9, s1
	v_add_co_u32 v4, s1, s10, v1
	v_add_co_ci_u32_e64 v5, null, s11, 0, s1
	v_add_co_u32 v0, s1, s6, v0
	s_or_b32 s0, s2, s3
	v_add_co_ci_u32_e64 v1, null, s7, 0, s1
	s_bitset0_b32 s0, 31
	s_mov_b32 s6, 0
	s_cmp_lg_u32 s0, 0
	s_cbranch_scc1 .LBB230_5
; %bb.4:
	v_mul_lo_u32 v6, v5, s28
	v_mul_lo_u32 v40, v4, s29
	v_mad_u64_u32 v[2:3], null, v4, s28, 0
	v_mul_f32_e32 v42, s15, v39
	v_mul_f32_e32 v7, s14, v39
	;; [unrolled: 1-line block ×6, first 2 shown]
	v_add3_u32 v3, v3, v40, v6
	v_lshlrev_b64 v[40:41], 3, v[0:1]
	v_mul_f32_e32 v48, s15, v33
	v_mul_f32_e32 v47, s14, v33
	v_fma_f32 v6, v38, s14, -v42
	v_lshlrev_b64 v[2:3], 3, v[2:3]
	v_fmac_f32_e32 v7, s15, v38
	v_fma_f32 v42, v36, s14, -v44
	v_fmac_f32_e32 v43, s15, v36
	s_lshl_b64 s[0:1], s[28:29], 7
	v_fma_f32 v44, v34, s14, -v46
	v_add_co_u32 v49, vcc_lo, s8, v2
	v_add_co_ci_u32_e64 v50, null, s9, v3, vcc_lo
	v_fmac_f32_e32 v45, s15, v34
	v_add_co_u32 v2, vcc_lo, v49, v40
	v_add_co_ci_u32_e64 v3, null, v50, v41, vcc_lo
	v_fma_f32 v46, v32, s14, -v48
	v_fmac_f32_e32 v47, s15, v32
	v_add_co_u32 v48, vcc_lo, v49, s0
	flat_store_dwordx2 v[2:3], v[6:7]
	flat_store_dwordx2 v[2:3], v[42:43] offset:128
	flat_store_dwordx2 v[2:3], v[44:45] offset:256
	;; [unrolled: 1-line block ×3, first 2 shown]
	v_mul_f32_e32 v2, s15, v31
	v_mul_f32_e32 v3, s14, v31
	v_add_co_ci_u32_e64 v49, null, s1, v50, vcc_lo
	v_mul_f32_e32 v6, s15, v29
	v_mul_f32_e32 v7, s14, v29
	;; [unrolled: 1-line block ×4, first 2 shown]
	v_add_co_u32 v44, vcc_lo, v48, v40
	v_fma_f32 v2, v30, s14, -v2
	v_fmac_f32_e32 v3, s15, v30
	v_add_co_ci_u32_e64 v45, null, v49, v41, vcc_lo
	v_fma_f32 v6, v28, s14, -v6
	v_fmac_f32_e32 v7, s15, v28
	v_fma_f32 v42, v26, s14, -v42
	v_fmac_f32_e32 v43, s15, v26
	v_add_co_u32 v52, vcc_lo, v48, s0
	v_mul_f32_e32 v46, s15, v25
	v_mul_f32_e32 v47, s14, v25
	flat_store_dwordx2 v[44:45], v[2:3]
	flat_store_dwordx2 v[44:45], v[6:7] offset:128
	flat_store_dwordx2 v[44:45], v[42:43] offset:256
	v_mul_f32_e32 v2, s15, v23
	v_mul_f32_e32 v3, s14, v23
	v_add_co_ci_u32_e64 v53, null, s1, v49, vcc_lo
	v_mul_f32_e32 v42, s15, v21
	v_mul_f32_e32 v43, s14, v21
	v_mul_f32_e32 v48, s15, v19
	v_mul_f32_e32 v49, s14, v19
	v_add_co_u32 v6, vcc_lo, v52, v40
	v_mul_f32_e32 v50, s15, v17
	v_mul_f32_e32 v51, s14, v17
	v_fma_f32 v46, v24, s14, -v46
	v_fmac_f32_e32 v47, s15, v24
	v_fma_f32 v2, v22, s14, -v2
	v_fmac_f32_e32 v3, s15, v22
	v_add_co_ci_u32_e64 v7, null, v53, v41, vcc_lo
	v_fma_f32 v42, v20, s14, -v42
	v_fmac_f32_e32 v43, s15, v20
	v_fma_f32 v48, v18, s14, -v48
	v_fmac_f32_e32 v49, s15, v18
	;; [unrolled: 2-line block ×3, first 2 shown]
	flat_store_dwordx2 v[44:45], v[46:47] offset:384
	flat_store_dwordx2 v[6:7], v[2:3]
	flat_store_dwordx2 v[6:7], v[42:43] offset:128
	flat_store_dwordx2 v[6:7], v[48:49] offset:256
	;; [unrolled: 1-line block ×3, first 2 shown]
	v_mul_f32_e32 v2, s15, v15
	v_add_co_u32 v3, vcc_lo, v52, s0
	v_add_co_ci_u32_e64 v6, null, s1, v53, vcc_lo
	v_fma_f32 v42, v14, s14, -v2
	v_mul_f32_e32 v2, s15, v13
	v_add_co_u32 v40, vcc_lo, v3, v40
	v_mul_f32_e32 v43, s14, v15
	v_add_co_ci_u32_e64 v41, null, v6, v41, vcc_lo
	v_fma_f32 v44, v12, s14, -v2
	v_mul_f32_e32 v2, s15, v11
	v_mul_f32_e32 v3, s15, v8
	;; [unrolled: 1-line block ×5, first 2 shown]
	v_fma_f32 v46, v10, s14, -v2
	v_add_co_u32 v2, vcc_lo, 0x180, v40
	v_fmac_f32_e32 v43, s15, v14
	v_fma_f32 v7, v9, s14, -v3
	v_fmac_f32_e32 v6, s15, v9
	v_add_co_ci_u32_e64 v3, null, 0, v41, vcc_lo
	v_fmac_f32_e32 v45, s15, v12
	v_fmac_f32_e32 v47, s15, v10
	flat_store_dwordx2 v[40:41], v[42:43]
	flat_store_dwordx2 v[40:41], v[44:45] offset:128
	flat_store_dwordx2 v[40:41], v[46:47] offset:256
	flat_store_dword v[40:41], v7 offset:384
	s_andn2_b32 vcc_lo, exec_lo, s6
	s_cbranch_vccz .LBB230_6
	s_branch .LBB230_7
.LBB230_5:
                                        ; implicit-def: $vgpr6
                                        ; implicit-def: $vgpr2_vgpr3
.LBB230_6:
	v_mul_lo_u32 v6, v5, s38
	v_mul_lo_u32 v7, v4, s39
	v_mad_u64_u32 v[2:3], null, v4, s38, 0
	s_lshl_b64 s[0:1], s[40:41], 3
	v_lshlrev_b64 v[0:1], 3, v[0:1]
	s_add_u32 s0, s4, s0
	s_addc_u32 s1, s5, s1
	v_mul_lo_u32 v42, v5, s28
	v_mul_lo_u32 v43, v4, s29
	v_add3_u32 v3, v3, v7, v6
	v_mad_u64_u32 v[4:5], null, v4, s28, 0
	s_lshl_b64 s[4:5], s[28:29], 7
	v_lshlrev_b64 v[2:3], 3, v[2:3]
	v_add3_u32 v5, v5, v43, v42
	v_mul_f32_e32 v42, s15, v39
	v_add_co_u32 v40, vcc_lo, s0, v2
	v_add_co_ci_u32_e64 v41, null, s1, v3, vcc_lo
	v_mul_f32_e32 v39, s14, v39
	v_add_co_u32 v2, vcc_lo, v40, v0
	v_add_co_ci_u32_e64 v3, null, v41, v1, vcc_lo
	v_lshlrev_b64 v[4:5], 3, v[4:5]
	v_fma_f32 v42, v38, s14, -v42
	v_fmac_f32_e32 v39, s15, v38
	flat_load_dwordx2 v[6:7], v[2:3]
	s_lshl_b64 s[0:1], s[38:39], 7
	v_add_co_u32 v43, vcc_lo, s8, v4
	v_add_co_ci_u32_e64 v44, null, s9, v5, vcc_lo
	v_add_co_u32 v4, vcc_lo, v43, v0
	v_add_co_ci_u32_e64 v5, null, v44, v1, vcc_lo
	s_waitcnt vmcnt(0) lgkmcnt(0)
	v_mul_f32_e32 v38, s3, v7
	v_mul_f32_e32 v7, s2, v7
	v_fma_f32 v38, v6, s2, -v38
	v_fmac_f32_e32 v7, s3, v6
	v_add_f32_e32 v6, v42, v38
	v_add_f32_e32 v7, v39, v7
	v_mul_f32_e32 v38, s15, v37
	v_mul_f32_e32 v37, s14, v37
	flat_store_dwordx2 v[4:5], v[6:7]
	flat_load_dwordx2 v[6:7], v[2:3] offset:128
	v_fma_f32 v38, v36, s14, -v38
	v_fmac_f32_e32 v37, s15, v36
	s_waitcnt vmcnt(0) lgkmcnt(0)
	v_mul_f32_e32 v39, s3, v7
	v_mul_f32_e32 v7, s2, v7
	v_fma_f32 v36, v6, s2, -v39
	v_fmac_f32_e32 v7, s3, v6
	v_add_f32_e32 v6, v38, v36
	v_add_f32_e32 v7, v37, v7
	v_mul_f32_e32 v36, s15, v35
	v_mul_f32_e32 v35, s14, v35
	flat_store_dwordx2 v[4:5], v[6:7] offset:128
	flat_load_dwordx2 v[6:7], v[2:3] offset:256
	v_fma_f32 v36, v34, s14, -v36
	v_fmac_f32_e32 v35, s15, v34
	s_waitcnt vmcnt(0) lgkmcnt(0)
	v_mul_f32_e32 v37, s3, v7
	v_mul_f32_e32 v7, s2, v7
	v_fma_f32 v34, v6, s2, -v37
	v_fmac_f32_e32 v7, s3, v6
	v_add_f32_e32 v6, v36, v34
	v_add_f32_e32 v7, v35, v7
	flat_store_dwordx2 v[4:5], v[6:7] offset:256
	flat_load_dwordx2 v[2:3], v[2:3] offset:384
	v_mul_f32_e32 v6, s15, v33
	v_mul_f32_e32 v7, s14, v33
	v_fma_f32 v6, v32, s14, -v6
	v_fmac_f32_e32 v7, s15, v32
	s_waitcnt vmcnt(0) lgkmcnt(0)
	v_mul_f32_e32 v33, s3, v3
	v_mul_f32_e32 v3, s2, v3
	v_fma_f32 v32, v2, s2, -v33
	v_add_co_u32 v33, vcc_lo, v40, s0
	v_fmac_f32_e32 v3, s3, v2
	v_add_co_ci_u32_e64 v34, null, s1, v41, vcc_lo
	v_add_f32_e32 v2, v6, v32
	v_add_co_u32 v6, vcc_lo, v33, v0
	v_add_f32_e32 v3, v7, v3
	v_add_co_ci_u32_e64 v7, null, v34, v1, vcc_lo
	v_add_co_u32 v32, vcc_lo, v43, s4
	flat_store_dwordx2 v[4:5], v[2:3] offset:384
	flat_load_dwordx2 v[2:3], v[6:7]
	v_mul_f32_e32 v4, s15, v31
	v_mul_f32_e32 v5, s14, v31
	v_add_co_ci_u32_e64 v35, null, s5, v44, vcc_lo
	v_fma_f32 v4, v30, s14, -v4
	v_fmac_f32_e32 v5, s15, v30
	s_waitcnt vmcnt(0) lgkmcnt(0)
	v_mul_f32_e32 v30, s3, v3
	v_mul_f32_e32 v31, s2, v3
	v_fma_f32 v30, v2, s2, -v30
	v_fmac_f32_e32 v31, s3, v2
	v_add_co_u32 v2, vcc_lo, v32, v0
	v_add_co_ci_u32_e64 v3, null, v35, v1, vcc_lo
	v_add_f32_e32 v4, v4, v30
	v_add_f32_e32 v5, v5, v31
	v_mul_f32_e32 v30, s15, v29
	v_mul_f32_e32 v29, s14, v29
	flat_store_dwordx2 v[2:3], v[4:5]
	flat_load_dwordx2 v[4:5], v[6:7] offset:128
	v_fma_f32 v30, v28, s14, -v30
	v_fmac_f32_e32 v29, s15, v28
	s_waitcnt vmcnt(0) lgkmcnt(0)
	v_mul_f32_e32 v31, s3, v5
	v_mul_f32_e32 v5, s2, v5
	v_fma_f32 v28, v4, s2, -v31
	v_fmac_f32_e32 v5, s3, v4
	v_add_f32_e32 v4, v30, v28
	v_add_f32_e32 v5, v29, v5
	v_mul_f32_e32 v28, s15, v27
	v_mul_f32_e32 v27, s14, v27
	flat_store_dwordx2 v[2:3], v[4:5] offset:128
	flat_load_dwordx2 v[4:5], v[6:7] offset:256
	v_fma_f32 v28, v26, s14, -v28
	v_fmac_f32_e32 v27, s15, v26
	s_waitcnt vmcnt(0) lgkmcnt(0)
	v_mul_f32_e32 v29, s3, v5
	v_mul_f32_e32 v5, s2, v5
	v_fma_f32 v26, v4, s2, -v29
	v_fmac_f32_e32 v5, s3, v4
	v_add_f32_e32 v4, v28, v26
	v_add_f32_e32 v5, v27, v5
	flat_store_dwordx2 v[2:3], v[4:5] offset:256
	flat_load_dwordx2 v[4:5], v[6:7] offset:384
	v_mul_f32_e32 v6, s15, v25
	v_mul_f32_e32 v7, s14, v25
	v_fma_f32 v6, v24, s14, -v6
	v_fmac_f32_e32 v7, s15, v24
	s_waitcnt vmcnt(0) lgkmcnt(0)
	v_mul_f32_e32 v25, s3, v5
	v_mul_f32_e32 v5, s2, v5
	v_fma_f32 v24, v4, s2, -v25
	v_add_co_u32 v25, vcc_lo, v33, s0
	v_fmac_f32_e32 v5, s3, v4
	v_add_co_ci_u32_e64 v26, null, s1, v34, vcc_lo
	v_add_f32_e32 v4, v6, v24
	v_add_co_u32 v6, vcc_lo, v25, v0
	v_add_f32_e32 v5, v7, v5
	v_add_co_ci_u32_e64 v7, null, v26, v1, vcc_lo
	v_add_co_u32 v24, vcc_lo, v32, s4
	flat_store_dwordx2 v[2:3], v[4:5] offset:384
	flat_load_dwordx2 v[2:3], v[6:7]
	v_mul_f32_e32 v4, s15, v23
	v_mul_f32_e32 v5, s14, v23
	v_add_co_ci_u32_e64 v27, null, s5, v35, vcc_lo
	v_fma_f32 v4, v22, s14, -v4
	v_fmac_f32_e32 v5, s15, v22
	s_waitcnt vmcnt(0) lgkmcnt(0)
	v_mul_f32_e32 v22, s3, v3
	v_mul_f32_e32 v23, s2, v3
	v_fma_f32 v22, v2, s2, -v22
	v_fmac_f32_e32 v23, s3, v2
	v_add_co_u32 v2, vcc_lo, v24, v0
	v_add_co_ci_u32_e64 v3, null, v27, v1, vcc_lo
	v_add_f32_e32 v4, v4, v22
	v_add_f32_e32 v5, v5, v23
	v_mul_f32_e32 v22, s15, v21
	v_mul_f32_e32 v21, s14, v21
	flat_store_dwordx2 v[2:3], v[4:5]
	flat_load_dwordx2 v[4:5], v[6:7] offset:128
	v_fma_f32 v22, v20, s14, -v22
	v_fmac_f32_e32 v21, s15, v20
	s_waitcnt vmcnt(0) lgkmcnt(0)
	v_mul_f32_e32 v23, s3, v5
	v_mul_f32_e32 v5, s2, v5
	v_fma_f32 v20, v4, s2, -v23
	v_fmac_f32_e32 v5, s3, v4
	v_add_f32_e32 v4, v22, v20
	v_add_f32_e32 v5, v21, v5
	v_mul_f32_e32 v20, s15, v19
	v_mul_f32_e32 v19, s14, v19
	flat_store_dwordx2 v[2:3], v[4:5] offset:128
	flat_load_dwordx2 v[4:5], v[6:7] offset:256
	v_fma_f32 v20, v18, s14, -v20
	v_fmac_f32_e32 v19, s15, v18
	s_waitcnt vmcnt(0) lgkmcnt(0)
	v_mul_f32_e32 v21, s3, v5
	v_mul_f32_e32 v5, s2, v5
	v_fma_f32 v18, v4, s2, -v21
	v_fmac_f32_e32 v5, s3, v4
	v_add_f32_e32 v4, v20, v18
	v_add_f32_e32 v5, v19, v5
	flat_store_dwordx2 v[2:3], v[4:5] offset:256
	flat_load_dwordx2 v[4:5], v[6:7] offset:384
	v_mul_f32_e32 v6, s15, v17
	v_mul_f32_e32 v7, s14, v17
	v_fma_f32 v6, v16, s14, -v6
	v_fmac_f32_e32 v7, s15, v16
	s_waitcnt vmcnt(0) lgkmcnt(0)
	v_mul_f32_e32 v17, s3, v5
	v_mul_f32_e32 v5, s2, v5
	v_fma_f32 v16, v4, s2, -v17
	v_add_co_u32 v17, vcc_lo, v25, s0
	v_fmac_f32_e32 v5, s3, v4
	v_add_co_ci_u32_e64 v18, null, s1, v26, vcc_lo
	v_add_f32_e32 v4, v6, v16
	v_add_co_u32 v6, vcc_lo, v17, v0
	v_add_f32_e32 v5, v7, v5
	v_add_co_ci_u32_e64 v7, null, v18, v1, vcc_lo
	flat_store_dwordx2 v[2:3], v[4:5] offset:384
	flat_load_dwordx2 v[2:3], v[6:7]
	v_mul_f32_e32 v4, s15, v15
	v_mul_f32_e32 v5, s14, v15
	v_add_co_u32 v15, vcc_lo, v24, s4
	v_add_co_ci_u32_e64 v16, null, s5, v27, vcc_lo
	v_fma_f32 v4, v14, s14, -v4
	v_fmac_f32_e32 v5, s15, v14
	v_add_co_u32 v0, vcc_lo, v15, v0
	v_add_co_ci_u32_e64 v1, null, v16, v1, vcc_lo
	s_waitcnt vmcnt(0) lgkmcnt(0)
	v_mul_f32_e32 v14, s3, v3
	v_mul_f32_e32 v3, s2, v3
	v_fma_f32 v14, v2, s2, -v14
	v_fmac_f32_e32 v3, s3, v2
	v_add_f32_e32 v2, v4, v14
	v_add_f32_e32 v3, v5, v3
	v_mul_f32_e32 v4, s15, v13
	v_mul_f32_e32 v5, s14, v13
	flat_store_dwordx2 v[0:1], v[2:3]
	flat_load_dwordx2 v[2:3], v[6:7] offset:128
	v_fma_f32 v4, v12, s14, -v4
	v_fmac_f32_e32 v5, s15, v12
	s_waitcnt vmcnt(0) lgkmcnt(0)
	v_mul_f32_e32 v13, s3, v3
	v_mul_f32_e32 v3, s2, v3
	v_fma_f32 v12, v2, s2, -v13
	v_fmac_f32_e32 v3, s3, v2
	v_add_f32_e32 v2, v4, v12
	v_add_f32_e32 v3, v5, v3
	v_mul_f32_e32 v4, s15, v11
	v_mul_f32_e32 v5, s14, v11
	flat_store_dwordx2 v[0:1], v[2:3] offset:128
	flat_load_dwordx2 v[2:3], v[6:7] offset:256
	v_fma_f32 v4, v10, s14, -v4
	v_fmac_f32_e32 v5, s15, v10
	s_waitcnt vmcnt(0) lgkmcnt(0)
	v_mul_f32_e32 v11, s3, v3
	v_mul_f32_e32 v3, s2, v3
	v_fma_f32 v10, v2, s2, -v11
	v_fmac_f32_e32 v3, s3, v2
	v_add_f32_e32 v2, v4, v10
	v_add_f32_e32 v3, v5, v3
	v_mul_f32_e32 v4, s15, v8
	v_mul_f32_e32 v5, s14, v8
	flat_store_dwordx2 v[0:1], v[2:3] offset:256
	flat_load_dwordx2 v[2:3], v[6:7] offset:384
	v_fma_f32 v4, v9, s14, -v4
	v_fmac_f32_e32 v5, s15, v9
	s_waitcnt vmcnt(0) lgkmcnt(0)
	v_mul_f32_e32 v6, s3, v3
	v_mul_f32_e32 v3, s2, v3
	v_fma_f32 v6, v2, s2, -v6
	v_fmac_f32_e32 v3, s3, v2
	v_add_co_u32 v2, vcc_lo, 0x180, v0
	v_add_f32_e32 v4, v4, v6
	v_add_f32_e32 v6, v5, v3
	v_add_co_ci_u32_e64 v3, null, 0, v1, vcc_lo
	flat_store_dword v[0:1], v4 offset:384
.LBB230_7:
	flat_store_dword v[2:3], v6 offset:4
	s_endpgm
	.section	.rodata,"a",@progbits
	.p2align	6, 0x0
	.amdhsa_kernel _ZN12_GLOBAL__N_127rocblas_gemm_batched_kernelI19rocblas_complex_numIfELi16ELi16ELi64ELi64ELi4ELi64ELi4ELi4ELi64ELc78ELc67EKPKS2_S5_KPS2_EEvlllT_PT11_llSA_llS8_PT12_llPT13_lli
		.amdhsa_group_segment_fixed_size 4096
		.amdhsa_private_segment_fixed_size 0
		.amdhsa_kernarg_size 140
		.amdhsa_user_sgpr_count 6
		.amdhsa_user_sgpr_private_segment_buffer 1
		.amdhsa_user_sgpr_dispatch_ptr 0
		.amdhsa_user_sgpr_queue_ptr 0
		.amdhsa_user_sgpr_kernarg_segment_ptr 1
		.amdhsa_user_sgpr_dispatch_id 0
		.amdhsa_user_sgpr_flat_scratch_init 0
		.amdhsa_user_sgpr_private_segment_size 0
		.amdhsa_wavefront_size32 1
		.amdhsa_uses_dynamic_stack 0
		.amdhsa_system_sgpr_private_segment_wavefront_offset 0
		.amdhsa_system_sgpr_workgroup_id_x 1
		.amdhsa_system_sgpr_workgroup_id_y 1
		.amdhsa_system_sgpr_workgroup_id_z 1
		.amdhsa_system_sgpr_workgroup_info 0
		.amdhsa_system_vgpr_workitem_id 1
		.amdhsa_next_free_vgpr 188
		.amdhsa_next_free_sgpr 44
		.amdhsa_reserve_vcc 1
		.amdhsa_reserve_flat_scratch 0
		.amdhsa_float_round_mode_32 0
		.amdhsa_float_round_mode_16_64 0
		.amdhsa_float_denorm_mode_32 3
		.amdhsa_float_denorm_mode_16_64 3
		.amdhsa_dx10_clamp 1
		.amdhsa_ieee_mode 1
		.amdhsa_fp16_overflow 0
		.amdhsa_workgroup_processor_mode 1
		.amdhsa_memory_ordered 1
		.amdhsa_forward_progress 1
		.amdhsa_shared_vgpr_count 0
		.amdhsa_exception_fp_ieee_invalid_op 0
		.amdhsa_exception_fp_denorm_src 0
		.amdhsa_exception_fp_ieee_div_zero 0
		.amdhsa_exception_fp_ieee_overflow 0
		.amdhsa_exception_fp_ieee_underflow 0
		.amdhsa_exception_fp_ieee_inexact 0
		.amdhsa_exception_int_div_zero 0
	.end_amdhsa_kernel
	.section	.text._ZN12_GLOBAL__N_127rocblas_gemm_batched_kernelI19rocblas_complex_numIfELi16ELi16ELi64ELi64ELi4ELi64ELi4ELi4ELi64ELc78ELc67EKPKS2_S5_KPS2_EEvlllT_PT11_llSA_llS8_PT12_llPT13_lli,"axG",@progbits,_ZN12_GLOBAL__N_127rocblas_gemm_batched_kernelI19rocblas_complex_numIfELi16ELi16ELi64ELi64ELi4ELi64ELi4ELi4ELi64ELc78ELc67EKPKS2_S5_KPS2_EEvlllT_PT11_llSA_llS8_PT12_llPT13_lli,comdat
.Lfunc_end230:
	.size	_ZN12_GLOBAL__N_127rocblas_gemm_batched_kernelI19rocblas_complex_numIfELi16ELi16ELi64ELi64ELi4ELi64ELi4ELi4ELi64ELc78ELc67EKPKS2_S5_KPS2_EEvlllT_PT11_llSA_llS8_PT12_llPT13_lli, .Lfunc_end230-_ZN12_GLOBAL__N_127rocblas_gemm_batched_kernelI19rocblas_complex_numIfELi16ELi16ELi64ELi64ELi4ELi64ELi4ELi4ELi64ELc78ELc67EKPKS2_S5_KPS2_EEvlllT_PT11_llSA_llS8_PT12_llPT13_lli
                                        ; -- End function
	.set _ZN12_GLOBAL__N_127rocblas_gemm_batched_kernelI19rocblas_complex_numIfELi16ELi16ELi64ELi64ELi4ELi64ELi4ELi4ELi64ELc78ELc67EKPKS2_S5_KPS2_EEvlllT_PT11_llSA_llS8_PT12_llPT13_lli.num_vgpr, 188
	.set _ZN12_GLOBAL__N_127rocblas_gemm_batched_kernelI19rocblas_complex_numIfELi16ELi16ELi64ELi64ELi4ELi64ELi4ELi4ELi64ELc78ELc67EKPKS2_S5_KPS2_EEvlllT_PT11_llSA_llS8_PT12_llPT13_lli.num_agpr, 0
	.set _ZN12_GLOBAL__N_127rocblas_gemm_batched_kernelI19rocblas_complex_numIfELi16ELi16ELi64ELi64ELi4ELi64ELi4ELi4ELi64ELc78ELc67EKPKS2_S5_KPS2_EEvlllT_PT11_llSA_llS8_PT12_llPT13_lli.numbered_sgpr, 44
	.set _ZN12_GLOBAL__N_127rocblas_gemm_batched_kernelI19rocblas_complex_numIfELi16ELi16ELi64ELi64ELi4ELi64ELi4ELi4ELi64ELc78ELc67EKPKS2_S5_KPS2_EEvlllT_PT11_llSA_llS8_PT12_llPT13_lli.num_named_barrier, 0
	.set _ZN12_GLOBAL__N_127rocblas_gemm_batched_kernelI19rocblas_complex_numIfELi16ELi16ELi64ELi64ELi4ELi64ELi4ELi4ELi64ELc78ELc67EKPKS2_S5_KPS2_EEvlllT_PT11_llSA_llS8_PT12_llPT13_lli.private_seg_size, 0
	.set _ZN12_GLOBAL__N_127rocblas_gemm_batched_kernelI19rocblas_complex_numIfELi16ELi16ELi64ELi64ELi4ELi64ELi4ELi4ELi64ELc78ELc67EKPKS2_S5_KPS2_EEvlllT_PT11_llSA_llS8_PT12_llPT13_lli.uses_vcc, 1
	.set _ZN12_GLOBAL__N_127rocblas_gemm_batched_kernelI19rocblas_complex_numIfELi16ELi16ELi64ELi64ELi4ELi64ELi4ELi4ELi64ELc78ELc67EKPKS2_S5_KPS2_EEvlllT_PT11_llSA_llS8_PT12_llPT13_lli.uses_flat_scratch, 0
	.set _ZN12_GLOBAL__N_127rocblas_gemm_batched_kernelI19rocblas_complex_numIfELi16ELi16ELi64ELi64ELi4ELi64ELi4ELi4ELi64ELc78ELc67EKPKS2_S5_KPS2_EEvlllT_PT11_llSA_llS8_PT12_llPT13_lli.has_dyn_sized_stack, 0
	.set _ZN12_GLOBAL__N_127rocblas_gemm_batched_kernelI19rocblas_complex_numIfELi16ELi16ELi64ELi64ELi4ELi64ELi4ELi4ELi64ELc78ELc67EKPKS2_S5_KPS2_EEvlllT_PT11_llSA_llS8_PT12_llPT13_lli.has_recursion, 0
	.set _ZN12_GLOBAL__N_127rocblas_gemm_batched_kernelI19rocblas_complex_numIfELi16ELi16ELi64ELi64ELi4ELi64ELi4ELi4ELi64ELc78ELc67EKPKS2_S5_KPS2_EEvlllT_PT11_llSA_llS8_PT12_llPT13_lli.has_indirect_call, 0
	.section	.AMDGPU.csdata,"",@progbits
; Kernel info:
; codeLenInByte = 4912
; TotalNumSgprs: 46
; NumVgprs: 188
; ScratchSize: 0
; MemoryBound: 0
; FloatMode: 240
; IeeeMode: 1
; LDSByteSize: 4096 bytes/workgroup (compile time only)
; SGPRBlocks: 0
; VGPRBlocks: 23
; NumSGPRsForWavesPerEU: 46
; NumVGPRsForWavesPerEU: 188
; Occupancy: 5
; WaveLimiterHint : 1
; COMPUTE_PGM_RSRC2:SCRATCH_EN: 0
; COMPUTE_PGM_RSRC2:USER_SGPR: 6
; COMPUTE_PGM_RSRC2:TRAP_HANDLER: 0
; COMPUTE_PGM_RSRC2:TGID_X_EN: 1
; COMPUTE_PGM_RSRC2:TGID_Y_EN: 1
; COMPUTE_PGM_RSRC2:TGID_Z_EN: 1
; COMPUTE_PGM_RSRC2:TIDIG_COMP_CNT: 1
	.section	.text._ZN12_GLOBAL__N_127rocblas_gemm_batched_kernelI19rocblas_complex_numIfELi16ELi16ELi64ELi64ELi4ELi64ELi4ELi4ELi64ELc84ELc67EKPKS2_S5_KPS2_EEvlllT_PT11_llSA_llS8_PT12_llPT13_lli,"axG",@progbits,_ZN12_GLOBAL__N_127rocblas_gemm_batched_kernelI19rocblas_complex_numIfELi16ELi16ELi64ELi64ELi4ELi64ELi4ELi4ELi64ELc84ELc67EKPKS2_S5_KPS2_EEvlllT_PT11_llSA_llS8_PT12_llPT13_lli,comdat
	.globl	_ZN12_GLOBAL__N_127rocblas_gemm_batched_kernelI19rocblas_complex_numIfELi16ELi16ELi64ELi64ELi4ELi64ELi4ELi4ELi64ELc84ELc67EKPKS2_S5_KPS2_EEvlllT_PT11_llSA_llS8_PT12_llPT13_lli ; -- Begin function _ZN12_GLOBAL__N_127rocblas_gemm_batched_kernelI19rocblas_complex_numIfELi16ELi16ELi64ELi64ELi4ELi64ELi4ELi4ELi64ELc84ELc67EKPKS2_S5_KPS2_EEvlllT_PT11_llSA_llS8_PT12_llPT13_lli
	.p2align	8
	.type	_ZN12_GLOBAL__N_127rocblas_gemm_batched_kernelI19rocblas_complex_numIfELi16ELi16ELi64ELi64ELi4ELi64ELi4ELi4ELi64ELc84ELc67EKPKS2_S5_KPS2_EEvlllT_PT11_llSA_llS8_PT12_llPT13_lli,@function
_ZN12_GLOBAL__N_127rocblas_gemm_batched_kernelI19rocblas_complex_numIfELi16ELi16ELi64ELi64ELi4ELi64ELi4ELi4ELi64ELc84ELc67EKPKS2_S5_KPS2_EEvlllT_PT11_llSA_llS8_PT12_llPT13_lli: ; @_ZN12_GLOBAL__N_127rocblas_gemm_batched_kernelI19rocblas_complex_numIfELi16ELi16ELi64ELi64ELi4ELi64ELi4ELi4ELi64ELc84ELc67EKPKS2_S5_KPS2_EEvlllT_PT11_llSA_llS8_PT12_llPT13_lli
; %bb.0:
	s_clause 0x1
	s_load_dwordx8 s[36:43], s[4:5], 0x58
	s_load_dwordx16 s[12:27], s[4:5], 0x10
	s_mov_b32 s9, 0
	s_clause 0x1
	s_load_dwordx4 s[28:31], s[4:5], 0x78
	s_load_dwordx2 s[2:3], s[4:5], 0x50
	s_lshl_b64 s[0:1], s[8:9], 3
	s_mov_b32 s10, s7
	v_mov_b32_e32 v38, 0
	v_mov_b32_e32 v39, 0
	;; [unrolled: 1-line block ×13, first 2 shown]
	s_waitcnt lgkmcnt(0)
	s_add_u32 s4, s36, s0
	s_addc_u32 s5, s37, s1
	s_add_u32 s8, s42, s0
	s_addc_u32 s9, s43, s1
	s_load_dwordx2 s[4:5], s[4:5], 0x0
	s_load_dwordx2 s[8:9], s[8:9], 0x0
	v_cmp_lt_i64_e64 s33, s[12:13], 1
	v_mov_b32_e32 v27, 0
	v_mov_b32_e32 v24, 0
	;; [unrolled: 1-line block ×19, first 2 shown]
	s_ashr_i32 s7, s6, 31
	s_ashr_i32 s11, s10, 31
	s_lshl_b64 s[6:7], s[6:7], 6
	s_and_b32 vcc_lo, exec_lo, s33
	s_lshl_b64 s[10:11], s[10:11], 6
	s_cbranch_vccnz .LBB231_3
; %bb.1:
	v_lshl_add_u32 v6, v1, 4, v0
	v_and_b32_e32 v7, 3, v0
	s_add_u32 s16, s16, s0
	s_addc_u32 s17, s17, s1
	s_add_u32 s0, s22, s0
	v_lshrrev_b32_e32 v9, 2, v6
	v_and_b32_e32 v10, 63, v6
	s_addc_u32 s1, s23, s1
	v_lshlrev_b32_e32 v13, 3, v7
	s_load_dwordx2 s[16:17], s[16:17], 0x0
	s_load_dwordx2 s[0:1], s[0:1], 0x0
	v_add_co_u32 v2, s33, v9, s10
	v_add_co_ci_u32_e64 v3, null, 0, s11, s33
	v_add_co_u32 v4, s33, s6, v10
	v_add_co_ci_u32_e64 v5, null, s7, 0, s33
	v_mad_u64_u32 v[2:3], null, s24, v7, v[2:3]
	v_mul_lo_u32 v11, s19, v4
	v_mul_lo_u32 v12, s18, v5
	v_mad_u64_u32 v[4:5], null, s18, v4, 0
	v_lshrrev_b32_e32 v14, 6, v6
	s_lshl_b64 s[18:19], s[20:21], 3
	v_lshlrev_b32_e32 v10, 3, v10
	v_mov_b32_e32 v8, 0
	v_lshlrev_b32_e32 v42, 3, v0
	v_lshl_add_u32 v43, v1, 5, 0x800
	v_add3_u32 v5, v5, v12, v11
	v_mad_u64_u32 v[6:7], null, s25, v7, v[3:4]
	v_lshl_or_b32 v3, v9, 5, v13
	v_lshl_or_b32 v40, v14, 9, v10
	v_lshlrev_b64 v[4:5], 3, v[4:5]
	v_mov_b32_e32 v9, 0
	v_mov_b32_e32 v11, 0
	v_add_nc_u32_e32 v41, 0x800, v3
	v_mov_b32_e32 v3, v6
	v_lshlrev_b32_e32 v6, 3, v14
	v_add_co_u32 v4, vcc_lo, v4, s18
	v_add_co_ci_u32_e64 v5, null, s19, v5, vcc_lo
	s_lshl_b64 s[18:19], s[26:27], 3
	v_add_co_u32 v6, vcc_lo, v4, v6
	v_add_co_ci_u32_e64 v7, null, 0, v5, vcc_lo
	v_lshlrev_b64 v[4:5], 3, v[2:3]
	s_waitcnt lgkmcnt(0)
	v_add_co_u32 v2, vcc_lo, s16, v6
	s_add_u32 s0, s0, s18
	v_add_co_ci_u32_e64 v3, null, s17, v7, vcc_lo
	s_addc_u32 s1, s1, s19
	v_add_co_u32 v4, vcc_lo, s0, v4
	v_add_co_ci_u32_e64 v5, null, s1, v5, vcc_lo
	v_mov_b32_e32 v10, 0
	v_mov_b32_e32 v13, 0
	;; [unrolled: 1-line block ×29, first 2 shown]
	s_lshl_b64 s[16:17], s[24:25], 5
	s_mov_b64 s[18:19], 0
.LBB231_2:                              ; =>This Inner Loop Header: Depth=1
	flat_load_dwordx2 v[6:7], v[2:3]
	s_add_u32 s18, s18, 4
	s_addc_u32 s19, s19, 0
	v_add_co_u32 v2, vcc_lo, v2, 32
	v_cmp_lt_i64_e64 s0, s[18:19], s[12:13]
	v_add_co_ci_u32_e64 v3, null, 0, v3, vcc_lo
	s_and_b32 vcc_lo, exec_lo, s0
	s_waitcnt vmcnt(0) lgkmcnt(0)
	ds_write_b64 v40, v[6:7]
	flat_load_dwordx2 v[6:7], v[4:5]
	v_add_co_u32 v4, s0, v4, s16
	v_add_co_ci_u32_e64 v5, null, s17, v5, s0
	s_waitcnt vmcnt(0) lgkmcnt(0)
	v_xor_b32_e32 v7, 0x80000000, v7
	ds_write_b64 v41, v[6:7]
	s_waitcnt lgkmcnt(0)
	s_barrier
	buffer_gl0_inv
	ds_read_b128 v[44:47], v43
	ds_read2_b64 v[48:51], v42 offset1:16
	ds_read_b128 v[52:55], v43 offset:512
	ds_read_b128 v[56:59], v43 offset:16
	ds_read_b128 v[60:63], v43 offset:528
	ds_read_b128 v[64:67], v43 offset:1024
	ds_read_b128 v[68:71], v43 offset:1040
	ds_read_b128 v[72:75], v43 offset:1536
	ds_read_b128 v[76:79], v43 offset:1552
	ds_read2_b64 v[80:83], v42 offset0:32 offset1:48
	ds_read2_b64 v[84:87], v42 offset0:64 offset1:80
	;; [unrolled: 1-line block ×7, first 2 shown]
	s_waitcnt lgkmcnt(0)
	s_barrier
	buffer_gl0_inv
	v_mul_f32_e32 v6, v45, v49
	v_mul_f32_e32 v7, v44, v49
	;; [unrolled: 1-line block ×64, first 2 shown]
	v_fma_f32 v6, v44, v48, -v6
	v_fmac_f32_e32 v7, v45, v48
	v_fma_f32 v108, v44, v50, -v108
	v_fmac_f32_e32 v109, v45, v50
	;; [unrolled: 2-line block ×16, first 2 shown]
	v_mul_f32_e32 v162, v57, v93
	v_mul_f32_e32 v163, v56, v93
	;; [unrolled: 1-line block ×28, first 2 shown]
	v_fma_f32 v124, v46, v84, -v134
	v_fmac_f32_e32 v135, v47, v84
	v_fma_f32 v126, v46, v86, -v136
	v_fmac_f32_e32 v137, v47, v86
	;; [unrolled: 2-line block ×4, first 2 shown]
	v_mul_f32_e32 v47, v77, v97
	v_mul_f32_e32 v97, v76, v97
	v_mul_f32_e32 v130, v77, v99
	v_mul_f32_e32 v99, v76, v99
	v_fma_f32 v132, v54, v84, -v142
	v_fmac_f32_e32 v143, v55, v84
	v_fma_f32 v133, v54, v86, -v144
	v_fmac_f32_e32 v145, v55, v86
	;; [unrolled: 2-line block ×4, first 2 shown]
	v_mul_f32_e32 v136, v58, v101
	v_mul_f32_e32 v140, v58, v103
	v_fma_f32 v142, v66, v84, -v150
	v_fmac_f32_e32 v151, v67, v84
	v_fma_f32 v144, v66, v86, -v152
	v_fmac_f32_e32 v153, v67, v86
	v_fma_f32 v146, v66, v88, -v154
	v_fmac_f32_e32 v155, v67, v88
	v_fma_f32 v66, v66, v90, -v156
	v_fmac_f32_e32 v157, v67, v90
	v_mul_f32_e32 v148, v58, v105
	v_mul_f32_e32 v152, v58, v107
	v_fma_f32 v154, v74, v84, -v158
	v_fmac_f32_e32 v85, v75, v84
	v_fma_f32 v84, v74, v86, -v159
	v_fmac_f32_e32 v87, v75, v86
	;; [unrolled: 2-line block ×4, first 2 shown]
	v_add_f32_e32 v6, v38, v6
	v_add_f32_e32 v7, v39, v7
	;; [unrolled: 1-line block ×32, first 2 shown]
	v_mul_f32_e32 v55, v59, v101
	v_mul_f32_e32 v138, v59, v103
	;; [unrolled: 1-line block ×16, first 2 shown]
	v_fma_f32 v162, v56, v92, -v162
	v_fmac_f32_e32 v163, v57, v92
	v_fma_f32 v164, v56, v94, -v164
	v_fmac_f32_e32 v165, v57, v94
	;; [unrolled: 2-line block ×8, first 2 shown]
	v_mul_f32_e32 v94, v71, v105
	v_mul_f32_e32 v175, v70, v105
	;; [unrolled: 1-line block ×4, first 2 shown]
	v_fma_f32 v176, v56, v96, -v176
	v_fmac_f32_e32 v177, v57, v96
	v_fma_f32 v56, v56, v98, -v178
	v_fmac_f32_e32 v179, v57, v98
	v_fma_f32 v50, v60, v96, -v50
	v_fmac_f32_e32 v119, v61, v96
	v_fma_f32 v57, v60, v98, -v180
	v_fmac_f32_e32 v181, v61, v98
	v_fma_f32 v60, v68, v96, -v73
	v_fmac_f32_e32 v80, v69, v96
	v_fma_f32 v61, v68, v98, -v82
	v_fmac_f32_e32 v122, v69, v98
	v_fma_f32 v47, v76, v96, -v47
	v_fmac_f32_e32 v97, v77, v96
	v_fma_f32 v68, v76, v98, -v130
	v_fmac_f32_e32 v99, v77, v98
	v_mul_f32_e32 v69, v79, v101
	v_mul_f32_e32 v73, v78, v101
	;; [unrolled: 1-line block ×4, first 2 shown]
	v_fmac_f32_e32 v136, v59, v100
	v_fmac_f32_e32 v140, v59, v102
	;; [unrolled: 1-line block ×4, first 2 shown]
	v_mul_f32_e32 v59, v79, v105
	v_mul_f32_e32 v96, v78, v105
	;; [unrolled: 1-line block ×4, first 2 shown]
	v_add_f32_e32 v6, v6, v124
	v_add_f32_e32 v7, v7, v135
	;; [unrolled: 1-line block ×32, first 2 shown]
	v_fma_f32 v55, v58, v100, -v55
	v_fma_f32 v82, v58, v102, -v138
	;; [unrolled: 1-line block ×5, first 2 shown]
	v_fmac_f32_e32 v156, v63, v100
	v_fma_f32 v103, v62, v102, -v158
	v_fmac_f32_e32 v159, v63, v102
	v_fma_f32 v75, v62, v104, -v75
	;; [unrolled: 2-line block ×11, first 2 shown]
	v_fmac_f32_e32 v101, v79, v106
	v_add_f32_e32 v6, v6, v162
	v_add_f32_e32 v7, v7, v163
	;; [unrolled: 1-line block ×64, first 2 shown]
	s_cbranch_vccnz .LBB231_2
.LBB231_3:
	s_lshl_b64 s[0:1], s[30:31], 3
	s_waitcnt lgkmcnt(0)
	s_add_u32 s8, s8, s0
	s_addc_u32 s9, s9, s1
	v_add_co_u32 v4, s1, s10, v1
	v_add_co_ci_u32_e64 v5, null, s11, 0, s1
	v_add_co_u32 v0, s1, s6, v0
	s_or_b32 s0, s2, s3
	v_add_co_ci_u32_e64 v1, null, s7, 0, s1
	s_bitset0_b32 s0, 31
	s_mov_b32 s6, 0
	s_cmp_lg_u32 s0, 0
	s_cbranch_scc1 .LBB231_5
; %bb.4:
	v_mul_lo_u32 v6, v5, s28
	v_mul_lo_u32 v40, v4, s29
	v_mad_u64_u32 v[2:3], null, v4, s28, 0
	v_mul_f32_e32 v42, s15, v39
	v_mul_f32_e32 v7, s14, v39
	v_mul_f32_e32 v44, s15, v37
	v_mul_f32_e32 v43, s14, v37
	v_mul_f32_e32 v46, s15, v35
	v_mul_f32_e32 v45, s14, v35
	v_add3_u32 v3, v3, v40, v6
	v_lshlrev_b64 v[40:41], 3, v[0:1]
	v_mul_f32_e32 v48, s15, v33
	v_mul_f32_e32 v47, s14, v33
	v_fma_f32 v6, v38, s14, -v42
	v_lshlrev_b64 v[2:3], 3, v[2:3]
	v_fmac_f32_e32 v7, s15, v38
	v_fma_f32 v42, v36, s14, -v44
	v_fmac_f32_e32 v43, s15, v36
	s_lshl_b64 s[0:1], s[28:29], 7
	v_fma_f32 v44, v34, s14, -v46
	v_add_co_u32 v49, vcc_lo, s8, v2
	v_add_co_ci_u32_e64 v50, null, s9, v3, vcc_lo
	v_fmac_f32_e32 v45, s15, v34
	v_add_co_u32 v2, vcc_lo, v49, v40
	v_add_co_ci_u32_e64 v3, null, v50, v41, vcc_lo
	v_fma_f32 v46, v32, s14, -v48
	v_fmac_f32_e32 v47, s15, v32
	v_add_co_u32 v48, vcc_lo, v49, s0
	flat_store_dwordx2 v[2:3], v[6:7]
	flat_store_dwordx2 v[2:3], v[42:43] offset:128
	flat_store_dwordx2 v[2:3], v[44:45] offset:256
	;; [unrolled: 1-line block ×3, first 2 shown]
	v_mul_f32_e32 v2, s15, v31
	v_mul_f32_e32 v3, s14, v31
	v_add_co_ci_u32_e64 v49, null, s1, v50, vcc_lo
	v_mul_f32_e32 v6, s15, v29
	v_mul_f32_e32 v7, s14, v29
	;; [unrolled: 1-line block ×4, first 2 shown]
	v_add_co_u32 v44, vcc_lo, v48, v40
	v_fma_f32 v2, v30, s14, -v2
	v_fmac_f32_e32 v3, s15, v30
	v_add_co_ci_u32_e64 v45, null, v49, v41, vcc_lo
	v_fma_f32 v6, v28, s14, -v6
	v_fmac_f32_e32 v7, s15, v28
	v_fma_f32 v42, v26, s14, -v42
	v_fmac_f32_e32 v43, s15, v26
	v_add_co_u32 v52, vcc_lo, v48, s0
	v_mul_f32_e32 v46, s15, v25
	v_mul_f32_e32 v47, s14, v25
	flat_store_dwordx2 v[44:45], v[2:3]
	flat_store_dwordx2 v[44:45], v[6:7] offset:128
	flat_store_dwordx2 v[44:45], v[42:43] offset:256
	v_mul_f32_e32 v2, s15, v23
	v_mul_f32_e32 v3, s14, v23
	v_add_co_ci_u32_e64 v53, null, s1, v49, vcc_lo
	v_mul_f32_e32 v42, s15, v21
	v_mul_f32_e32 v43, s14, v21
	;; [unrolled: 1-line block ×4, first 2 shown]
	v_add_co_u32 v6, vcc_lo, v52, v40
	v_mul_f32_e32 v50, s15, v17
	v_mul_f32_e32 v51, s14, v17
	v_fma_f32 v46, v24, s14, -v46
	v_fmac_f32_e32 v47, s15, v24
	v_fma_f32 v2, v22, s14, -v2
	v_fmac_f32_e32 v3, s15, v22
	v_add_co_ci_u32_e64 v7, null, v53, v41, vcc_lo
	v_fma_f32 v42, v20, s14, -v42
	v_fmac_f32_e32 v43, s15, v20
	v_fma_f32 v48, v18, s14, -v48
	v_fmac_f32_e32 v49, s15, v18
	;; [unrolled: 2-line block ×3, first 2 shown]
	flat_store_dwordx2 v[44:45], v[46:47] offset:384
	flat_store_dwordx2 v[6:7], v[2:3]
	flat_store_dwordx2 v[6:7], v[42:43] offset:128
	flat_store_dwordx2 v[6:7], v[48:49] offset:256
	;; [unrolled: 1-line block ×3, first 2 shown]
	v_mul_f32_e32 v2, s15, v15
	v_add_co_u32 v3, vcc_lo, v52, s0
	v_add_co_ci_u32_e64 v6, null, s1, v53, vcc_lo
	v_fma_f32 v42, v14, s14, -v2
	v_mul_f32_e32 v2, s15, v13
	v_add_co_u32 v40, vcc_lo, v3, v40
	v_mul_f32_e32 v43, s14, v15
	v_add_co_ci_u32_e64 v41, null, v6, v41, vcc_lo
	v_fma_f32 v44, v12, s14, -v2
	v_mul_f32_e32 v2, s15, v11
	v_mul_f32_e32 v3, s15, v8
	;; [unrolled: 1-line block ×5, first 2 shown]
	v_fma_f32 v46, v10, s14, -v2
	v_add_co_u32 v2, vcc_lo, 0x180, v40
	v_fmac_f32_e32 v43, s15, v14
	v_fma_f32 v7, v9, s14, -v3
	v_fmac_f32_e32 v6, s15, v9
	v_add_co_ci_u32_e64 v3, null, 0, v41, vcc_lo
	v_fmac_f32_e32 v45, s15, v12
	v_fmac_f32_e32 v47, s15, v10
	flat_store_dwordx2 v[40:41], v[42:43]
	flat_store_dwordx2 v[40:41], v[44:45] offset:128
	flat_store_dwordx2 v[40:41], v[46:47] offset:256
	flat_store_dword v[40:41], v7 offset:384
	s_andn2_b32 vcc_lo, exec_lo, s6
	s_cbranch_vccz .LBB231_6
	s_branch .LBB231_7
.LBB231_5:
                                        ; implicit-def: $vgpr6
                                        ; implicit-def: $vgpr2_vgpr3
.LBB231_6:
	v_mul_lo_u32 v6, v5, s38
	v_mul_lo_u32 v7, v4, s39
	v_mad_u64_u32 v[2:3], null, v4, s38, 0
	s_lshl_b64 s[0:1], s[40:41], 3
	v_lshlrev_b64 v[0:1], 3, v[0:1]
	s_add_u32 s0, s4, s0
	s_addc_u32 s1, s5, s1
	v_mul_lo_u32 v42, v5, s28
	v_mul_lo_u32 v43, v4, s29
	v_add3_u32 v3, v3, v7, v6
	v_mad_u64_u32 v[4:5], null, v4, s28, 0
	s_lshl_b64 s[4:5], s[28:29], 7
	v_lshlrev_b64 v[2:3], 3, v[2:3]
	v_add3_u32 v5, v5, v43, v42
	v_mul_f32_e32 v42, s15, v39
	v_add_co_u32 v40, vcc_lo, s0, v2
	v_add_co_ci_u32_e64 v41, null, s1, v3, vcc_lo
	v_mul_f32_e32 v39, s14, v39
	v_add_co_u32 v2, vcc_lo, v40, v0
	v_add_co_ci_u32_e64 v3, null, v41, v1, vcc_lo
	v_lshlrev_b64 v[4:5], 3, v[4:5]
	v_fma_f32 v42, v38, s14, -v42
	v_fmac_f32_e32 v39, s15, v38
	flat_load_dwordx2 v[6:7], v[2:3]
	s_lshl_b64 s[0:1], s[38:39], 7
	v_add_co_u32 v43, vcc_lo, s8, v4
	v_add_co_ci_u32_e64 v44, null, s9, v5, vcc_lo
	v_add_co_u32 v4, vcc_lo, v43, v0
	v_add_co_ci_u32_e64 v5, null, v44, v1, vcc_lo
	s_waitcnt vmcnt(0) lgkmcnt(0)
	v_mul_f32_e32 v38, s3, v7
	v_mul_f32_e32 v7, s2, v7
	v_fma_f32 v38, v6, s2, -v38
	v_fmac_f32_e32 v7, s3, v6
	v_add_f32_e32 v6, v42, v38
	v_add_f32_e32 v7, v39, v7
	v_mul_f32_e32 v38, s15, v37
	v_mul_f32_e32 v37, s14, v37
	flat_store_dwordx2 v[4:5], v[6:7]
	flat_load_dwordx2 v[6:7], v[2:3] offset:128
	v_fma_f32 v38, v36, s14, -v38
	v_fmac_f32_e32 v37, s15, v36
	s_waitcnt vmcnt(0) lgkmcnt(0)
	v_mul_f32_e32 v39, s3, v7
	v_mul_f32_e32 v7, s2, v7
	v_fma_f32 v36, v6, s2, -v39
	v_fmac_f32_e32 v7, s3, v6
	v_add_f32_e32 v6, v38, v36
	v_add_f32_e32 v7, v37, v7
	v_mul_f32_e32 v36, s15, v35
	v_mul_f32_e32 v35, s14, v35
	flat_store_dwordx2 v[4:5], v[6:7] offset:128
	flat_load_dwordx2 v[6:7], v[2:3] offset:256
	v_fma_f32 v36, v34, s14, -v36
	v_fmac_f32_e32 v35, s15, v34
	s_waitcnt vmcnt(0) lgkmcnt(0)
	v_mul_f32_e32 v37, s3, v7
	v_mul_f32_e32 v7, s2, v7
	v_fma_f32 v34, v6, s2, -v37
	v_fmac_f32_e32 v7, s3, v6
	v_add_f32_e32 v6, v36, v34
	v_add_f32_e32 v7, v35, v7
	flat_store_dwordx2 v[4:5], v[6:7] offset:256
	flat_load_dwordx2 v[2:3], v[2:3] offset:384
	v_mul_f32_e32 v6, s15, v33
	v_mul_f32_e32 v7, s14, v33
	v_fma_f32 v6, v32, s14, -v6
	v_fmac_f32_e32 v7, s15, v32
	s_waitcnt vmcnt(0) lgkmcnt(0)
	v_mul_f32_e32 v33, s3, v3
	v_mul_f32_e32 v3, s2, v3
	v_fma_f32 v32, v2, s2, -v33
	v_add_co_u32 v33, vcc_lo, v40, s0
	v_fmac_f32_e32 v3, s3, v2
	v_add_co_ci_u32_e64 v34, null, s1, v41, vcc_lo
	v_add_f32_e32 v2, v6, v32
	v_add_co_u32 v6, vcc_lo, v33, v0
	v_add_f32_e32 v3, v7, v3
	v_add_co_ci_u32_e64 v7, null, v34, v1, vcc_lo
	v_add_co_u32 v32, vcc_lo, v43, s4
	flat_store_dwordx2 v[4:5], v[2:3] offset:384
	flat_load_dwordx2 v[2:3], v[6:7]
	v_mul_f32_e32 v4, s15, v31
	v_mul_f32_e32 v5, s14, v31
	v_add_co_ci_u32_e64 v35, null, s5, v44, vcc_lo
	v_fma_f32 v4, v30, s14, -v4
	v_fmac_f32_e32 v5, s15, v30
	s_waitcnt vmcnt(0) lgkmcnt(0)
	v_mul_f32_e32 v30, s3, v3
	v_mul_f32_e32 v31, s2, v3
	v_fma_f32 v30, v2, s2, -v30
	v_fmac_f32_e32 v31, s3, v2
	v_add_co_u32 v2, vcc_lo, v32, v0
	v_add_co_ci_u32_e64 v3, null, v35, v1, vcc_lo
	v_add_f32_e32 v4, v4, v30
	v_add_f32_e32 v5, v5, v31
	v_mul_f32_e32 v30, s15, v29
	v_mul_f32_e32 v29, s14, v29
	flat_store_dwordx2 v[2:3], v[4:5]
	flat_load_dwordx2 v[4:5], v[6:7] offset:128
	v_fma_f32 v30, v28, s14, -v30
	v_fmac_f32_e32 v29, s15, v28
	s_waitcnt vmcnt(0) lgkmcnt(0)
	v_mul_f32_e32 v31, s3, v5
	v_mul_f32_e32 v5, s2, v5
	v_fma_f32 v28, v4, s2, -v31
	v_fmac_f32_e32 v5, s3, v4
	v_add_f32_e32 v4, v30, v28
	v_add_f32_e32 v5, v29, v5
	v_mul_f32_e32 v28, s15, v27
	v_mul_f32_e32 v27, s14, v27
	flat_store_dwordx2 v[2:3], v[4:5] offset:128
	flat_load_dwordx2 v[4:5], v[6:7] offset:256
	v_fma_f32 v28, v26, s14, -v28
	v_fmac_f32_e32 v27, s15, v26
	s_waitcnt vmcnt(0) lgkmcnt(0)
	v_mul_f32_e32 v29, s3, v5
	v_mul_f32_e32 v5, s2, v5
	v_fma_f32 v26, v4, s2, -v29
	v_fmac_f32_e32 v5, s3, v4
	v_add_f32_e32 v4, v28, v26
	v_add_f32_e32 v5, v27, v5
	flat_store_dwordx2 v[2:3], v[4:5] offset:256
	flat_load_dwordx2 v[4:5], v[6:7] offset:384
	v_mul_f32_e32 v6, s15, v25
	v_mul_f32_e32 v7, s14, v25
	v_fma_f32 v6, v24, s14, -v6
	v_fmac_f32_e32 v7, s15, v24
	s_waitcnt vmcnt(0) lgkmcnt(0)
	v_mul_f32_e32 v25, s3, v5
	v_mul_f32_e32 v5, s2, v5
	v_fma_f32 v24, v4, s2, -v25
	v_add_co_u32 v25, vcc_lo, v33, s0
	v_fmac_f32_e32 v5, s3, v4
	v_add_co_ci_u32_e64 v26, null, s1, v34, vcc_lo
	v_add_f32_e32 v4, v6, v24
	v_add_co_u32 v6, vcc_lo, v25, v0
	v_add_f32_e32 v5, v7, v5
	v_add_co_ci_u32_e64 v7, null, v26, v1, vcc_lo
	v_add_co_u32 v24, vcc_lo, v32, s4
	flat_store_dwordx2 v[2:3], v[4:5] offset:384
	flat_load_dwordx2 v[2:3], v[6:7]
	v_mul_f32_e32 v4, s15, v23
	v_mul_f32_e32 v5, s14, v23
	v_add_co_ci_u32_e64 v27, null, s5, v35, vcc_lo
	v_fma_f32 v4, v22, s14, -v4
	v_fmac_f32_e32 v5, s15, v22
	s_waitcnt vmcnt(0) lgkmcnt(0)
	v_mul_f32_e32 v22, s3, v3
	v_mul_f32_e32 v23, s2, v3
	v_fma_f32 v22, v2, s2, -v22
	v_fmac_f32_e32 v23, s3, v2
	v_add_co_u32 v2, vcc_lo, v24, v0
	v_add_co_ci_u32_e64 v3, null, v27, v1, vcc_lo
	v_add_f32_e32 v4, v4, v22
	v_add_f32_e32 v5, v5, v23
	v_mul_f32_e32 v22, s15, v21
	v_mul_f32_e32 v21, s14, v21
	flat_store_dwordx2 v[2:3], v[4:5]
	flat_load_dwordx2 v[4:5], v[6:7] offset:128
	v_fma_f32 v22, v20, s14, -v22
	v_fmac_f32_e32 v21, s15, v20
	s_waitcnt vmcnt(0) lgkmcnt(0)
	v_mul_f32_e32 v23, s3, v5
	v_mul_f32_e32 v5, s2, v5
	v_fma_f32 v20, v4, s2, -v23
	v_fmac_f32_e32 v5, s3, v4
	v_add_f32_e32 v4, v22, v20
	v_add_f32_e32 v5, v21, v5
	v_mul_f32_e32 v20, s15, v19
	v_mul_f32_e32 v19, s14, v19
	flat_store_dwordx2 v[2:3], v[4:5] offset:128
	flat_load_dwordx2 v[4:5], v[6:7] offset:256
	v_fma_f32 v20, v18, s14, -v20
	v_fmac_f32_e32 v19, s15, v18
	s_waitcnt vmcnt(0) lgkmcnt(0)
	v_mul_f32_e32 v21, s3, v5
	v_mul_f32_e32 v5, s2, v5
	v_fma_f32 v18, v4, s2, -v21
	v_fmac_f32_e32 v5, s3, v4
	v_add_f32_e32 v4, v20, v18
	v_add_f32_e32 v5, v19, v5
	flat_store_dwordx2 v[2:3], v[4:5] offset:256
	flat_load_dwordx2 v[4:5], v[6:7] offset:384
	v_mul_f32_e32 v6, s15, v17
	v_mul_f32_e32 v7, s14, v17
	v_fma_f32 v6, v16, s14, -v6
	v_fmac_f32_e32 v7, s15, v16
	s_waitcnt vmcnt(0) lgkmcnt(0)
	v_mul_f32_e32 v17, s3, v5
	v_mul_f32_e32 v5, s2, v5
	v_fma_f32 v16, v4, s2, -v17
	v_add_co_u32 v17, vcc_lo, v25, s0
	v_fmac_f32_e32 v5, s3, v4
	v_add_co_ci_u32_e64 v18, null, s1, v26, vcc_lo
	v_add_f32_e32 v4, v6, v16
	v_add_co_u32 v6, vcc_lo, v17, v0
	v_add_f32_e32 v5, v7, v5
	v_add_co_ci_u32_e64 v7, null, v18, v1, vcc_lo
	flat_store_dwordx2 v[2:3], v[4:5] offset:384
	flat_load_dwordx2 v[2:3], v[6:7]
	v_mul_f32_e32 v4, s15, v15
	v_mul_f32_e32 v5, s14, v15
	v_add_co_u32 v15, vcc_lo, v24, s4
	v_add_co_ci_u32_e64 v16, null, s5, v27, vcc_lo
	v_fma_f32 v4, v14, s14, -v4
	v_fmac_f32_e32 v5, s15, v14
	v_add_co_u32 v0, vcc_lo, v15, v0
	v_add_co_ci_u32_e64 v1, null, v16, v1, vcc_lo
	s_waitcnt vmcnt(0) lgkmcnt(0)
	v_mul_f32_e32 v14, s3, v3
	v_mul_f32_e32 v3, s2, v3
	v_fma_f32 v14, v2, s2, -v14
	v_fmac_f32_e32 v3, s3, v2
	v_add_f32_e32 v2, v4, v14
	v_add_f32_e32 v3, v5, v3
	v_mul_f32_e32 v4, s15, v13
	v_mul_f32_e32 v5, s14, v13
	flat_store_dwordx2 v[0:1], v[2:3]
	flat_load_dwordx2 v[2:3], v[6:7] offset:128
	v_fma_f32 v4, v12, s14, -v4
	v_fmac_f32_e32 v5, s15, v12
	s_waitcnt vmcnt(0) lgkmcnt(0)
	v_mul_f32_e32 v13, s3, v3
	v_mul_f32_e32 v3, s2, v3
	v_fma_f32 v12, v2, s2, -v13
	v_fmac_f32_e32 v3, s3, v2
	v_add_f32_e32 v2, v4, v12
	v_add_f32_e32 v3, v5, v3
	v_mul_f32_e32 v4, s15, v11
	v_mul_f32_e32 v5, s14, v11
	flat_store_dwordx2 v[0:1], v[2:3] offset:128
	flat_load_dwordx2 v[2:3], v[6:7] offset:256
	v_fma_f32 v4, v10, s14, -v4
	v_fmac_f32_e32 v5, s15, v10
	s_waitcnt vmcnt(0) lgkmcnt(0)
	v_mul_f32_e32 v11, s3, v3
	v_mul_f32_e32 v3, s2, v3
	v_fma_f32 v10, v2, s2, -v11
	v_fmac_f32_e32 v3, s3, v2
	v_add_f32_e32 v2, v4, v10
	v_add_f32_e32 v3, v5, v3
	v_mul_f32_e32 v4, s15, v8
	v_mul_f32_e32 v5, s14, v8
	flat_store_dwordx2 v[0:1], v[2:3] offset:256
	flat_load_dwordx2 v[2:3], v[6:7] offset:384
	v_fma_f32 v4, v9, s14, -v4
	v_fmac_f32_e32 v5, s15, v9
	s_waitcnt vmcnt(0) lgkmcnt(0)
	v_mul_f32_e32 v6, s3, v3
	v_mul_f32_e32 v3, s2, v3
	v_fma_f32 v6, v2, s2, -v6
	v_fmac_f32_e32 v3, s3, v2
	v_add_co_u32 v2, vcc_lo, 0x180, v0
	v_add_f32_e32 v4, v4, v6
	v_add_f32_e32 v6, v5, v3
	v_add_co_ci_u32_e64 v3, null, 0, v1, vcc_lo
	flat_store_dword v[0:1], v4 offset:384
.LBB231_7:
	flat_store_dword v[2:3], v6 offset:4
	s_endpgm
	.section	.rodata,"a",@progbits
	.p2align	6, 0x0
	.amdhsa_kernel _ZN12_GLOBAL__N_127rocblas_gemm_batched_kernelI19rocblas_complex_numIfELi16ELi16ELi64ELi64ELi4ELi64ELi4ELi4ELi64ELc84ELc67EKPKS2_S5_KPS2_EEvlllT_PT11_llSA_llS8_PT12_llPT13_lli
		.amdhsa_group_segment_fixed_size 4096
		.amdhsa_private_segment_fixed_size 0
		.amdhsa_kernarg_size 140
		.amdhsa_user_sgpr_count 6
		.amdhsa_user_sgpr_private_segment_buffer 1
		.amdhsa_user_sgpr_dispatch_ptr 0
		.amdhsa_user_sgpr_queue_ptr 0
		.amdhsa_user_sgpr_kernarg_segment_ptr 1
		.amdhsa_user_sgpr_dispatch_id 0
		.amdhsa_user_sgpr_flat_scratch_init 0
		.amdhsa_user_sgpr_private_segment_size 0
		.amdhsa_wavefront_size32 1
		.amdhsa_uses_dynamic_stack 0
		.amdhsa_system_sgpr_private_segment_wavefront_offset 0
		.amdhsa_system_sgpr_workgroup_id_x 1
		.amdhsa_system_sgpr_workgroup_id_y 1
		.amdhsa_system_sgpr_workgroup_id_z 1
		.amdhsa_system_sgpr_workgroup_info 0
		.amdhsa_system_vgpr_workitem_id 1
		.amdhsa_next_free_vgpr 188
		.amdhsa_next_free_sgpr 44
		.amdhsa_reserve_vcc 1
		.amdhsa_reserve_flat_scratch 0
		.amdhsa_float_round_mode_32 0
		.amdhsa_float_round_mode_16_64 0
		.amdhsa_float_denorm_mode_32 3
		.amdhsa_float_denorm_mode_16_64 3
		.amdhsa_dx10_clamp 1
		.amdhsa_ieee_mode 1
		.amdhsa_fp16_overflow 0
		.amdhsa_workgroup_processor_mode 1
		.amdhsa_memory_ordered 1
		.amdhsa_forward_progress 1
		.amdhsa_shared_vgpr_count 0
		.amdhsa_exception_fp_ieee_invalid_op 0
		.amdhsa_exception_fp_denorm_src 0
		.amdhsa_exception_fp_ieee_div_zero 0
		.amdhsa_exception_fp_ieee_overflow 0
		.amdhsa_exception_fp_ieee_underflow 0
		.amdhsa_exception_fp_ieee_inexact 0
		.amdhsa_exception_int_div_zero 0
	.end_amdhsa_kernel
	.section	.text._ZN12_GLOBAL__N_127rocblas_gemm_batched_kernelI19rocblas_complex_numIfELi16ELi16ELi64ELi64ELi4ELi64ELi4ELi4ELi64ELc84ELc67EKPKS2_S5_KPS2_EEvlllT_PT11_llSA_llS8_PT12_llPT13_lli,"axG",@progbits,_ZN12_GLOBAL__N_127rocblas_gemm_batched_kernelI19rocblas_complex_numIfELi16ELi16ELi64ELi64ELi4ELi64ELi4ELi4ELi64ELc84ELc67EKPKS2_S5_KPS2_EEvlllT_PT11_llSA_llS8_PT12_llPT13_lli,comdat
.Lfunc_end231:
	.size	_ZN12_GLOBAL__N_127rocblas_gemm_batched_kernelI19rocblas_complex_numIfELi16ELi16ELi64ELi64ELi4ELi64ELi4ELi4ELi64ELc84ELc67EKPKS2_S5_KPS2_EEvlllT_PT11_llSA_llS8_PT12_llPT13_lli, .Lfunc_end231-_ZN12_GLOBAL__N_127rocblas_gemm_batched_kernelI19rocblas_complex_numIfELi16ELi16ELi64ELi64ELi4ELi64ELi4ELi4ELi64ELc84ELc67EKPKS2_S5_KPS2_EEvlllT_PT11_llSA_llS8_PT12_llPT13_lli
                                        ; -- End function
	.set _ZN12_GLOBAL__N_127rocblas_gemm_batched_kernelI19rocblas_complex_numIfELi16ELi16ELi64ELi64ELi4ELi64ELi4ELi4ELi64ELc84ELc67EKPKS2_S5_KPS2_EEvlllT_PT11_llSA_llS8_PT12_llPT13_lli.num_vgpr, 188
	.set _ZN12_GLOBAL__N_127rocblas_gemm_batched_kernelI19rocblas_complex_numIfELi16ELi16ELi64ELi64ELi4ELi64ELi4ELi4ELi64ELc84ELc67EKPKS2_S5_KPS2_EEvlllT_PT11_llSA_llS8_PT12_llPT13_lli.num_agpr, 0
	.set _ZN12_GLOBAL__N_127rocblas_gemm_batched_kernelI19rocblas_complex_numIfELi16ELi16ELi64ELi64ELi4ELi64ELi4ELi4ELi64ELc84ELc67EKPKS2_S5_KPS2_EEvlllT_PT11_llSA_llS8_PT12_llPT13_lli.numbered_sgpr, 44
	.set _ZN12_GLOBAL__N_127rocblas_gemm_batched_kernelI19rocblas_complex_numIfELi16ELi16ELi64ELi64ELi4ELi64ELi4ELi4ELi64ELc84ELc67EKPKS2_S5_KPS2_EEvlllT_PT11_llSA_llS8_PT12_llPT13_lli.num_named_barrier, 0
	.set _ZN12_GLOBAL__N_127rocblas_gemm_batched_kernelI19rocblas_complex_numIfELi16ELi16ELi64ELi64ELi4ELi64ELi4ELi4ELi64ELc84ELc67EKPKS2_S5_KPS2_EEvlllT_PT11_llSA_llS8_PT12_llPT13_lli.private_seg_size, 0
	.set _ZN12_GLOBAL__N_127rocblas_gemm_batched_kernelI19rocblas_complex_numIfELi16ELi16ELi64ELi64ELi4ELi64ELi4ELi4ELi64ELc84ELc67EKPKS2_S5_KPS2_EEvlllT_PT11_llSA_llS8_PT12_llPT13_lli.uses_vcc, 1
	.set _ZN12_GLOBAL__N_127rocblas_gemm_batched_kernelI19rocblas_complex_numIfELi16ELi16ELi64ELi64ELi4ELi64ELi4ELi4ELi64ELc84ELc67EKPKS2_S5_KPS2_EEvlllT_PT11_llSA_llS8_PT12_llPT13_lli.uses_flat_scratch, 0
	.set _ZN12_GLOBAL__N_127rocblas_gemm_batched_kernelI19rocblas_complex_numIfELi16ELi16ELi64ELi64ELi4ELi64ELi4ELi4ELi64ELc84ELc67EKPKS2_S5_KPS2_EEvlllT_PT11_llSA_llS8_PT12_llPT13_lli.has_dyn_sized_stack, 0
	.set _ZN12_GLOBAL__N_127rocblas_gemm_batched_kernelI19rocblas_complex_numIfELi16ELi16ELi64ELi64ELi4ELi64ELi4ELi4ELi64ELc84ELc67EKPKS2_S5_KPS2_EEvlllT_PT11_llSA_llS8_PT12_llPT13_lli.has_recursion, 0
	.set _ZN12_GLOBAL__N_127rocblas_gemm_batched_kernelI19rocblas_complex_numIfELi16ELi16ELi64ELi64ELi4ELi64ELi4ELi4ELi64ELc84ELc67EKPKS2_S5_KPS2_EEvlllT_PT11_llSA_llS8_PT12_llPT13_lli.has_indirect_call, 0
	.section	.AMDGPU.csdata,"",@progbits
; Kernel info:
; codeLenInByte = 4944
; TotalNumSgprs: 46
; NumVgprs: 188
; ScratchSize: 0
; MemoryBound: 0
; FloatMode: 240
; IeeeMode: 1
; LDSByteSize: 4096 bytes/workgroup (compile time only)
; SGPRBlocks: 0
; VGPRBlocks: 23
; NumSGPRsForWavesPerEU: 46
; NumVGPRsForWavesPerEU: 188
; Occupancy: 5
; WaveLimiterHint : 1
; COMPUTE_PGM_RSRC2:SCRATCH_EN: 0
; COMPUTE_PGM_RSRC2:USER_SGPR: 6
; COMPUTE_PGM_RSRC2:TRAP_HANDLER: 0
; COMPUTE_PGM_RSRC2:TGID_X_EN: 1
; COMPUTE_PGM_RSRC2:TGID_Y_EN: 1
; COMPUTE_PGM_RSRC2:TGID_Z_EN: 1
; COMPUTE_PGM_RSRC2:TIDIG_COMP_CNT: 1
	.section	.text._ZN12_GLOBAL__N_127rocblas_gemm_batched_kernelI19rocblas_complex_numIfELi16ELi16ELi32ELi32ELi8ELi32ELi8ELi8ELi32ELc78ELc78EKPKS2_S5_KPS2_EEvlllT_PT11_llSA_llS8_PT12_llPT13_lli,"axG",@progbits,_ZN12_GLOBAL__N_127rocblas_gemm_batched_kernelI19rocblas_complex_numIfELi16ELi16ELi32ELi32ELi8ELi32ELi8ELi8ELi32ELc78ELc78EKPKS2_S5_KPS2_EEvlllT_PT11_llSA_llS8_PT12_llPT13_lli,comdat
	.globl	_ZN12_GLOBAL__N_127rocblas_gemm_batched_kernelI19rocblas_complex_numIfELi16ELi16ELi32ELi32ELi8ELi32ELi8ELi8ELi32ELc78ELc78EKPKS2_S5_KPS2_EEvlllT_PT11_llSA_llS8_PT12_llPT13_lli ; -- Begin function _ZN12_GLOBAL__N_127rocblas_gemm_batched_kernelI19rocblas_complex_numIfELi16ELi16ELi32ELi32ELi8ELi32ELi8ELi8ELi32ELc78ELc78EKPKS2_S5_KPS2_EEvlllT_PT11_llSA_llS8_PT12_llPT13_lli
	.p2align	8
	.type	_ZN12_GLOBAL__N_127rocblas_gemm_batched_kernelI19rocblas_complex_numIfELi16ELi16ELi32ELi32ELi8ELi32ELi8ELi8ELi32ELc78ELc78EKPKS2_S5_KPS2_EEvlllT_PT11_llSA_llS8_PT12_llPT13_lli,@function
_ZN12_GLOBAL__N_127rocblas_gemm_batched_kernelI19rocblas_complex_numIfELi16ELi16ELi32ELi32ELi8ELi32ELi8ELi8ELi32ELc78ELc78EKPKS2_S5_KPS2_EEvlllT_PT11_llSA_llS8_PT12_llPT13_lli: ; @_ZN12_GLOBAL__N_127rocblas_gemm_batched_kernelI19rocblas_complex_numIfELi16ELi16ELi32ELi32ELi8ELi32ELi8ELi8ELi32ELc78ELc78EKPKS2_S5_KPS2_EEvlllT_PT11_llSA_llS8_PT12_llPT13_lli
; %bb.0:
	s_clause 0x1
	s_load_dwordx8 s[36:43], s[4:5], 0x58
	s_load_dwordx16 s[12:27], s[4:5], 0x10
	s_mov_b32 s9, 0
	s_clause 0x1
	s_load_dwordx4 s[28:31], s[4:5], 0x78
	s_load_dwordx2 s[2:3], s[4:5], 0x50
	s_lshl_b64 s[0:1], s[8:9], 3
	s_mov_b32 s10, s7
	v_mov_b32_e32 v12, 0
	v_mov_b32_e32 v13, 0
	;; [unrolled: 1-line block ×8, first 2 shown]
	s_waitcnt lgkmcnt(0)
	s_add_u32 s4, s36, s0
	s_addc_u32 s5, s37, s1
	s_add_u32 s8, s42, s0
	s_addc_u32 s9, s43, s1
	s_load_dwordx2 s[4:5], s[4:5], 0x0
	s_load_dwordx2 s[8:9], s[8:9], 0x0
	v_cmp_lt_i64_e64 s33, s[12:13], 1
	s_ashr_i32 s7, s6, 31
	s_ashr_i32 s11, s10, 31
	s_lshl_b64 s[6:7], s[6:7], 5
	s_lshl_b64 s[10:11], s[10:11], 5
	s_and_b32 vcc_lo, exec_lo, s33
	s_cbranch_vccnz .LBB232_3
; %bb.1:
	v_lshl_add_u32 v2, v1, 4, v0
	s_add_u32 s16, s16, s0
	s_addc_u32 s17, s17, s1
	s_add_u32 s0, s22, s0
	v_and_b32_e32 v3, 7, v0
	v_lshrrev_b32_e32 v6, 3, v2
	v_lshrrev_b32_e32 v7, 5, v2
	s_load_dwordx2 s[16:17], s[16:17], 0x0
	v_and_b32_e32 v9, 31, v2
	v_lshlrev_b32_e32 v10, 3, v3
	v_add_co_u32 v4, s22, v6, s10
	v_add_co_ci_u32_e64 v5, null, 0, s11, s22
	v_mad_u64_u32 v[2:3], null, s18, v7, s[6:7]
	v_mul_lo_u32 v8, s25, v4
	v_mul_lo_u32 v11, s24, v5
	v_mad_u64_u32 v[4:5], null, s24, v4, 0
	v_lshlrev_b32_e32 v12, 3, v9
	s_addc_u32 s1, s23, s1
	s_lshl_b64 s[20:21], s[20:21], 3
	s_load_dwordx2 s[0:1], s[0:1], 0x0
	v_lshl_or_b32 v13, v6, 6, v10
	v_lshl_or_b32 v14, v7, 8, v12
	v_add3_u32 v5, v5, v11, v8
	v_mad_u64_u32 v[7:8], null, s19, v7, v[3:4]
	v_add_co_u32 v8, vcc_lo, v2, v9
	v_lshlrev_b64 v[3:4], 3, v[4:5]
	s_waitcnt lgkmcnt(0)
	s_add_u32 s20, s16, s20
	s_addc_u32 s21, s17, s21
	s_lshl_b64 s[16:17], s[26:27], 3
	v_add_co_ci_u32_e64 v9, null, 0, v7, vcc_lo
	v_add_co_u32 v5, vcc_lo, v3, s16
	v_add_co_ci_u32_e64 v4, null, s17, v4, vcc_lo
	v_lshlrev_b64 v[2:3], 3, v[8:9]
	v_add_co_u32 v5, vcc_lo, v5, v10
	v_add_co_ci_u32_e64 v7, null, 0, v4, vcc_lo
	v_mov_b32_e32 v6, 0
	v_add_co_u32 v2, vcc_lo, s20, v2
	v_add_co_ci_u32_e64 v3, null, s21, v3, vcc_lo
	v_add_co_u32 v4, vcc_lo, s0, v5
	v_add_nc_u32_e32 v15, 0x800, v13
	v_lshlrev_b32_e32 v16, 3, v0
	v_lshl_add_u32 v17, v1, 6, 0x800
	v_add_co_ci_u32_e64 v5, null, s1, v7, vcc_lo
	v_mov_b32_e32 v7, 0
	v_mov_b32_e32 v9, 0
	;; [unrolled: 1-line block ×7, first 2 shown]
	s_lshl_b64 s[16:17], s[18:19], 6
	s_mov_b64 s[18:19], 0
.LBB232_2:                              ; =>This Inner Loop Header: Depth=1
	flat_load_dwordx2 v[18:19], v[2:3]
	s_add_u32 s18, s18, 8
	s_addc_u32 s19, s19, 0
	v_add_co_u32 v2, vcc_lo, v2, s16
	v_cmp_lt_i64_e64 s0, s[18:19], s[12:13]
	v_add_co_ci_u32_e64 v3, null, s17, v3, vcc_lo
	s_and_b32 vcc_lo, exec_lo, s0
	s_waitcnt vmcnt(0) lgkmcnt(0)
	ds_write_b64 v14, v[18:19]
	flat_load_dwordx2 v[18:19], v[4:5]
	v_add_co_u32 v4, s0, v4, 64
	v_add_co_ci_u32_e64 v5, null, 0, v5, s0
	s_waitcnt vmcnt(0) lgkmcnt(0)
	ds_write_b64 v15, v[18:19]
	s_waitcnt lgkmcnt(0)
	s_barrier
	buffer_gl0_inv
	ds_read_b128 v[18:21], v17
	ds_read2_b64 v[22:25], v16 offset1:16
	ds_read_b128 v[26:29], v17 offset:1024
	ds_read2_b64 v[30:33], v16 offset0:32 offset1:48
	ds_read_b128 v[34:37], v17 offset:16
	ds_read2_b64 v[38:41], v16 offset0:64 offset1:80
	;; [unrolled: 2-line block ×3, first 2 shown]
	ds_read2_b64 v[50:53], v16 offset0:128 offset1:144
	ds_read2_b64 v[54:57], v16 offset0:160 offset1:176
	ds_read_b128 v[58:61], v17 offset:32
	ds_read_b128 v[62:65], v17 offset:48
	ds_read2_b64 v[66:69], v16 offset0:192 offset1:208
	ds_read_b128 v[70:73], v17 offset:1056
	ds_read_b128 v[74:77], v17 offset:1072
	ds_read2_b64 v[78:81], v16 offset0:224 offset1:240
	s_waitcnt lgkmcnt(0)
	s_barrier
	buffer_gl0_inv
	v_mul_f32_e32 v82, v19, v23
	v_mul_f32_e32 v83, v18, v23
	;; [unrolled: 1-line block ×12, first 2 shown]
	v_fma_f32 v82, v18, v22, -v82
	v_fmac_f32_e32 v83, v19, v22
	v_fma_f32 v18, v18, v24, -v84
	v_fmac_f32_e32 v85, v19, v24
	;; [unrolled: 2-line block ×4, first 2 shown]
	v_mul_f32_e32 v24, v29, v31
	v_mul_f32_e32 v26, v28, v31
	;; [unrolled: 1-line block ×4, first 2 shown]
	v_fma_f32 v33, v20, v30, -v88
	v_fmac_f32_e32 v89, v21, v30
	v_fma_f32 v20, v20, v32, -v90
	v_fmac_f32_e32 v91, v21, v32
	v_mul_f32_e32 v21, v35, v39
	v_mul_f32_e32 v84, v34, v39
	v_mul_f32_e32 v86, v35, v41
	v_mul_f32_e32 v87, v34, v41
	v_fma_f32 v24, v28, v30, -v24
	v_fmac_f32_e32 v26, v29, v30
	v_fma_f32 v27, v28, v32, -v27
	v_fmac_f32_e32 v31, v29, v32
	v_mul_f32_e32 v28, v43, v39
	v_mul_f32_e32 v29, v42, v39
	v_mul_f32_e32 v30, v43, v41
	v_mul_f32_e32 v32, v42, v41
	v_add_f32_e32 v12, v12, v82
	v_add_f32_e32 v13, v13, v83
	v_add_f32_e32 v10, v10, v18
	v_add_f32_e32 v11, v11, v85
	v_add_f32_e32 v8, v8, v19
	v_add_f32_e32 v9, v9, v23
	v_add_f32_e32 v7, v7, v22
	v_add_f32_e32 v6, v6, v25
	v_mul_f32_e32 v39, v37, v47
	v_mul_f32_e32 v41, v36, v47
	v_mul_f32_e32 v88, v37, v49
	v_mul_f32_e32 v90, v36, v49
	v_fma_f32 v21, v34, v38, -v21
	v_fmac_f32_e32 v84, v35, v38
	v_fma_f32 v34, v34, v40, -v86
	v_fmac_f32_e32 v87, v35, v40
	v_fma_f32 v28, v42, v38, -v28
	v_fmac_f32_e32 v29, v43, v38
	v_fma_f32 v30, v42, v40, -v30
	v_fmac_f32_e32 v32, v43, v40
	v_mul_f32_e32 v35, v45, v47
	v_mul_f32_e32 v38, v44, v47
	v_mul_f32_e32 v40, v45, v49
	v_mul_f32_e32 v42, v44, v49
	v_add_f32_e32 v12, v12, v33
	v_add_f32_e32 v13, v13, v89
	v_add_f32_e32 v10, v10, v20
	v_add_f32_e32 v11, v11, v91
	v_add_f32_e32 v8, v8, v24
	v_add_f32_e32 v9, v9, v26
	v_add_f32_e32 v7, v7, v27
	v_add_f32_e32 v6, v6, v31
	v_fma_f32 v39, v36, v46, -v39
	v_fmac_f32_e32 v41, v37, v46
	v_fma_f32 v36, v36, v48, -v88
	v_fmac_f32_e32 v90, v37, v48
	v_mul_f32_e32 v37, v59, v51
	v_mul_f32_e32 v43, v58, v51
	v_mul_f32_e32 v47, v59, v53
	v_mul_f32_e32 v49, v58, v53
	v_fma_f32 v35, v44, v46, -v35
	v_fmac_f32_e32 v38, v45, v46
	v_fma_f32 v40, v44, v48, -v40
	v_fmac_f32_e32 v42, v45, v48
	v_mul_f32_e32 v44, v71, v51
	v_mul_f32_e32 v45, v70, v51
	v_mul_f32_e32 v46, v71, v53
	v_mul_f32_e32 v48, v70, v53
	v_add_f32_e32 v12, v12, v21
	v_add_f32_e32 v13, v13, v84
	v_add_f32_e32 v10, v10, v34
	v_add_f32_e32 v11, v11, v87
	v_add_f32_e32 v8, v8, v28
	v_add_f32_e32 v9, v9, v29
	v_add_f32_e32 v7, v7, v30
	v_add_f32_e32 v6, v6, v32
	v_mul_f32_e32 v51, v61, v55
	v_mul_f32_e32 v53, v60, v55
	v_mul_f32_e32 v86, v61, v57
	v_mul_f32_e32 v88, v60, v57
	v_fma_f32 v37, v58, v50, -v37
	v_fmac_f32_e32 v43, v59, v50
	v_fma_f32 v47, v58, v52, -v47
	v_fmac_f32_e32 v49, v59, v52
	v_fma_f32 v44, v70, v50, -v44
	v_fmac_f32_e32 v45, v71, v50
	v_fma_f32 v46, v70, v52, -v46
	v_fmac_f32_e32 v48, v71, v52
	v_mul_f32_e32 v50, v73, v55
	v_mul_f32_e32 v52, v72, v55
	v_mul_f32_e32 v55, v73, v57
	v_mul_f32_e32 v57, v72, v57
	v_add_f32_e32 v12, v12, v39
	v_add_f32_e32 v13, v13, v41
	v_add_f32_e32 v10, v10, v36
	v_add_f32_e32 v11, v11, v90
	v_add_f32_e32 v8, v8, v35
	v_add_f32_e32 v9, v9, v38
	v_add_f32_e32 v7, v7, v40
	v_add_f32_e32 v6, v6, v42
	;; [unrolled: 48-line block ×3, first 2 shown]
	v_fma_f32 v71, v64, v78, -v71
	v_fmac_f32_e32 v72, v65, v78
	v_fma_f32 v64, v64, v80, -v73
	v_fmac_f32_e32 v86, v65, v80
	;; [unrolled: 2-line block ×4, first 2 shown]
	v_add_f32_e32 v12, v12, v59
	v_add_f32_e32 v13, v13, v60
	;; [unrolled: 1-line block ×16, first 2 shown]
	s_cbranch_vccnz .LBB232_2
.LBB232_3:
	s_lshl_b64 s[0:1], s[30:31], 3
	v_add_co_u32 v0, s6, s6, v0
	s_waitcnt lgkmcnt(0)
	s_add_u32 s0, s8, s0
	s_addc_u32 s1, s9, s1
	v_add_co_u32 v4, s9, s10, v1
	s_or_b32 s8, s2, s3
	v_add_co_ci_u32_e64 v5, null, s11, 0, s9
	v_add_co_ci_u32_e64 v1, null, s7, 0, s6
	s_bitset0_b32 s8, 31
	s_mov_b32 s6, 0
	s_cmp_lg_u32 s8, 0
	s_cbranch_scc1 .LBB232_5
; %bb.4:
	v_mul_lo_u32 v14, v5, s28
	v_mul_lo_u32 v15, v4, s29
	v_mad_u64_u32 v[2:3], null, v4, s28, 0
	v_lshlrev_b64 v[17:18], 3, v[0:1]
	s_lshl_b64 s[8:9], s[28:29], 7
	v_mul_f32_e32 v19, s15, v13
	v_mul_f32_e32 v16, s14, v13
	;; [unrolled: 1-line block ×4, first 2 shown]
	v_add3_u32 v3, v3, v15, v14
	v_mul_f32_e32 v14, s15, v11
	v_fma_f32 v15, v12, s14, -v19
	v_mul_f32_e32 v24, s14, v9
	v_mul_f32_e32 v25, s15, v6
	v_lshlrev_b64 v[2:3], 3, v[2:3]
	v_fma_f32 v19, v10, s14, -v14
	v_mul_f32_e32 v14, s14, v6
	v_fmac_f32_e32 v16, s15, v12
	v_fmac_f32_e32 v20, s15, v10
	v_fma_f32 v23, v8, s14, -v23
	v_add_co_u32 v2, vcc_lo, s0, v2
	v_add_co_ci_u32_e64 v3, null, s1, v3, vcc_lo
	v_fmac_f32_e32 v14, s15, v7
	v_add_co_u32 v21, vcc_lo, v2, v17
	v_add_co_ci_u32_e64 v22, null, v3, v18, vcc_lo
	v_add_co_u32 v2, vcc_lo, v2, s8
	v_add_co_ci_u32_e64 v3, null, s9, v3, vcc_lo
	v_fmac_f32_e32 v24, s15, v8
	v_add_co_u32 v17, vcc_lo, v2, v17
	v_add_co_ci_u32_e64 v18, null, v3, v18, vcc_lo
	v_fma_f32 v25, v7, s14, -v25
	v_add_co_u32 v2, vcc_lo, 0x80, v17
	v_add_co_ci_u32_e64 v3, null, 0, v18, vcc_lo
	flat_store_dwordx2 v[21:22], v[15:16]
	flat_store_dwordx2 v[21:22], v[19:20] offset:128
	flat_store_dwordx2 v[17:18], v[23:24]
	flat_store_dword v[17:18], v25 offset:128
	s_andn2_b32 vcc_lo, exec_lo, s6
	s_cbranch_vccz .LBB232_6
	s_branch .LBB232_7
.LBB232_5:
                                        ; implicit-def: $vgpr14
                                        ; implicit-def: $vgpr2_vgpr3
.LBB232_6:
	v_mul_lo_u32 v14, v5, s38
	v_mul_lo_u32 v15, v4, s39
	v_mad_u64_u32 v[2:3], null, v4, s38, 0
	s_lshl_b64 s[6:7], s[40:41], 3
	v_lshlrev_b64 v[0:1], 3, v[0:1]
	s_add_u32 s4, s4, s6
	s_addc_u32 s5, s5, s7
	v_mul_lo_u32 v18, v5, s28
	v_mul_lo_u32 v19, v4, s29
	v_add3_u32 v3, v3, v15, v14
	v_mad_u64_u32 v[4:5], null, v4, s28, 0
	v_lshlrev_b64 v[2:3], 3, v[2:3]
	v_add3_u32 v5, v5, v19, v18
	v_mul_f32_e32 v18, s15, v13
	v_add_co_u32 v16, vcc_lo, s4, v2
	v_add_co_ci_u32_e64 v17, null, s5, v3, vcc_lo
	v_mul_f32_e32 v13, s14, v13
	v_add_co_u32 v2, vcc_lo, v16, v0
	v_add_co_ci_u32_e64 v3, null, v17, v1, vcc_lo
	v_lshlrev_b64 v[4:5], 3, v[4:5]
	v_fma_f32 v18, v12, s14, -v18
	v_fmac_f32_e32 v13, s15, v12
	flat_load_dwordx2 v[14:15], v[2:3]
	v_add_co_u32 v19, vcc_lo, s0, v4
	v_add_co_ci_u32_e64 v20, null, s1, v5, vcc_lo
	s_lshl_b64 s[0:1], s[38:39], 7
	v_add_co_u32 v4, vcc_lo, v19, v0
	v_add_co_ci_u32_e64 v5, null, v20, v1, vcc_lo
	s_waitcnt vmcnt(0) lgkmcnt(0)
	v_mul_f32_e32 v12, s3, v15
	v_mul_f32_e32 v15, s2, v15
	v_fma_f32 v12, v14, s2, -v12
	v_fmac_f32_e32 v15, s3, v14
	v_add_f32_e32 v12, v18, v12
	v_add_f32_e32 v13, v13, v15
	flat_store_dwordx2 v[4:5], v[12:13]
	flat_load_dwordx2 v[2:3], v[2:3] offset:128
	v_mul_f32_e32 v12, s15, v11
	v_mul_f32_e32 v11, s14, v11
	v_fma_f32 v12, v10, s14, -v12
	v_fmac_f32_e32 v11, s15, v10
	s_waitcnt vmcnt(0) lgkmcnt(0)
	v_mul_f32_e32 v13, s3, v3
	v_mul_f32_e32 v3, s2, v3
	v_fma_f32 v10, v2, s2, -v13
	v_add_co_u32 v13, vcc_lo, v16, s0
	v_fmac_f32_e32 v3, s3, v2
	v_add_co_ci_u32_e64 v14, null, s1, v17, vcc_lo
	v_add_f32_e32 v2, v12, v10
	v_add_co_u32 v10, vcc_lo, v13, v0
	v_add_f32_e32 v3, v11, v3
	v_add_co_ci_u32_e64 v11, null, v14, v1, vcc_lo
	s_lshl_b64 s[0:1], s[28:29], 7
	flat_store_dwordx2 v[4:5], v[2:3] offset:128
	flat_load_dwordx2 v[2:3], v[10:11]
	v_mul_f32_e32 v4, s15, v9
	v_mul_f32_e32 v5, s14, v9
	v_add_co_u32 v9, vcc_lo, v19, s0
	v_add_co_ci_u32_e64 v12, null, s1, v20, vcc_lo
	v_fma_f32 v4, v8, s14, -v4
	v_fmac_f32_e32 v5, s15, v8
	v_add_co_u32 v0, vcc_lo, v9, v0
	v_add_co_ci_u32_e64 v1, null, v12, v1, vcc_lo
	s_waitcnt vmcnt(0) lgkmcnt(0)
	v_mul_f32_e32 v8, s3, v3
	v_mul_f32_e32 v3, s2, v3
	v_fma_f32 v8, v2, s2, -v8
	v_fmac_f32_e32 v3, s3, v2
	v_add_f32_e32 v2, v4, v8
	v_add_f32_e32 v3, v5, v3
	v_mul_f32_e32 v4, s15, v6
	v_mul_f32_e32 v5, s14, v6
	flat_store_dwordx2 v[0:1], v[2:3]
	flat_load_dwordx2 v[2:3], v[10:11] offset:128
	v_fma_f32 v4, v7, s14, -v4
	v_fmac_f32_e32 v5, s15, v7
	s_waitcnt vmcnt(0) lgkmcnt(0)
	v_mul_f32_e32 v6, s3, v3
	v_mul_f32_e32 v3, s2, v3
	v_fma_f32 v6, v2, s2, -v6
	v_fmac_f32_e32 v3, s3, v2
	v_add_co_u32 v2, vcc_lo, 0x80, v0
	v_add_f32_e32 v4, v4, v6
	v_add_f32_e32 v14, v5, v3
	v_add_co_ci_u32_e64 v3, null, 0, v1, vcc_lo
	flat_store_dword v[0:1], v4 offset:128
.LBB232_7:
	flat_store_dword v[2:3], v14 offset:4
	s_endpgm
	.section	.rodata,"a",@progbits
	.p2align	6, 0x0
	.amdhsa_kernel _ZN12_GLOBAL__N_127rocblas_gemm_batched_kernelI19rocblas_complex_numIfELi16ELi16ELi32ELi32ELi8ELi32ELi8ELi8ELi32ELc78ELc78EKPKS2_S5_KPS2_EEvlllT_PT11_llSA_llS8_PT12_llPT13_lli
		.amdhsa_group_segment_fixed_size 4096
		.amdhsa_private_segment_fixed_size 0
		.amdhsa_kernarg_size 140
		.amdhsa_user_sgpr_count 6
		.amdhsa_user_sgpr_private_segment_buffer 1
		.amdhsa_user_sgpr_dispatch_ptr 0
		.amdhsa_user_sgpr_queue_ptr 0
		.amdhsa_user_sgpr_kernarg_segment_ptr 1
		.amdhsa_user_sgpr_dispatch_id 0
		.amdhsa_user_sgpr_flat_scratch_init 0
		.amdhsa_user_sgpr_private_segment_size 0
		.amdhsa_wavefront_size32 1
		.amdhsa_uses_dynamic_stack 0
		.amdhsa_system_sgpr_private_segment_wavefront_offset 0
		.amdhsa_system_sgpr_workgroup_id_x 1
		.amdhsa_system_sgpr_workgroup_id_y 1
		.amdhsa_system_sgpr_workgroup_id_z 1
		.amdhsa_system_sgpr_workgroup_info 0
		.amdhsa_system_vgpr_workitem_id 1
		.amdhsa_next_free_vgpr 92
		.amdhsa_next_free_sgpr 44
		.amdhsa_reserve_vcc 1
		.amdhsa_reserve_flat_scratch 0
		.amdhsa_float_round_mode_32 0
		.amdhsa_float_round_mode_16_64 0
		.amdhsa_float_denorm_mode_32 3
		.amdhsa_float_denorm_mode_16_64 3
		.amdhsa_dx10_clamp 1
		.amdhsa_ieee_mode 1
		.amdhsa_fp16_overflow 0
		.amdhsa_workgroup_processor_mode 1
		.amdhsa_memory_ordered 1
		.amdhsa_forward_progress 1
		.amdhsa_shared_vgpr_count 0
		.amdhsa_exception_fp_ieee_invalid_op 0
		.amdhsa_exception_fp_denorm_src 0
		.amdhsa_exception_fp_ieee_div_zero 0
		.amdhsa_exception_fp_ieee_overflow 0
		.amdhsa_exception_fp_ieee_underflow 0
		.amdhsa_exception_fp_ieee_inexact 0
		.amdhsa_exception_int_div_zero 0
	.end_amdhsa_kernel
	.section	.text._ZN12_GLOBAL__N_127rocblas_gemm_batched_kernelI19rocblas_complex_numIfELi16ELi16ELi32ELi32ELi8ELi32ELi8ELi8ELi32ELc78ELc78EKPKS2_S5_KPS2_EEvlllT_PT11_llSA_llS8_PT12_llPT13_lli,"axG",@progbits,_ZN12_GLOBAL__N_127rocblas_gemm_batched_kernelI19rocblas_complex_numIfELi16ELi16ELi32ELi32ELi8ELi32ELi8ELi8ELi32ELc78ELc78EKPKS2_S5_KPS2_EEvlllT_PT11_llSA_llS8_PT12_llPT13_lli,comdat
.Lfunc_end232:
	.size	_ZN12_GLOBAL__N_127rocblas_gemm_batched_kernelI19rocblas_complex_numIfELi16ELi16ELi32ELi32ELi8ELi32ELi8ELi8ELi32ELc78ELc78EKPKS2_S5_KPS2_EEvlllT_PT11_llSA_llS8_PT12_llPT13_lli, .Lfunc_end232-_ZN12_GLOBAL__N_127rocblas_gemm_batched_kernelI19rocblas_complex_numIfELi16ELi16ELi32ELi32ELi8ELi32ELi8ELi8ELi32ELc78ELc78EKPKS2_S5_KPS2_EEvlllT_PT11_llSA_llS8_PT12_llPT13_lli
                                        ; -- End function
	.set _ZN12_GLOBAL__N_127rocblas_gemm_batched_kernelI19rocblas_complex_numIfELi16ELi16ELi32ELi32ELi8ELi32ELi8ELi8ELi32ELc78ELc78EKPKS2_S5_KPS2_EEvlllT_PT11_llSA_llS8_PT12_llPT13_lli.num_vgpr, 92
	.set _ZN12_GLOBAL__N_127rocblas_gemm_batched_kernelI19rocblas_complex_numIfELi16ELi16ELi32ELi32ELi8ELi32ELi8ELi8ELi32ELc78ELc78EKPKS2_S5_KPS2_EEvlllT_PT11_llSA_llS8_PT12_llPT13_lli.num_agpr, 0
	.set _ZN12_GLOBAL__N_127rocblas_gemm_batched_kernelI19rocblas_complex_numIfELi16ELi16ELi32ELi32ELi8ELi32ELi8ELi8ELi32ELc78ELc78EKPKS2_S5_KPS2_EEvlllT_PT11_llSA_llS8_PT12_llPT13_lli.numbered_sgpr, 44
	.set _ZN12_GLOBAL__N_127rocblas_gemm_batched_kernelI19rocblas_complex_numIfELi16ELi16ELi32ELi32ELi8ELi32ELi8ELi8ELi32ELc78ELc78EKPKS2_S5_KPS2_EEvlllT_PT11_llSA_llS8_PT12_llPT13_lli.num_named_barrier, 0
	.set _ZN12_GLOBAL__N_127rocblas_gemm_batched_kernelI19rocblas_complex_numIfELi16ELi16ELi32ELi32ELi8ELi32ELi8ELi8ELi32ELc78ELc78EKPKS2_S5_KPS2_EEvlllT_PT11_llSA_llS8_PT12_llPT13_lli.private_seg_size, 0
	.set _ZN12_GLOBAL__N_127rocblas_gemm_batched_kernelI19rocblas_complex_numIfELi16ELi16ELi32ELi32ELi8ELi32ELi8ELi8ELi32ELc78ELc78EKPKS2_S5_KPS2_EEvlllT_PT11_llSA_llS8_PT12_llPT13_lli.uses_vcc, 1
	.set _ZN12_GLOBAL__N_127rocblas_gemm_batched_kernelI19rocblas_complex_numIfELi16ELi16ELi32ELi32ELi8ELi32ELi8ELi8ELi32ELc78ELc78EKPKS2_S5_KPS2_EEvlllT_PT11_llSA_llS8_PT12_llPT13_lli.uses_flat_scratch, 0
	.set _ZN12_GLOBAL__N_127rocblas_gemm_batched_kernelI19rocblas_complex_numIfELi16ELi16ELi32ELi32ELi8ELi32ELi8ELi8ELi32ELc78ELc78EKPKS2_S5_KPS2_EEvlllT_PT11_llSA_llS8_PT12_llPT13_lli.has_dyn_sized_stack, 0
	.set _ZN12_GLOBAL__N_127rocblas_gemm_batched_kernelI19rocblas_complex_numIfELi16ELi16ELi32ELi32ELi8ELi32ELi8ELi8ELi32ELc78ELc78EKPKS2_S5_KPS2_EEvlllT_PT11_llSA_llS8_PT12_llPT13_lli.has_recursion, 0
	.set _ZN12_GLOBAL__N_127rocblas_gemm_batched_kernelI19rocblas_complex_numIfELi16ELi16ELi32ELi32ELi8ELi32ELi8ELi8ELi32ELc78ELc78EKPKS2_S5_KPS2_EEvlllT_PT11_llSA_llS8_PT12_llPT13_lli.has_indirect_call, 0
	.section	.AMDGPU.csdata,"",@progbits
; Kernel info:
; codeLenInByte = 2496
; TotalNumSgprs: 46
; NumVgprs: 92
; ScratchSize: 0
; MemoryBound: 0
; FloatMode: 240
; IeeeMode: 1
; LDSByteSize: 4096 bytes/workgroup (compile time only)
; SGPRBlocks: 0
; VGPRBlocks: 11
; NumSGPRsForWavesPerEU: 46
; NumVGPRsForWavesPerEU: 92
; Occupancy: 10
; WaveLimiterHint : 1
; COMPUTE_PGM_RSRC2:SCRATCH_EN: 0
; COMPUTE_PGM_RSRC2:USER_SGPR: 6
; COMPUTE_PGM_RSRC2:TRAP_HANDLER: 0
; COMPUTE_PGM_RSRC2:TGID_X_EN: 1
; COMPUTE_PGM_RSRC2:TGID_Y_EN: 1
; COMPUTE_PGM_RSRC2:TGID_Z_EN: 1
; COMPUTE_PGM_RSRC2:TIDIG_COMP_CNT: 1
	.section	.text._ZN12_GLOBAL__N_127rocblas_gemm_batched_kernelI19rocblas_complex_numIfELi16ELi16ELi32ELi32ELi8ELi32ELi8ELi8ELi32ELc84ELc78EKPKS2_S5_KPS2_EEvlllT_PT11_llSA_llS8_PT12_llPT13_lli,"axG",@progbits,_ZN12_GLOBAL__N_127rocblas_gemm_batched_kernelI19rocblas_complex_numIfELi16ELi16ELi32ELi32ELi8ELi32ELi8ELi8ELi32ELc84ELc78EKPKS2_S5_KPS2_EEvlllT_PT11_llSA_llS8_PT12_llPT13_lli,comdat
	.globl	_ZN12_GLOBAL__N_127rocblas_gemm_batched_kernelI19rocblas_complex_numIfELi16ELi16ELi32ELi32ELi8ELi32ELi8ELi8ELi32ELc84ELc78EKPKS2_S5_KPS2_EEvlllT_PT11_llSA_llS8_PT12_llPT13_lli ; -- Begin function _ZN12_GLOBAL__N_127rocblas_gemm_batched_kernelI19rocblas_complex_numIfELi16ELi16ELi32ELi32ELi8ELi32ELi8ELi8ELi32ELc84ELc78EKPKS2_S5_KPS2_EEvlllT_PT11_llSA_llS8_PT12_llPT13_lli
	.p2align	8
	.type	_ZN12_GLOBAL__N_127rocblas_gemm_batched_kernelI19rocblas_complex_numIfELi16ELi16ELi32ELi32ELi8ELi32ELi8ELi8ELi32ELc84ELc78EKPKS2_S5_KPS2_EEvlllT_PT11_llSA_llS8_PT12_llPT13_lli,@function
_ZN12_GLOBAL__N_127rocblas_gemm_batched_kernelI19rocblas_complex_numIfELi16ELi16ELi32ELi32ELi8ELi32ELi8ELi8ELi32ELc84ELc78EKPKS2_S5_KPS2_EEvlllT_PT11_llSA_llS8_PT12_llPT13_lli: ; @_ZN12_GLOBAL__N_127rocblas_gemm_batched_kernelI19rocblas_complex_numIfELi16ELi16ELi32ELi32ELi8ELi32ELi8ELi8ELi32ELc84ELc78EKPKS2_S5_KPS2_EEvlllT_PT11_llSA_llS8_PT12_llPT13_lli
; %bb.0:
	s_clause 0x1
	s_load_dwordx8 s[36:43], s[4:5], 0x58
	s_load_dwordx16 s[12:27], s[4:5], 0x10
	s_mov_b32 s9, 0
	s_clause 0x1
	s_load_dwordx4 s[28:31], s[4:5], 0x78
	s_load_dwordx2 s[2:3], s[4:5], 0x50
	s_lshl_b64 s[0:1], s[8:9], 3
	s_mov_b32 s10, s7
	v_mov_b32_e32 v12, 0
	v_mov_b32_e32 v13, 0
	;; [unrolled: 1-line block ×8, first 2 shown]
	s_waitcnt lgkmcnt(0)
	s_add_u32 s4, s36, s0
	s_addc_u32 s5, s37, s1
	s_add_u32 s8, s42, s0
	s_addc_u32 s9, s43, s1
	s_load_dwordx2 s[4:5], s[4:5], 0x0
	s_load_dwordx2 s[8:9], s[8:9], 0x0
	v_cmp_lt_i64_e64 s33, s[12:13], 1
	s_ashr_i32 s7, s6, 31
	s_ashr_i32 s11, s10, 31
	s_lshl_b64 s[6:7], s[6:7], 5
	s_lshl_b64 s[10:11], s[10:11], 5
	s_and_b32 vcc_lo, exec_lo, s33
	s_cbranch_vccnz .LBB233_3
; %bb.1:
	v_lshl_add_u32 v2, v1, 4, v0
	s_add_u32 s16, s16, s0
	s_addc_u32 s17, s17, s1
	s_add_u32 s0, s22, s0
	v_and_b32_e32 v3, 7, v0
	v_and_b32_e32 v6, 31, v2
	v_lshrrev_b32_e32 v7, 3, v2
	v_lshrrev_b32_e32 v10, 5, v2
	s_load_dwordx2 s[16:17], s[16:17], 0x0
	v_lshlrev_b32_e32 v11, 3, v3
	v_add_co_u32 v4, s22, s6, v6
	v_add_co_ci_u32_e64 v5, null, s7, 0, s22
	v_add_co_u32 v8, s22, v7, s10
	v_add_co_ci_u32_e64 v9, null, 0, s11, s22
	v_mul_lo_u32 v12, s19, v4
	v_mul_lo_u32 v13, s18, v5
	v_mad_u64_u32 v[2:3], null, s18, v4, 0
	v_mul_lo_u32 v16, s25, v8
	v_mul_lo_u32 v9, s24, v9
	v_mad_u64_u32 v[4:5], null, s24, v8, 0
	s_addc_u32 s1, s23, s1
	v_lshl_or_b32 v7, v7, 6, v11
	v_add3_u32 v3, v3, v13, v12
	s_load_dwordx2 s[0:1], s[0:1], 0x0
	s_lshl_b64 s[18:19], s[20:21], 3
	v_lshlrev_b32_e32 v8, 3, v6
	v_add3_u32 v5, v5, v9, v16
	v_lshlrev_b64 v[2:3], 3, v[2:3]
	v_add_nc_u32_e32 v15, 0x800, v7
	v_lshlrev_b32_e32 v7, 3, v10
	v_mov_b32_e32 v6, 0
	v_lshlrev_b64 v[4:5], 3, v[4:5]
	v_lshl_or_b32 v14, v10, 8, v8
	v_add_co_u32 v2, vcc_lo, v2, s18
	v_add_co_ci_u32_e64 v3, null, s19, v3, vcc_lo
	s_lshl_b64 s[18:19], s[26:27], 3
	v_lshlrev_b32_e32 v16, 3, v0
	v_add_co_u32 v4, vcc_lo, v4, s18
	v_add_co_ci_u32_e64 v5, null, s19, v5, vcc_lo
	v_add_co_u32 v2, vcc_lo, v2, v7
	v_add_co_ci_u32_e64 v3, null, 0, v3, vcc_lo
	;; [unrolled: 2-line block ×3, first 2 shown]
	s_waitcnt lgkmcnt(0)
	v_add_co_u32 v2, vcc_lo, s16, v2
	v_add_co_ci_u32_e64 v3, null, s17, v3, vcc_lo
	v_add_co_u32 v4, vcc_lo, s0, v4
	v_lshl_add_u32 v17, v1, 6, 0x800
	v_add_co_ci_u32_e64 v5, null, s1, v5, vcc_lo
	v_mov_b32_e32 v7, 0
	v_mov_b32_e32 v9, 0
	;; [unrolled: 1-line block ×7, first 2 shown]
	s_mov_b64 s[16:17], 0
.LBB233_2:                              ; =>This Inner Loop Header: Depth=1
	flat_load_dwordx2 v[18:19], v[2:3]
	s_add_u32 s16, s16, 8
	s_addc_u32 s17, s17, 0
	v_add_co_u32 v2, vcc_lo, v2, 64
	v_cmp_lt_i64_e64 s0, s[16:17], s[12:13]
	v_add_co_ci_u32_e64 v3, null, 0, v3, vcc_lo
	s_and_b32 vcc_lo, exec_lo, s0
	s_waitcnt vmcnt(0) lgkmcnt(0)
	ds_write_b64 v14, v[18:19]
	flat_load_dwordx2 v[18:19], v[4:5]
	v_add_co_u32 v4, s0, v4, 64
	v_add_co_ci_u32_e64 v5, null, 0, v5, s0
	s_waitcnt vmcnt(0) lgkmcnt(0)
	ds_write_b64 v15, v[18:19]
	s_waitcnt lgkmcnt(0)
	s_barrier
	buffer_gl0_inv
	ds_read_b128 v[18:21], v17
	ds_read2_b64 v[22:25], v16 offset1:16
	ds_read_b128 v[26:29], v17 offset:1024
	ds_read2_b64 v[30:33], v16 offset0:32 offset1:48
	ds_read_b128 v[34:37], v17 offset:16
	ds_read2_b64 v[38:41], v16 offset0:64 offset1:80
	;; [unrolled: 2-line block ×3, first 2 shown]
	ds_read2_b64 v[50:53], v16 offset0:128 offset1:144
	ds_read2_b64 v[54:57], v16 offset0:160 offset1:176
	ds_read_b128 v[58:61], v17 offset:32
	ds_read_b128 v[62:65], v17 offset:48
	ds_read2_b64 v[66:69], v16 offset0:192 offset1:208
	ds_read_b128 v[70:73], v17 offset:1056
	ds_read_b128 v[74:77], v17 offset:1072
	ds_read2_b64 v[78:81], v16 offset0:224 offset1:240
	s_waitcnt lgkmcnt(0)
	s_barrier
	buffer_gl0_inv
	v_mul_f32_e32 v82, v19, v23
	v_mul_f32_e32 v83, v18, v23
	;; [unrolled: 1-line block ×12, first 2 shown]
	v_fma_f32 v82, v18, v22, -v82
	v_fmac_f32_e32 v83, v19, v22
	v_fma_f32 v18, v18, v24, -v84
	v_fmac_f32_e32 v85, v19, v24
	;; [unrolled: 2-line block ×4, first 2 shown]
	v_mul_f32_e32 v24, v29, v31
	v_mul_f32_e32 v26, v28, v31
	;; [unrolled: 1-line block ×4, first 2 shown]
	v_fma_f32 v33, v20, v30, -v88
	v_fmac_f32_e32 v89, v21, v30
	v_fma_f32 v20, v20, v32, -v90
	v_fmac_f32_e32 v91, v21, v32
	v_mul_f32_e32 v21, v35, v39
	v_mul_f32_e32 v84, v34, v39
	v_mul_f32_e32 v86, v35, v41
	v_mul_f32_e32 v87, v34, v41
	v_fma_f32 v24, v28, v30, -v24
	v_fmac_f32_e32 v26, v29, v30
	v_fma_f32 v27, v28, v32, -v27
	v_fmac_f32_e32 v31, v29, v32
	v_mul_f32_e32 v28, v43, v39
	v_mul_f32_e32 v29, v42, v39
	v_mul_f32_e32 v30, v43, v41
	v_mul_f32_e32 v32, v42, v41
	v_add_f32_e32 v12, v12, v82
	v_add_f32_e32 v13, v13, v83
	v_add_f32_e32 v10, v10, v18
	v_add_f32_e32 v11, v11, v85
	v_add_f32_e32 v8, v8, v19
	v_add_f32_e32 v9, v9, v23
	v_add_f32_e32 v7, v7, v22
	v_add_f32_e32 v6, v6, v25
	v_mul_f32_e32 v39, v37, v47
	v_mul_f32_e32 v41, v36, v47
	v_mul_f32_e32 v88, v37, v49
	v_mul_f32_e32 v90, v36, v49
	v_fma_f32 v21, v34, v38, -v21
	v_fmac_f32_e32 v84, v35, v38
	v_fma_f32 v34, v34, v40, -v86
	v_fmac_f32_e32 v87, v35, v40
	v_fma_f32 v28, v42, v38, -v28
	v_fmac_f32_e32 v29, v43, v38
	v_fma_f32 v30, v42, v40, -v30
	v_fmac_f32_e32 v32, v43, v40
	v_mul_f32_e32 v35, v45, v47
	v_mul_f32_e32 v38, v44, v47
	v_mul_f32_e32 v40, v45, v49
	v_mul_f32_e32 v42, v44, v49
	v_add_f32_e32 v12, v12, v33
	v_add_f32_e32 v13, v13, v89
	v_add_f32_e32 v10, v10, v20
	v_add_f32_e32 v11, v11, v91
	v_add_f32_e32 v8, v8, v24
	v_add_f32_e32 v9, v9, v26
	v_add_f32_e32 v7, v7, v27
	v_add_f32_e32 v6, v6, v31
	v_fma_f32 v39, v36, v46, -v39
	v_fmac_f32_e32 v41, v37, v46
	v_fma_f32 v36, v36, v48, -v88
	v_fmac_f32_e32 v90, v37, v48
	v_mul_f32_e32 v37, v59, v51
	v_mul_f32_e32 v43, v58, v51
	v_mul_f32_e32 v47, v59, v53
	v_mul_f32_e32 v49, v58, v53
	v_fma_f32 v35, v44, v46, -v35
	v_fmac_f32_e32 v38, v45, v46
	v_fma_f32 v40, v44, v48, -v40
	v_fmac_f32_e32 v42, v45, v48
	v_mul_f32_e32 v44, v71, v51
	v_mul_f32_e32 v45, v70, v51
	v_mul_f32_e32 v46, v71, v53
	v_mul_f32_e32 v48, v70, v53
	v_add_f32_e32 v12, v12, v21
	v_add_f32_e32 v13, v13, v84
	v_add_f32_e32 v10, v10, v34
	v_add_f32_e32 v11, v11, v87
	v_add_f32_e32 v8, v8, v28
	v_add_f32_e32 v9, v9, v29
	v_add_f32_e32 v7, v7, v30
	v_add_f32_e32 v6, v6, v32
	v_mul_f32_e32 v51, v61, v55
	v_mul_f32_e32 v53, v60, v55
	v_mul_f32_e32 v86, v61, v57
	v_mul_f32_e32 v88, v60, v57
	v_fma_f32 v37, v58, v50, -v37
	v_fmac_f32_e32 v43, v59, v50
	v_fma_f32 v47, v58, v52, -v47
	v_fmac_f32_e32 v49, v59, v52
	v_fma_f32 v44, v70, v50, -v44
	v_fmac_f32_e32 v45, v71, v50
	v_fma_f32 v46, v70, v52, -v46
	v_fmac_f32_e32 v48, v71, v52
	v_mul_f32_e32 v50, v73, v55
	v_mul_f32_e32 v52, v72, v55
	v_mul_f32_e32 v55, v73, v57
	v_mul_f32_e32 v57, v72, v57
	v_add_f32_e32 v12, v12, v39
	v_add_f32_e32 v13, v13, v41
	v_add_f32_e32 v10, v10, v36
	v_add_f32_e32 v11, v11, v90
	v_add_f32_e32 v8, v8, v35
	v_add_f32_e32 v9, v9, v38
	v_add_f32_e32 v7, v7, v40
	v_add_f32_e32 v6, v6, v42
	;; [unrolled: 48-line block ×3, first 2 shown]
	v_fma_f32 v71, v64, v78, -v71
	v_fmac_f32_e32 v72, v65, v78
	v_fma_f32 v64, v64, v80, -v73
	v_fmac_f32_e32 v86, v65, v80
	;; [unrolled: 2-line block ×4, first 2 shown]
	v_add_f32_e32 v12, v12, v59
	v_add_f32_e32 v13, v13, v60
	;; [unrolled: 1-line block ×16, first 2 shown]
	s_cbranch_vccnz .LBB233_2
.LBB233_3:
	s_lshl_b64 s[0:1], s[30:31], 3
	v_add_co_u32 v0, s6, s6, v0
	s_waitcnt lgkmcnt(0)
	s_add_u32 s0, s8, s0
	s_addc_u32 s1, s9, s1
	v_add_co_u32 v4, s9, s10, v1
	s_or_b32 s8, s2, s3
	v_add_co_ci_u32_e64 v5, null, s11, 0, s9
	v_add_co_ci_u32_e64 v1, null, s7, 0, s6
	s_bitset0_b32 s8, 31
	s_mov_b32 s6, 0
	s_cmp_lg_u32 s8, 0
	s_cbranch_scc1 .LBB233_5
; %bb.4:
	v_mul_lo_u32 v14, v5, s28
	v_mul_lo_u32 v15, v4, s29
	v_mad_u64_u32 v[2:3], null, v4, s28, 0
	v_lshlrev_b64 v[17:18], 3, v[0:1]
	s_lshl_b64 s[8:9], s[28:29], 7
	v_mul_f32_e32 v19, s15, v13
	v_mul_f32_e32 v16, s14, v13
	;; [unrolled: 1-line block ×4, first 2 shown]
	v_add3_u32 v3, v3, v15, v14
	v_mul_f32_e32 v14, s15, v11
	v_fma_f32 v15, v12, s14, -v19
	v_mul_f32_e32 v24, s14, v9
	v_mul_f32_e32 v25, s15, v6
	v_lshlrev_b64 v[2:3], 3, v[2:3]
	v_fma_f32 v19, v10, s14, -v14
	v_mul_f32_e32 v14, s14, v6
	v_fmac_f32_e32 v16, s15, v12
	v_fmac_f32_e32 v20, s15, v10
	v_fma_f32 v23, v8, s14, -v23
	v_add_co_u32 v2, vcc_lo, s0, v2
	v_add_co_ci_u32_e64 v3, null, s1, v3, vcc_lo
	v_fmac_f32_e32 v14, s15, v7
	v_add_co_u32 v21, vcc_lo, v2, v17
	v_add_co_ci_u32_e64 v22, null, v3, v18, vcc_lo
	v_add_co_u32 v2, vcc_lo, v2, s8
	v_add_co_ci_u32_e64 v3, null, s9, v3, vcc_lo
	v_fmac_f32_e32 v24, s15, v8
	v_add_co_u32 v17, vcc_lo, v2, v17
	v_add_co_ci_u32_e64 v18, null, v3, v18, vcc_lo
	v_fma_f32 v25, v7, s14, -v25
	v_add_co_u32 v2, vcc_lo, 0x80, v17
	v_add_co_ci_u32_e64 v3, null, 0, v18, vcc_lo
	flat_store_dwordx2 v[21:22], v[15:16]
	flat_store_dwordx2 v[21:22], v[19:20] offset:128
	flat_store_dwordx2 v[17:18], v[23:24]
	flat_store_dword v[17:18], v25 offset:128
	s_andn2_b32 vcc_lo, exec_lo, s6
	s_cbranch_vccz .LBB233_6
	s_branch .LBB233_7
.LBB233_5:
                                        ; implicit-def: $vgpr14
                                        ; implicit-def: $vgpr2_vgpr3
.LBB233_6:
	v_mul_lo_u32 v14, v5, s38
	v_mul_lo_u32 v15, v4, s39
	v_mad_u64_u32 v[2:3], null, v4, s38, 0
	s_lshl_b64 s[6:7], s[40:41], 3
	v_lshlrev_b64 v[0:1], 3, v[0:1]
	s_add_u32 s4, s4, s6
	s_addc_u32 s5, s5, s7
	v_mul_lo_u32 v18, v5, s28
	v_mul_lo_u32 v19, v4, s29
	v_add3_u32 v3, v3, v15, v14
	v_mad_u64_u32 v[4:5], null, v4, s28, 0
	v_lshlrev_b64 v[2:3], 3, v[2:3]
	v_add3_u32 v5, v5, v19, v18
	v_mul_f32_e32 v18, s15, v13
	v_add_co_u32 v16, vcc_lo, s4, v2
	v_add_co_ci_u32_e64 v17, null, s5, v3, vcc_lo
	v_mul_f32_e32 v13, s14, v13
	v_add_co_u32 v2, vcc_lo, v16, v0
	v_add_co_ci_u32_e64 v3, null, v17, v1, vcc_lo
	v_lshlrev_b64 v[4:5], 3, v[4:5]
	v_fma_f32 v18, v12, s14, -v18
	v_fmac_f32_e32 v13, s15, v12
	flat_load_dwordx2 v[14:15], v[2:3]
	v_add_co_u32 v19, vcc_lo, s0, v4
	v_add_co_ci_u32_e64 v20, null, s1, v5, vcc_lo
	s_lshl_b64 s[0:1], s[38:39], 7
	v_add_co_u32 v4, vcc_lo, v19, v0
	v_add_co_ci_u32_e64 v5, null, v20, v1, vcc_lo
	s_waitcnt vmcnt(0) lgkmcnt(0)
	v_mul_f32_e32 v12, s3, v15
	v_mul_f32_e32 v15, s2, v15
	v_fma_f32 v12, v14, s2, -v12
	v_fmac_f32_e32 v15, s3, v14
	v_add_f32_e32 v12, v18, v12
	v_add_f32_e32 v13, v13, v15
	flat_store_dwordx2 v[4:5], v[12:13]
	flat_load_dwordx2 v[2:3], v[2:3] offset:128
	v_mul_f32_e32 v12, s15, v11
	v_mul_f32_e32 v11, s14, v11
	v_fma_f32 v12, v10, s14, -v12
	v_fmac_f32_e32 v11, s15, v10
	s_waitcnt vmcnt(0) lgkmcnt(0)
	v_mul_f32_e32 v13, s3, v3
	v_mul_f32_e32 v3, s2, v3
	v_fma_f32 v10, v2, s2, -v13
	v_add_co_u32 v13, vcc_lo, v16, s0
	v_fmac_f32_e32 v3, s3, v2
	v_add_co_ci_u32_e64 v14, null, s1, v17, vcc_lo
	v_add_f32_e32 v2, v12, v10
	v_add_co_u32 v10, vcc_lo, v13, v0
	v_add_f32_e32 v3, v11, v3
	v_add_co_ci_u32_e64 v11, null, v14, v1, vcc_lo
	s_lshl_b64 s[0:1], s[28:29], 7
	flat_store_dwordx2 v[4:5], v[2:3] offset:128
	flat_load_dwordx2 v[2:3], v[10:11]
	v_mul_f32_e32 v4, s15, v9
	v_mul_f32_e32 v5, s14, v9
	v_add_co_u32 v9, vcc_lo, v19, s0
	v_add_co_ci_u32_e64 v12, null, s1, v20, vcc_lo
	v_fma_f32 v4, v8, s14, -v4
	v_fmac_f32_e32 v5, s15, v8
	v_add_co_u32 v0, vcc_lo, v9, v0
	v_add_co_ci_u32_e64 v1, null, v12, v1, vcc_lo
	s_waitcnt vmcnt(0) lgkmcnt(0)
	v_mul_f32_e32 v8, s3, v3
	v_mul_f32_e32 v3, s2, v3
	v_fma_f32 v8, v2, s2, -v8
	v_fmac_f32_e32 v3, s3, v2
	v_add_f32_e32 v2, v4, v8
	v_add_f32_e32 v3, v5, v3
	v_mul_f32_e32 v4, s15, v6
	v_mul_f32_e32 v5, s14, v6
	flat_store_dwordx2 v[0:1], v[2:3]
	flat_load_dwordx2 v[2:3], v[10:11] offset:128
	v_fma_f32 v4, v7, s14, -v4
	v_fmac_f32_e32 v5, s15, v7
	s_waitcnt vmcnt(0) lgkmcnt(0)
	v_mul_f32_e32 v6, s3, v3
	v_mul_f32_e32 v3, s2, v3
	v_fma_f32 v6, v2, s2, -v6
	v_fmac_f32_e32 v3, s3, v2
	v_add_co_u32 v2, vcc_lo, 0x80, v0
	v_add_f32_e32 v4, v4, v6
	v_add_f32_e32 v14, v5, v3
	v_add_co_ci_u32_e64 v3, null, 0, v1, vcc_lo
	flat_store_dword v[0:1], v4 offset:128
.LBB233_7:
	flat_store_dword v[2:3], v14 offset:4
	s_endpgm
	.section	.rodata,"a",@progbits
	.p2align	6, 0x0
	.amdhsa_kernel _ZN12_GLOBAL__N_127rocblas_gemm_batched_kernelI19rocblas_complex_numIfELi16ELi16ELi32ELi32ELi8ELi32ELi8ELi8ELi32ELc84ELc78EKPKS2_S5_KPS2_EEvlllT_PT11_llSA_llS8_PT12_llPT13_lli
		.amdhsa_group_segment_fixed_size 4096
		.amdhsa_private_segment_fixed_size 0
		.amdhsa_kernarg_size 140
		.amdhsa_user_sgpr_count 6
		.amdhsa_user_sgpr_private_segment_buffer 1
		.amdhsa_user_sgpr_dispatch_ptr 0
		.amdhsa_user_sgpr_queue_ptr 0
		.amdhsa_user_sgpr_kernarg_segment_ptr 1
		.amdhsa_user_sgpr_dispatch_id 0
		.amdhsa_user_sgpr_flat_scratch_init 0
		.amdhsa_user_sgpr_private_segment_size 0
		.amdhsa_wavefront_size32 1
		.amdhsa_uses_dynamic_stack 0
		.amdhsa_system_sgpr_private_segment_wavefront_offset 0
		.amdhsa_system_sgpr_workgroup_id_x 1
		.amdhsa_system_sgpr_workgroup_id_y 1
		.amdhsa_system_sgpr_workgroup_id_z 1
		.amdhsa_system_sgpr_workgroup_info 0
		.amdhsa_system_vgpr_workitem_id 1
		.amdhsa_next_free_vgpr 92
		.amdhsa_next_free_sgpr 44
		.amdhsa_reserve_vcc 1
		.amdhsa_reserve_flat_scratch 0
		.amdhsa_float_round_mode_32 0
		.amdhsa_float_round_mode_16_64 0
		.amdhsa_float_denorm_mode_32 3
		.amdhsa_float_denorm_mode_16_64 3
		.amdhsa_dx10_clamp 1
		.amdhsa_ieee_mode 1
		.amdhsa_fp16_overflow 0
		.amdhsa_workgroup_processor_mode 1
		.amdhsa_memory_ordered 1
		.amdhsa_forward_progress 1
		.amdhsa_shared_vgpr_count 0
		.amdhsa_exception_fp_ieee_invalid_op 0
		.amdhsa_exception_fp_denorm_src 0
		.amdhsa_exception_fp_ieee_div_zero 0
		.amdhsa_exception_fp_ieee_overflow 0
		.amdhsa_exception_fp_ieee_underflow 0
		.amdhsa_exception_fp_ieee_inexact 0
		.amdhsa_exception_int_div_zero 0
	.end_amdhsa_kernel
	.section	.text._ZN12_GLOBAL__N_127rocblas_gemm_batched_kernelI19rocblas_complex_numIfELi16ELi16ELi32ELi32ELi8ELi32ELi8ELi8ELi32ELc84ELc78EKPKS2_S5_KPS2_EEvlllT_PT11_llSA_llS8_PT12_llPT13_lli,"axG",@progbits,_ZN12_GLOBAL__N_127rocblas_gemm_batched_kernelI19rocblas_complex_numIfELi16ELi16ELi32ELi32ELi8ELi32ELi8ELi8ELi32ELc84ELc78EKPKS2_S5_KPS2_EEvlllT_PT11_llSA_llS8_PT12_llPT13_lli,comdat
.Lfunc_end233:
	.size	_ZN12_GLOBAL__N_127rocblas_gemm_batched_kernelI19rocblas_complex_numIfELi16ELi16ELi32ELi32ELi8ELi32ELi8ELi8ELi32ELc84ELc78EKPKS2_S5_KPS2_EEvlllT_PT11_llSA_llS8_PT12_llPT13_lli, .Lfunc_end233-_ZN12_GLOBAL__N_127rocblas_gemm_batched_kernelI19rocblas_complex_numIfELi16ELi16ELi32ELi32ELi8ELi32ELi8ELi8ELi32ELc84ELc78EKPKS2_S5_KPS2_EEvlllT_PT11_llSA_llS8_PT12_llPT13_lli
                                        ; -- End function
	.set _ZN12_GLOBAL__N_127rocblas_gemm_batched_kernelI19rocblas_complex_numIfELi16ELi16ELi32ELi32ELi8ELi32ELi8ELi8ELi32ELc84ELc78EKPKS2_S5_KPS2_EEvlllT_PT11_llSA_llS8_PT12_llPT13_lli.num_vgpr, 92
	.set _ZN12_GLOBAL__N_127rocblas_gemm_batched_kernelI19rocblas_complex_numIfELi16ELi16ELi32ELi32ELi8ELi32ELi8ELi8ELi32ELc84ELc78EKPKS2_S5_KPS2_EEvlllT_PT11_llSA_llS8_PT12_llPT13_lli.num_agpr, 0
	.set _ZN12_GLOBAL__N_127rocblas_gemm_batched_kernelI19rocblas_complex_numIfELi16ELi16ELi32ELi32ELi8ELi32ELi8ELi8ELi32ELc84ELc78EKPKS2_S5_KPS2_EEvlllT_PT11_llSA_llS8_PT12_llPT13_lli.numbered_sgpr, 44
	.set _ZN12_GLOBAL__N_127rocblas_gemm_batched_kernelI19rocblas_complex_numIfELi16ELi16ELi32ELi32ELi8ELi32ELi8ELi8ELi32ELc84ELc78EKPKS2_S5_KPS2_EEvlllT_PT11_llSA_llS8_PT12_llPT13_lli.num_named_barrier, 0
	.set _ZN12_GLOBAL__N_127rocblas_gemm_batched_kernelI19rocblas_complex_numIfELi16ELi16ELi32ELi32ELi8ELi32ELi8ELi8ELi32ELc84ELc78EKPKS2_S5_KPS2_EEvlllT_PT11_llSA_llS8_PT12_llPT13_lli.private_seg_size, 0
	.set _ZN12_GLOBAL__N_127rocblas_gemm_batched_kernelI19rocblas_complex_numIfELi16ELi16ELi32ELi32ELi8ELi32ELi8ELi8ELi32ELc84ELc78EKPKS2_S5_KPS2_EEvlllT_PT11_llSA_llS8_PT12_llPT13_lli.uses_vcc, 1
	.set _ZN12_GLOBAL__N_127rocblas_gemm_batched_kernelI19rocblas_complex_numIfELi16ELi16ELi32ELi32ELi8ELi32ELi8ELi8ELi32ELc84ELc78EKPKS2_S5_KPS2_EEvlllT_PT11_llSA_llS8_PT12_llPT13_lli.uses_flat_scratch, 0
	.set _ZN12_GLOBAL__N_127rocblas_gemm_batched_kernelI19rocblas_complex_numIfELi16ELi16ELi32ELi32ELi8ELi32ELi8ELi8ELi32ELc84ELc78EKPKS2_S5_KPS2_EEvlllT_PT11_llSA_llS8_PT12_llPT13_lli.has_dyn_sized_stack, 0
	.set _ZN12_GLOBAL__N_127rocblas_gemm_batched_kernelI19rocblas_complex_numIfELi16ELi16ELi32ELi32ELi8ELi32ELi8ELi8ELi32ELc84ELc78EKPKS2_S5_KPS2_EEvlllT_PT11_llSA_llS8_PT12_llPT13_lli.has_recursion, 0
	.set _ZN12_GLOBAL__N_127rocblas_gemm_batched_kernelI19rocblas_complex_numIfELi16ELi16ELi32ELi32ELi8ELi32ELi8ELi8ELi32ELc84ELc78EKPKS2_S5_KPS2_EEvlllT_PT11_llSA_llS8_PT12_llPT13_lli.has_indirect_call, 0
	.section	.AMDGPU.csdata,"",@progbits
; Kernel info:
; codeLenInByte = 2536
; TotalNumSgprs: 46
; NumVgprs: 92
; ScratchSize: 0
; MemoryBound: 0
; FloatMode: 240
; IeeeMode: 1
; LDSByteSize: 4096 bytes/workgroup (compile time only)
; SGPRBlocks: 0
; VGPRBlocks: 11
; NumSGPRsForWavesPerEU: 46
; NumVGPRsForWavesPerEU: 92
; Occupancy: 10
; WaveLimiterHint : 1
; COMPUTE_PGM_RSRC2:SCRATCH_EN: 0
; COMPUTE_PGM_RSRC2:USER_SGPR: 6
; COMPUTE_PGM_RSRC2:TRAP_HANDLER: 0
; COMPUTE_PGM_RSRC2:TGID_X_EN: 1
; COMPUTE_PGM_RSRC2:TGID_Y_EN: 1
; COMPUTE_PGM_RSRC2:TGID_Z_EN: 1
; COMPUTE_PGM_RSRC2:TIDIG_COMP_CNT: 1
	.section	.text._ZN12_GLOBAL__N_127rocblas_gemm_batched_kernelI19rocblas_complex_numIfELi16ELi16ELi32ELi32ELi8ELi32ELi8ELi8ELi32ELc78ELc84EKPKS2_S5_KPS2_EEvlllT_PT11_llSA_llS8_PT12_llPT13_lli,"axG",@progbits,_ZN12_GLOBAL__N_127rocblas_gemm_batched_kernelI19rocblas_complex_numIfELi16ELi16ELi32ELi32ELi8ELi32ELi8ELi8ELi32ELc78ELc84EKPKS2_S5_KPS2_EEvlllT_PT11_llSA_llS8_PT12_llPT13_lli,comdat
	.globl	_ZN12_GLOBAL__N_127rocblas_gemm_batched_kernelI19rocblas_complex_numIfELi16ELi16ELi32ELi32ELi8ELi32ELi8ELi8ELi32ELc78ELc84EKPKS2_S5_KPS2_EEvlllT_PT11_llSA_llS8_PT12_llPT13_lli ; -- Begin function _ZN12_GLOBAL__N_127rocblas_gemm_batched_kernelI19rocblas_complex_numIfELi16ELi16ELi32ELi32ELi8ELi32ELi8ELi8ELi32ELc78ELc84EKPKS2_S5_KPS2_EEvlllT_PT11_llSA_llS8_PT12_llPT13_lli
	.p2align	8
	.type	_ZN12_GLOBAL__N_127rocblas_gemm_batched_kernelI19rocblas_complex_numIfELi16ELi16ELi32ELi32ELi8ELi32ELi8ELi8ELi32ELc78ELc84EKPKS2_S5_KPS2_EEvlllT_PT11_llSA_llS8_PT12_llPT13_lli,@function
_ZN12_GLOBAL__N_127rocblas_gemm_batched_kernelI19rocblas_complex_numIfELi16ELi16ELi32ELi32ELi8ELi32ELi8ELi8ELi32ELc78ELc84EKPKS2_S5_KPS2_EEvlllT_PT11_llSA_llS8_PT12_llPT13_lli: ; @_ZN12_GLOBAL__N_127rocblas_gemm_batched_kernelI19rocblas_complex_numIfELi16ELi16ELi32ELi32ELi8ELi32ELi8ELi8ELi32ELc78ELc84EKPKS2_S5_KPS2_EEvlllT_PT11_llSA_llS8_PT12_llPT13_lli
; %bb.0:
	s_clause 0x1
	s_load_dwordx8 s[36:43], s[4:5], 0x58
	s_load_dwordx16 s[12:27], s[4:5], 0x10
	s_mov_b32 s9, 0
	s_clause 0x1
	s_load_dwordx4 s[28:31], s[4:5], 0x78
	s_load_dwordx2 s[2:3], s[4:5], 0x50
	s_lshl_b64 s[0:1], s[8:9], 3
	s_mov_b32 s10, s7
	v_mov_b32_e32 v12, 0
	v_mov_b32_e32 v13, 0
	;; [unrolled: 1-line block ×8, first 2 shown]
	s_waitcnt lgkmcnt(0)
	s_add_u32 s4, s36, s0
	s_addc_u32 s5, s37, s1
	s_add_u32 s8, s42, s0
	s_addc_u32 s9, s43, s1
	s_load_dwordx2 s[4:5], s[4:5], 0x0
	s_load_dwordx2 s[8:9], s[8:9], 0x0
	v_cmp_lt_i64_e64 s33, s[12:13], 1
	s_ashr_i32 s7, s6, 31
	s_ashr_i32 s11, s10, 31
	s_lshl_b64 s[6:7], s[6:7], 5
	s_lshl_b64 s[10:11], s[10:11], 5
	s_and_b32 vcc_lo, exec_lo, s33
	s_cbranch_vccnz .LBB234_3
; %bb.1:
	v_lshl_add_u32 v9, v1, 4, v0
	v_and_b32_e32 v11, 7, v0
	s_add_u32 s16, s16, s0
	s_addc_u32 s17, s17, s1
	s_add_u32 s0, s22, s0
	v_lshrrev_b32_e32 v10, 3, v9
	v_lshrrev_b32_e32 v12, 5, v9
	s_addc_u32 s1, s23, s1
	s_load_dwordx2 s[16:17], s[16:17], 0x0
	s_load_dwordx2 s[0:1], s[0:1], 0x0
	s_lshl_b64 s[20:21], s[20:21], 3
	v_add_co_u32 v2, s33, v10, s10
	v_add_co_ci_u32_e64 v3, null, 0, s11, s33
	v_mad_u64_u32 v[4:5], null, s18, v12, s[6:7]
	v_lshlrev_b32_e32 v13, 3, v11
	v_mad_u64_u32 v[7:8], null, s24, v11, v[2:3]
	v_mov_b32_e32 v6, 0
	v_lshlrev_b32_e32 v14, 3, v0
	v_lshl_or_b32 v10, v10, 6, v13
	v_mov_b32_e32 v2, v5
	v_and_b32_e32 v5, 31, v9
	v_lshl_add_u32 v17, v1, 6, 0x800
	v_mov_b32_e32 v3, v8
	v_add_nc_u32_e32 v16, 0x800, v10
	s_waitcnt lgkmcnt(0)
	s_add_u32 s16, s16, s20
	s_addc_u32 s17, s17, s21
	s_lshl_b64 s[20:21], s[26:27], 3
	v_mad_u64_u32 v[8:9], null, s19, v12, v[2:3]
	v_mad_u64_u32 v[2:3], null, s25, v11, v[3:4]
	v_add_co_u32 v3, vcc_lo, v4, v5
	v_lshlrev_b32_e32 v9, 3, v5
	v_mov_b32_e32 v11, 0
	v_add_co_ci_u32_e64 v4, null, 0, v8, vcc_lo
	v_mov_b32_e32 v8, v2
	v_lshl_or_b32 v15, v12, 8, v9
	v_mov_b32_e32 v9, 0
	v_lshlrev_b64 v[2:3], 3, v[3:4]
	v_mov_b32_e32 v10, 0
	v_lshlrev_b64 v[4:5], 3, v[7:8]
	v_mov_b32_e32 v7, 0
	v_mov_b32_e32 v8, 0
	;; [unrolled: 1-line block ×3, first 2 shown]
	v_add_co_u32 v2, vcc_lo, s16, v2
	v_add_co_ci_u32_e64 v3, null, s17, v3, vcc_lo
	s_lshl_b64 s[16:17], s[18:19], 6
	s_add_u32 s0, s0, s20
	s_addc_u32 s1, s1, s21
	v_add_co_u32 v4, vcc_lo, s0, v4
	v_add_co_ci_u32_e64 v5, null, s1, v5, vcc_lo
	v_mov_b32_e32 v12, 0
	s_lshl_b64 s[18:19], s[24:25], 6
	s_mov_b64 s[20:21], 0
.LBB234_2:                              ; =>This Inner Loop Header: Depth=1
	flat_load_dwordx2 v[18:19], v[2:3]
	s_add_u32 s20, s20, 8
	s_addc_u32 s21, s21, 0
	v_add_co_u32 v2, vcc_lo, v2, s16
	v_cmp_lt_i64_e64 s0, s[20:21], s[12:13]
	v_add_co_ci_u32_e64 v3, null, s17, v3, vcc_lo
	s_and_b32 vcc_lo, exec_lo, s0
	s_waitcnt vmcnt(0) lgkmcnt(0)
	ds_write_b64 v15, v[18:19]
	flat_load_dwordx2 v[18:19], v[4:5]
	v_add_co_u32 v4, s0, v4, s18
	v_add_co_ci_u32_e64 v5, null, s19, v5, s0
	s_waitcnt vmcnt(0) lgkmcnt(0)
	ds_write_b64 v16, v[18:19]
	s_waitcnt lgkmcnt(0)
	s_barrier
	buffer_gl0_inv
	ds_read_b128 v[18:21], v17
	ds_read2_b64 v[22:25], v14 offset1:16
	ds_read_b128 v[26:29], v17 offset:1024
	ds_read2_b64 v[30:33], v14 offset0:32 offset1:48
	ds_read_b128 v[34:37], v17 offset:16
	ds_read2_b64 v[38:41], v14 offset0:64 offset1:80
	;; [unrolled: 2-line block ×3, first 2 shown]
	ds_read2_b64 v[50:53], v14 offset0:128 offset1:144
	ds_read2_b64 v[54:57], v14 offset0:160 offset1:176
	ds_read_b128 v[58:61], v17 offset:32
	ds_read_b128 v[62:65], v17 offset:48
	ds_read2_b64 v[66:69], v14 offset0:192 offset1:208
	ds_read_b128 v[70:73], v17 offset:1056
	ds_read_b128 v[74:77], v17 offset:1072
	ds_read2_b64 v[78:81], v14 offset0:224 offset1:240
	s_waitcnt lgkmcnt(0)
	s_barrier
	buffer_gl0_inv
	v_mul_f32_e32 v82, v19, v23
	v_mul_f32_e32 v83, v18, v23
	;; [unrolled: 1-line block ×12, first 2 shown]
	v_fma_f32 v82, v18, v22, -v82
	v_fmac_f32_e32 v83, v19, v22
	v_fma_f32 v18, v18, v24, -v84
	v_fmac_f32_e32 v85, v19, v24
	;; [unrolled: 2-line block ×4, first 2 shown]
	v_mul_f32_e32 v24, v29, v31
	v_mul_f32_e32 v26, v28, v31
	;; [unrolled: 1-line block ×4, first 2 shown]
	v_fma_f32 v33, v20, v30, -v88
	v_fmac_f32_e32 v89, v21, v30
	v_fma_f32 v20, v20, v32, -v90
	v_fmac_f32_e32 v91, v21, v32
	v_mul_f32_e32 v21, v35, v39
	v_mul_f32_e32 v84, v34, v39
	v_mul_f32_e32 v86, v35, v41
	v_mul_f32_e32 v87, v34, v41
	v_fma_f32 v24, v28, v30, -v24
	v_fmac_f32_e32 v26, v29, v30
	v_fma_f32 v27, v28, v32, -v27
	v_fmac_f32_e32 v31, v29, v32
	v_mul_f32_e32 v28, v43, v39
	v_mul_f32_e32 v29, v42, v39
	v_mul_f32_e32 v30, v43, v41
	v_mul_f32_e32 v32, v42, v41
	v_add_f32_e32 v12, v12, v82
	v_add_f32_e32 v13, v13, v83
	v_add_f32_e32 v10, v10, v18
	v_add_f32_e32 v11, v11, v85
	v_add_f32_e32 v8, v8, v19
	v_add_f32_e32 v9, v9, v23
	v_add_f32_e32 v7, v7, v22
	v_add_f32_e32 v6, v6, v25
	v_mul_f32_e32 v39, v37, v47
	v_mul_f32_e32 v41, v36, v47
	v_mul_f32_e32 v88, v37, v49
	v_mul_f32_e32 v90, v36, v49
	v_fma_f32 v21, v34, v38, -v21
	v_fmac_f32_e32 v84, v35, v38
	v_fma_f32 v34, v34, v40, -v86
	v_fmac_f32_e32 v87, v35, v40
	v_fma_f32 v28, v42, v38, -v28
	v_fmac_f32_e32 v29, v43, v38
	v_fma_f32 v30, v42, v40, -v30
	v_fmac_f32_e32 v32, v43, v40
	v_mul_f32_e32 v35, v45, v47
	v_mul_f32_e32 v38, v44, v47
	v_mul_f32_e32 v40, v45, v49
	v_mul_f32_e32 v42, v44, v49
	v_add_f32_e32 v12, v12, v33
	v_add_f32_e32 v13, v13, v89
	v_add_f32_e32 v10, v10, v20
	v_add_f32_e32 v11, v11, v91
	v_add_f32_e32 v8, v8, v24
	v_add_f32_e32 v9, v9, v26
	v_add_f32_e32 v7, v7, v27
	v_add_f32_e32 v6, v6, v31
	v_fma_f32 v39, v36, v46, -v39
	v_fmac_f32_e32 v41, v37, v46
	v_fma_f32 v36, v36, v48, -v88
	v_fmac_f32_e32 v90, v37, v48
	v_mul_f32_e32 v37, v59, v51
	v_mul_f32_e32 v43, v58, v51
	v_mul_f32_e32 v47, v59, v53
	v_mul_f32_e32 v49, v58, v53
	v_fma_f32 v35, v44, v46, -v35
	v_fmac_f32_e32 v38, v45, v46
	v_fma_f32 v40, v44, v48, -v40
	v_fmac_f32_e32 v42, v45, v48
	v_mul_f32_e32 v44, v71, v51
	v_mul_f32_e32 v45, v70, v51
	v_mul_f32_e32 v46, v71, v53
	v_mul_f32_e32 v48, v70, v53
	v_add_f32_e32 v12, v12, v21
	v_add_f32_e32 v13, v13, v84
	v_add_f32_e32 v10, v10, v34
	v_add_f32_e32 v11, v11, v87
	v_add_f32_e32 v8, v8, v28
	v_add_f32_e32 v9, v9, v29
	v_add_f32_e32 v7, v7, v30
	v_add_f32_e32 v6, v6, v32
	v_mul_f32_e32 v51, v61, v55
	v_mul_f32_e32 v53, v60, v55
	v_mul_f32_e32 v86, v61, v57
	v_mul_f32_e32 v88, v60, v57
	v_fma_f32 v37, v58, v50, -v37
	v_fmac_f32_e32 v43, v59, v50
	v_fma_f32 v47, v58, v52, -v47
	v_fmac_f32_e32 v49, v59, v52
	v_fma_f32 v44, v70, v50, -v44
	v_fmac_f32_e32 v45, v71, v50
	v_fma_f32 v46, v70, v52, -v46
	v_fmac_f32_e32 v48, v71, v52
	v_mul_f32_e32 v50, v73, v55
	v_mul_f32_e32 v52, v72, v55
	v_mul_f32_e32 v55, v73, v57
	v_mul_f32_e32 v57, v72, v57
	v_add_f32_e32 v12, v12, v39
	v_add_f32_e32 v13, v13, v41
	v_add_f32_e32 v10, v10, v36
	v_add_f32_e32 v11, v11, v90
	v_add_f32_e32 v8, v8, v35
	v_add_f32_e32 v9, v9, v38
	v_add_f32_e32 v7, v7, v40
	v_add_f32_e32 v6, v6, v42
	;; [unrolled: 48-line block ×3, first 2 shown]
	v_fma_f32 v71, v64, v78, -v71
	v_fmac_f32_e32 v72, v65, v78
	v_fma_f32 v64, v64, v80, -v73
	v_fmac_f32_e32 v86, v65, v80
	;; [unrolled: 2-line block ×4, first 2 shown]
	v_add_f32_e32 v12, v12, v59
	v_add_f32_e32 v13, v13, v60
	;; [unrolled: 1-line block ×16, first 2 shown]
	s_cbranch_vccnz .LBB234_2
.LBB234_3:
	s_lshl_b64 s[0:1], s[30:31], 3
	v_add_co_u32 v0, s6, s6, v0
	s_waitcnt lgkmcnt(0)
	s_add_u32 s0, s8, s0
	s_addc_u32 s1, s9, s1
	v_add_co_u32 v4, s9, s10, v1
	s_or_b32 s8, s2, s3
	v_add_co_ci_u32_e64 v5, null, s11, 0, s9
	v_add_co_ci_u32_e64 v1, null, s7, 0, s6
	s_bitset0_b32 s8, 31
	s_mov_b32 s6, 0
	s_cmp_lg_u32 s8, 0
	s_cbranch_scc1 .LBB234_5
; %bb.4:
	v_mul_lo_u32 v14, v5, s28
	v_mul_lo_u32 v15, v4, s29
	v_mad_u64_u32 v[2:3], null, v4, s28, 0
	v_lshlrev_b64 v[17:18], 3, v[0:1]
	s_lshl_b64 s[8:9], s[28:29], 7
	v_mul_f32_e32 v19, s15, v13
	v_mul_f32_e32 v16, s14, v13
	;; [unrolled: 1-line block ×4, first 2 shown]
	v_add3_u32 v3, v3, v15, v14
	v_mul_f32_e32 v14, s15, v11
	v_fma_f32 v15, v12, s14, -v19
	v_mul_f32_e32 v24, s14, v9
	v_mul_f32_e32 v25, s15, v6
	v_lshlrev_b64 v[2:3], 3, v[2:3]
	v_fma_f32 v19, v10, s14, -v14
	v_mul_f32_e32 v14, s14, v6
	v_fmac_f32_e32 v16, s15, v12
	v_fmac_f32_e32 v20, s15, v10
	v_fma_f32 v23, v8, s14, -v23
	v_add_co_u32 v2, vcc_lo, s0, v2
	v_add_co_ci_u32_e64 v3, null, s1, v3, vcc_lo
	v_fmac_f32_e32 v14, s15, v7
	v_add_co_u32 v21, vcc_lo, v2, v17
	v_add_co_ci_u32_e64 v22, null, v3, v18, vcc_lo
	v_add_co_u32 v2, vcc_lo, v2, s8
	v_add_co_ci_u32_e64 v3, null, s9, v3, vcc_lo
	v_fmac_f32_e32 v24, s15, v8
	v_add_co_u32 v17, vcc_lo, v2, v17
	v_add_co_ci_u32_e64 v18, null, v3, v18, vcc_lo
	v_fma_f32 v25, v7, s14, -v25
	v_add_co_u32 v2, vcc_lo, 0x80, v17
	v_add_co_ci_u32_e64 v3, null, 0, v18, vcc_lo
	flat_store_dwordx2 v[21:22], v[15:16]
	flat_store_dwordx2 v[21:22], v[19:20] offset:128
	flat_store_dwordx2 v[17:18], v[23:24]
	flat_store_dword v[17:18], v25 offset:128
	s_andn2_b32 vcc_lo, exec_lo, s6
	s_cbranch_vccz .LBB234_6
	s_branch .LBB234_7
.LBB234_5:
                                        ; implicit-def: $vgpr14
                                        ; implicit-def: $vgpr2_vgpr3
.LBB234_6:
	v_mul_lo_u32 v14, v5, s38
	v_mul_lo_u32 v15, v4, s39
	v_mad_u64_u32 v[2:3], null, v4, s38, 0
	s_lshl_b64 s[6:7], s[40:41], 3
	v_lshlrev_b64 v[0:1], 3, v[0:1]
	s_add_u32 s4, s4, s6
	s_addc_u32 s5, s5, s7
	v_mul_lo_u32 v18, v5, s28
	v_mul_lo_u32 v19, v4, s29
	v_add3_u32 v3, v3, v15, v14
	v_mad_u64_u32 v[4:5], null, v4, s28, 0
	v_lshlrev_b64 v[2:3], 3, v[2:3]
	v_add3_u32 v5, v5, v19, v18
	v_mul_f32_e32 v18, s15, v13
	v_add_co_u32 v16, vcc_lo, s4, v2
	v_add_co_ci_u32_e64 v17, null, s5, v3, vcc_lo
	v_mul_f32_e32 v13, s14, v13
	v_add_co_u32 v2, vcc_lo, v16, v0
	v_add_co_ci_u32_e64 v3, null, v17, v1, vcc_lo
	v_lshlrev_b64 v[4:5], 3, v[4:5]
	v_fma_f32 v18, v12, s14, -v18
	v_fmac_f32_e32 v13, s15, v12
	flat_load_dwordx2 v[14:15], v[2:3]
	v_add_co_u32 v19, vcc_lo, s0, v4
	v_add_co_ci_u32_e64 v20, null, s1, v5, vcc_lo
	s_lshl_b64 s[0:1], s[38:39], 7
	v_add_co_u32 v4, vcc_lo, v19, v0
	v_add_co_ci_u32_e64 v5, null, v20, v1, vcc_lo
	s_waitcnt vmcnt(0) lgkmcnt(0)
	v_mul_f32_e32 v12, s3, v15
	v_mul_f32_e32 v15, s2, v15
	v_fma_f32 v12, v14, s2, -v12
	v_fmac_f32_e32 v15, s3, v14
	v_add_f32_e32 v12, v18, v12
	v_add_f32_e32 v13, v13, v15
	flat_store_dwordx2 v[4:5], v[12:13]
	flat_load_dwordx2 v[2:3], v[2:3] offset:128
	v_mul_f32_e32 v12, s15, v11
	v_mul_f32_e32 v11, s14, v11
	v_fma_f32 v12, v10, s14, -v12
	v_fmac_f32_e32 v11, s15, v10
	s_waitcnt vmcnt(0) lgkmcnt(0)
	v_mul_f32_e32 v13, s3, v3
	v_mul_f32_e32 v3, s2, v3
	v_fma_f32 v10, v2, s2, -v13
	v_add_co_u32 v13, vcc_lo, v16, s0
	v_fmac_f32_e32 v3, s3, v2
	v_add_co_ci_u32_e64 v14, null, s1, v17, vcc_lo
	v_add_f32_e32 v2, v12, v10
	v_add_co_u32 v10, vcc_lo, v13, v0
	v_add_f32_e32 v3, v11, v3
	v_add_co_ci_u32_e64 v11, null, v14, v1, vcc_lo
	s_lshl_b64 s[0:1], s[28:29], 7
	flat_store_dwordx2 v[4:5], v[2:3] offset:128
	flat_load_dwordx2 v[2:3], v[10:11]
	v_mul_f32_e32 v4, s15, v9
	v_mul_f32_e32 v5, s14, v9
	v_add_co_u32 v9, vcc_lo, v19, s0
	v_add_co_ci_u32_e64 v12, null, s1, v20, vcc_lo
	v_fma_f32 v4, v8, s14, -v4
	v_fmac_f32_e32 v5, s15, v8
	v_add_co_u32 v0, vcc_lo, v9, v0
	v_add_co_ci_u32_e64 v1, null, v12, v1, vcc_lo
	s_waitcnt vmcnt(0) lgkmcnt(0)
	v_mul_f32_e32 v8, s3, v3
	v_mul_f32_e32 v3, s2, v3
	v_fma_f32 v8, v2, s2, -v8
	v_fmac_f32_e32 v3, s3, v2
	v_add_f32_e32 v2, v4, v8
	v_add_f32_e32 v3, v5, v3
	v_mul_f32_e32 v4, s15, v6
	v_mul_f32_e32 v5, s14, v6
	flat_store_dwordx2 v[0:1], v[2:3]
	flat_load_dwordx2 v[2:3], v[10:11] offset:128
	v_fma_f32 v4, v7, s14, -v4
	v_fmac_f32_e32 v5, s15, v7
	s_waitcnt vmcnt(0) lgkmcnt(0)
	v_mul_f32_e32 v6, s3, v3
	v_mul_f32_e32 v3, s2, v3
	v_fma_f32 v6, v2, s2, -v6
	v_fmac_f32_e32 v3, s3, v2
	v_add_co_u32 v2, vcc_lo, 0x80, v0
	v_add_f32_e32 v4, v4, v6
	v_add_f32_e32 v14, v5, v3
	v_add_co_ci_u32_e64 v3, null, 0, v1, vcc_lo
	flat_store_dword v[0:1], v4 offset:128
.LBB234_7:
	flat_store_dword v[2:3], v14 offset:4
	s_endpgm
	.section	.rodata,"a",@progbits
	.p2align	6, 0x0
	.amdhsa_kernel _ZN12_GLOBAL__N_127rocblas_gemm_batched_kernelI19rocblas_complex_numIfELi16ELi16ELi32ELi32ELi8ELi32ELi8ELi8ELi32ELc78ELc84EKPKS2_S5_KPS2_EEvlllT_PT11_llSA_llS8_PT12_llPT13_lli
		.amdhsa_group_segment_fixed_size 4096
		.amdhsa_private_segment_fixed_size 0
		.amdhsa_kernarg_size 140
		.amdhsa_user_sgpr_count 6
		.amdhsa_user_sgpr_private_segment_buffer 1
		.amdhsa_user_sgpr_dispatch_ptr 0
		.amdhsa_user_sgpr_queue_ptr 0
		.amdhsa_user_sgpr_kernarg_segment_ptr 1
		.amdhsa_user_sgpr_dispatch_id 0
		.amdhsa_user_sgpr_flat_scratch_init 0
		.amdhsa_user_sgpr_private_segment_size 0
		.amdhsa_wavefront_size32 1
		.amdhsa_uses_dynamic_stack 0
		.amdhsa_system_sgpr_private_segment_wavefront_offset 0
		.amdhsa_system_sgpr_workgroup_id_x 1
		.amdhsa_system_sgpr_workgroup_id_y 1
		.amdhsa_system_sgpr_workgroup_id_z 1
		.amdhsa_system_sgpr_workgroup_info 0
		.amdhsa_system_vgpr_workitem_id 1
		.amdhsa_next_free_vgpr 92
		.amdhsa_next_free_sgpr 44
		.amdhsa_reserve_vcc 1
		.amdhsa_reserve_flat_scratch 0
		.amdhsa_float_round_mode_32 0
		.amdhsa_float_round_mode_16_64 0
		.amdhsa_float_denorm_mode_32 3
		.amdhsa_float_denorm_mode_16_64 3
		.amdhsa_dx10_clamp 1
		.amdhsa_ieee_mode 1
		.amdhsa_fp16_overflow 0
		.amdhsa_workgroup_processor_mode 1
		.amdhsa_memory_ordered 1
		.amdhsa_forward_progress 1
		.amdhsa_shared_vgpr_count 0
		.amdhsa_exception_fp_ieee_invalid_op 0
		.amdhsa_exception_fp_denorm_src 0
		.amdhsa_exception_fp_ieee_div_zero 0
		.amdhsa_exception_fp_ieee_overflow 0
		.amdhsa_exception_fp_ieee_underflow 0
		.amdhsa_exception_fp_ieee_inexact 0
		.amdhsa_exception_int_div_zero 0
	.end_amdhsa_kernel
	.section	.text._ZN12_GLOBAL__N_127rocblas_gemm_batched_kernelI19rocblas_complex_numIfELi16ELi16ELi32ELi32ELi8ELi32ELi8ELi8ELi32ELc78ELc84EKPKS2_S5_KPS2_EEvlllT_PT11_llSA_llS8_PT12_llPT13_lli,"axG",@progbits,_ZN12_GLOBAL__N_127rocblas_gemm_batched_kernelI19rocblas_complex_numIfELi16ELi16ELi32ELi32ELi8ELi32ELi8ELi8ELi32ELc78ELc84EKPKS2_S5_KPS2_EEvlllT_PT11_llSA_llS8_PT12_llPT13_lli,comdat
.Lfunc_end234:
	.size	_ZN12_GLOBAL__N_127rocblas_gemm_batched_kernelI19rocblas_complex_numIfELi16ELi16ELi32ELi32ELi8ELi32ELi8ELi8ELi32ELc78ELc84EKPKS2_S5_KPS2_EEvlllT_PT11_llSA_llS8_PT12_llPT13_lli, .Lfunc_end234-_ZN12_GLOBAL__N_127rocblas_gemm_batched_kernelI19rocblas_complex_numIfELi16ELi16ELi32ELi32ELi8ELi32ELi8ELi8ELi32ELc78ELc84EKPKS2_S5_KPS2_EEvlllT_PT11_llSA_llS8_PT12_llPT13_lli
                                        ; -- End function
	.set _ZN12_GLOBAL__N_127rocblas_gemm_batched_kernelI19rocblas_complex_numIfELi16ELi16ELi32ELi32ELi8ELi32ELi8ELi8ELi32ELc78ELc84EKPKS2_S5_KPS2_EEvlllT_PT11_llSA_llS8_PT12_llPT13_lli.num_vgpr, 92
	.set _ZN12_GLOBAL__N_127rocblas_gemm_batched_kernelI19rocblas_complex_numIfELi16ELi16ELi32ELi32ELi8ELi32ELi8ELi8ELi32ELc78ELc84EKPKS2_S5_KPS2_EEvlllT_PT11_llSA_llS8_PT12_llPT13_lli.num_agpr, 0
	.set _ZN12_GLOBAL__N_127rocblas_gemm_batched_kernelI19rocblas_complex_numIfELi16ELi16ELi32ELi32ELi8ELi32ELi8ELi8ELi32ELc78ELc84EKPKS2_S5_KPS2_EEvlllT_PT11_llSA_llS8_PT12_llPT13_lli.numbered_sgpr, 44
	.set _ZN12_GLOBAL__N_127rocblas_gemm_batched_kernelI19rocblas_complex_numIfELi16ELi16ELi32ELi32ELi8ELi32ELi8ELi8ELi32ELc78ELc84EKPKS2_S5_KPS2_EEvlllT_PT11_llSA_llS8_PT12_llPT13_lli.num_named_barrier, 0
	.set _ZN12_GLOBAL__N_127rocblas_gemm_batched_kernelI19rocblas_complex_numIfELi16ELi16ELi32ELi32ELi8ELi32ELi8ELi8ELi32ELc78ELc84EKPKS2_S5_KPS2_EEvlllT_PT11_llSA_llS8_PT12_llPT13_lli.private_seg_size, 0
	.set _ZN12_GLOBAL__N_127rocblas_gemm_batched_kernelI19rocblas_complex_numIfELi16ELi16ELi32ELi32ELi8ELi32ELi8ELi8ELi32ELc78ELc84EKPKS2_S5_KPS2_EEvlllT_PT11_llSA_llS8_PT12_llPT13_lli.uses_vcc, 1
	.set _ZN12_GLOBAL__N_127rocblas_gemm_batched_kernelI19rocblas_complex_numIfELi16ELi16ELi32ELi32ELi8ELi32ELi8ELi8ELi32ELc78ELc84EKPKS2_S5_KPS2_EEvlllT_PT11_llSA_llS8_PT12_llPT13_lli.uses_flat_scratch, 0
	.set _ZN12_GLOBAL__N_127rocblas_gemm_batched_kernelI19rocblas_complex_numIfELi16ELi16ELi32ELi32ELi8ELi32ELi8ELi8ELi32ELc78ELc84EKPKS2_S5_KPS2_EEvlllT_PT11_llSA_llS8_PT12_llPT13_lli.has_dyn_sized_stack, 0
	.set _ZN12_GLOBAL__N_127rocblas_gemm_batched_kernelI19rocblas_complex_numIfELi16ELi16ELi32ELi32ELi8ELi32ELi8ELi8ELi32ELc78ELc84EKPKS2_S5_KPS2_EEvlllT_PT11_llSA_llS8_PT12_llPT13_lli.has_recursion, 0
	.set _ZN12_GLOBAL__N_127rocblas_gemm_batched_kernelI19rocblas_complex_numIfELi16ELi16ELi32ELi32ELi8ELi32ELi8ELi8ELi32ELc78ELc84EKPKS2_S5_KPS2_EEvlllT_PT11_llSA_llS8_PT12_llPT13_lli.has_indirect_call, 0
	.section	.AMDGPU.csdata,"",@progbits
; Kernel info:
; codeLenInByte = 2472
; TotalNumSgprs: 46
; NumVgprs: 92
; ScratchSize: 0
; MemoryBound: 0
; FloatMode: 240
; IeeeMode: 1
; LDSByteSize: 4096 bytes/workgroup (compile time only)
; SGPRBlocks: 0
; VGPRBlocks: 11
; NumSGPRsForWavesPerEU: 46
; NumVGPRsForWavesPerEU: 92
; Occupancy: 10
; WaveLimiterHint : 1
; COMPUTE_PGM_RSRC2:SCRATCH_EN: 0
; COMPUTE_PGM_RSRC2:USER_SGPR: 6
; COMPUTE_PGM_RSRC2:TRAP_HANDLER: 0
; COMPUTE_PGM_RSRC2:TGID_X_EN: 1
; COMPUTE_PGM_RSRC2:TGID_Y_EN: 1
; COMPUTE_PGM_RSRC2:TGID_Z_EN: 1
; COMPUTE_PGM_RSRC2:TIDIG_COMP_CNT: 1
	.section	.text._ZN12_GLOBAL__N_127rocblas_gemm_batched_kernelI19rocblas_complex_numIfELi16ELi16ELi32ELi32ELi8ELi32ELi8ELi8ELi32ELc84ELc84EKPKS2_S5_KPS2_EEvlllT_PT11_llSA_llS8_PT12_llPT13_lli,"axG",@progbits,_ZN12_GLOBAL__N_127rocblas_gemm_batched_kernelI19rocblas_complex_numIfELi16ELi16ELi32ELi32ELi8ELi32ELi8ELi8ELi32ELc84ELc84EKPKS2_S5_KPS2_EEvlllT_PT11_llSA_llS8_PT12_llPT13_lli,comdat
	.globl	_ZN12_GLOBAL__N_127rocblas_gemm_batched_kernelI19rocblas_complex_numIfELi16ELi16ELi32ELi32ELi8ELi32ELi8ELi8ELi32ELc84ELc84EKPKS2_S5_KPS2_EEvlllT_PT11_llSA_llS8_PT12_llPT13_lli ; -- Begin function _ZN12_GLOBAL__N_127rocblas_gemm_batched_kernelI19rocblas_complex_numIfELi16ELi16ELi32ELi32ELi8ELi32ELi8ELi8ELi32ELc84ELc84EKPKS2_S5_KPS2_EEvlllT_PT11_llSA_llS8_PT12_llPT13_lli
	.p2align	8
	.type	_ZN12_GLOBAL__N_127rocblas_gemm_batched_kernelI19rocblas_complex_numIfELi16ELi16ELi32ELi32ELi8ELi32ELi8ELi8ELi32ELc84ELc84EKPKS2_S5_KPS2_EEvlllT_PT11_llSA_llS8_PT12_llPT13_lli,@function
_ZN12_GLOBAL__N_127rocblas_gemm_batched_kernelI19rocblas_complex_numIfELi16ELi16ELi32ELi32ELi8ELi32ELi8ELi8ELi32ELc84ELc84EKPKS2_S5_KPS2_EEvlllT_PT11_llSA_llS8_PT12_llPT13_lli: ; @_ZN12_GLOBAL__N_127rocblas_gemm_batched_kernelI19rocblas_complex_numIfELi16ELi16ELi32ELi32ELi8ELi32ELi8ELi8ELi32ELc84ELc84EKPKS2_S5_KPS2_EEvlllT_PT11_llSA_llS8_PT12_llPT13_lli
; %bb.0:
	s_clause 0x1
	s_load_dwordx8 s[36:43], s[4:5], 0x58
	s_load_dwordx16 s[12:27], s[4:5], 0x10
	s_mov_b32 s9, 0
	s_clause 0x1
	s_load_dwordx4 s[28:31], s[4:5], 0x78
	s_load_dwordx2 s[2:3], s[4:5], 0x50
	s_lshl_b64 s[0:1], s[8:9], 3
	s_mov_b32 s10, s7
	v_mov_b32_e32 v12, 0
	v_mov_b32_e32 v13, 0
	;; [unrolled: 1-line block ×8, first 2 shown]
	s_waitcnt lgkmcnt(0)
	s_add_u32 s4, s36, s0
	s_addc_u32 s5, s37, s1
	s_add_u32 s8, s42, s0
	s_addc_u32 s9, s43, s1
	s_load_dwordx2 s[4:5], s[4:5], 0x0
	s_load_dwordx2 s[8:9], s[8:9], 0x0
	v_cmp_lt_i64_e64 s33, s[12:13], 1
	s_ashr_i32 s7, s6, 31
	s_ashr_i32 s11, s10, 31
	s_lshl_b64 s[6:7], s[6:7], 5
	s_lshl_b64 s[10:11], s[10:11], 5
	s_and_b32 vcc_lo, exec_lo, s33
	s_cbranch_vccnz .LBB235_3
; %bb.1:
	v_lshl_add_u32 v7, v1, 4, v0
	v_and_b32_e32 v8, 7, v0
	s_add_u32 s16, s16, s0
	s_addc_u32 s17, s17, s1
	s_add_u32 s0, s22, s0
	v_lshrrev_b32_e32 v9, 3, v7
	v_and_b32_e32 v10, 31, v7
	s_addc_u32 s1, s23, s1
	v_lshlrev_b32_e32 v13, 3, v8
	s_load_dwordx2 s[16:17], s[16:17], 0x0
	s_load_dwordx2 s[0:1], s[0:1], 0x0
	v_add_co_u32 v2, s33, v9, s10
	v_add_co_ci_u32_e64 v3, null, 0, s11, s33
	v_add_co_u32 v4, s33, s6, v10
	v_add_co_ci_u32_e64 v5, null, s7, 0, s33
	v_mad_u64_u32 v[2:3], null, s24, v8, v[2:3]
	v_mul_lo_u32 v11, s19, v4
	v_mul_lo_u32 v12, s18, v5
	v_mad_u64_u32 v[4:5], null, s18, v4, 0
	v_lshrrev_b32_e32 v17, 5, v7
	s_lshl_b64 s[18:19], s[20:21], 3
	v_lshlrev_b32_e32 v10, 3, v10
	v_mov_b32_e32 v6, 0
	v_lshlrev_b32_e32 v16, 3, v0
	v_add3_u32 v5, v5, v12, v11
	v_mad_u64_u32 v[7:8], null, s25, v8, v[3:4]
	v_lshl_or_b32 v3, v9, 6, v13
	v_lshl_or_b32 v14, v17, 8, v10
	v_lshlrev_b64 v[4:5], 3, v[4:5]
	v_mov_b32_e32 v9, 0
	v_mov_b32_e32 v11, 0
	v_add_nc_u32_e32 v15, 0x800, v3
	v_mov_b32_e32 v3, v7
	v_lshlrev_b32_e32 v7, 3, v17
	v_add_co_u32 v4, vcc_lo, v4, s18
	v_add_co_ci_u32_e64 v5, null, s19, v5, vcc_lo
	s_lshl_b64 s[18:19], s[26:27], 3
	v_add_co_u32 v7, vcc_lo, v4, v7
	v_add_co_ci_u32_e64 v8, null, 0, v5, vcc_lo
	v_lshlrev_b64 v[4:5], 3, v[2:3]
	s_waitcnt lgkmcnt(0)
	v_add_co_u32 v2, vcc_lo, s16, v7
	s_add_u32 s0, s0, s18
	v_add_co_ci_u32_e64 v3, null, s17, v8, vcc_lo
	s_addc_u32 s1, s1, s19
	v_add_co_u32 v4, vcc_lo, s0, v4
	v_lshl_add_u32 v17, v1, 6, 0x800
	v_add_co_ci_u32_e64 v5, null, s1, v5, vcc_lo
	v_mov_b32_e32 v7, 0
	v_mov_b32_e32 v8, 0
	;; [unrolled: 1-line block ×5, first 2 shown]
	s_lshl_b64 s[16:17], s[24:25], 6
	s_mov_b64 s[18:19], 0
.LBB235_2:                              ; =>This Inner Loop Header: Depth=1
	flat_load_dwordx2 v[18:19], v[2:3]
	s_add_u32 s18, s18, 8
	s_addc_u32 s19, s19, 0
	v_add_co_u32 v2, vcc_lo, v2, 64
	v_cmp_lt_i64_e64 s0, s[18:19], s[12:13]
	v_add_co_ci_u32_e64 v3, null, 0, v3, vcc_lo
	s_and_b32 vcc_lo, exec_lo, s0
	s_waitcnt vmcnt(0) lgkmcnt(0)
	ds_write_b64 v14, v[18:19]
	flat_load_dwordx2 v[18:19], v[4:5]
	v_add_co_u32 v4, s0, v4, s16
	v_add_co_ci_u32_e64 v5, null, s17, v5, s0
	s_waitcnt vmcnt(0) lgkmcnt(0)
	ds_write_b64 v15, v[18:19]
	s_waitcnt lgkmcnt(0)
	s_barrier
	buffer_gl0_inv
	ds_read_b128 v[18:21], v17
	ds_read2_b64 v[22:25], v16 offset1:16
	ds_read_b128 v[26:29], v17 offset:1024
	ds_read2_b64 v[30:33], v16 offset0:32 offset1:48
	ds_read_b128 v[34:37], v17 offset:16
	ds_read2_b64 v[38:41], v16 offset0:64 offset1:80
	;; [unrolled: 2-line block ×3, first 2 shown]
	ds_read2_b64 v[50:53], v16 offset0:128 offset1:144
	ds_read2_b64 v[54:57], v16 offset0:160 offset1:176
	ds_read_b128 v[58:61], v17 offset:32
	ds_read_b128 v[62:65], v17 offset:48
	ds_read2_b64 v[66:69], v16 offset0:192 offset1:208
	ds_read_b128 v[70:73], v17 offset:1056
	ds_read_b128 v[74:77], v17 offset:1072
	ds_read2_b64 v[78:81], v16 offset0:224 offset1:240
	s_waitcnt lgkmcnt(0)
	s_barrier
	buffer_gl0_inv
	v_mul_f32_e32 v82, v19, v23
	v_mul_f32_e32 v83, v18, v23
	;; [unrolled: 1-line block ×12, first 2 shown]
	v_fma_f32 v82, v18, v22, -v82
	v_fmac_f32_e32 v83, v19, v22
	v_fma_f32 v18, v18, v24, -v84
	v_fmac_f32_e32 v85, v19, v24
	;; [unrolled: 2-line block ×4, first 2 shown]
	v_mul_f32_e32 v24, v29, v31
	v_mul_f32_e32 v26, v28, v31
	v_mul_f32_e32 v27, v29, v33
	v_mul_f32_e32 v31, v28, v33
	v_fma_f32 v33, v20, v30, -v88
	v_fmac_f32_e32 v89, v21, v30
	v_fma_f32 v20, v20, v32, -v90
	v_fmac_f32_e32 v91, v21, v32
	v_mul_f32_e32 v21, v35, v39
	v_mul_f32_e32 v84, v34, v39
	v_mul_f32_e32 v86, v35, v41
	v_mul_f32_e32 v87, v34, v41
	v_fma_f32 v24, v28, v30, -v24
	v_fmac_f32_e32 v26, v29, v30
	v_fma_f32 v27, v28, v32, -v27
	v_fmac_f32_e32 v31, v29, v32
	v_mul_f32_e32 v28, v43, v39
	v_mul_f32_e32 v29, v42, v39
	v_mul_f32_e32 v30, v43, v41
	v_mul_f32_e32 v32, v42, v41
	v_add_f32_e32 v12, v12, v82
	v_add_f32_e32 v13, v13, v83
	v_add_f32_e32 v10, v10, v18
	v_add_f32_e32 v11, v11, v85
	v_add_f32_e32 v8, v8, v19
	v_add_f32_e32 v9, v9, v23
	v_add_f32_e32 v7, v7, v22
	v_add_f32_e32 v6, v6, v25
	v_mul_f32_e32 v39, v37, v47
	v_mul_f32_e32 v41, v36, v47
	v_mul_f32_e32 v88, v37, v49
	v_mul_f32_e32 v90, v36, v49
	v_fma_f32 v21, v34, v38, -v21
	v_fmac_f32_e32 v84, v35, v38
	v_fma_f32 v34, v34, v40, -v86
	v_fmac_f32_e32 v87, v35, v40
	v_fma_f32 v28, v42, v38, -v28
	v_fmac_f32_e32 v29, v43, v38
	v_fma_f32 v30, v42, v40, -v30
	v_fmac_f32_e32 v32, v43, v40
	v_mul_f32_e32 v35, v45, v47
	v_mul_f32_e32 v38, v44, v47
	v_mul_f32_e32 v40, v45, v49
	v_mul_f32_e32 v42, v44, v49
	v_add_f32_e32 v12, v12, v33
	v_add_f32_e32 v13, v13, v89
	v_add_f32_e32 v10, v10, v20
	v_add_f32_e32 v11, v11, v91
	v_add_f32_e32 v8, v8, v24
	v_add_f32_e32 v9, v9, v26
	v_add_f32_e32 v7, v7, v27
	v_add_f32_e32 v6, v6, v31
	v_fma_f32 v39, v36, v46, -v39
	v_fmac_f32_e32 v41, v37, v46
	v_fma_f32 v36, v36, v48, -v88
	v_fmac_f32_e32 v90, v37, v48
	v_mul_f32_e32 v37, v59, v51
	v_mul_f32_e32 v43, v58, v51
	v_mul_f32_e32 v47, v59, v53
	v_mul_f32_e32 v49, v58, v53
	v_fma_f32 v35, v44, v46, -v35
	v_fmac_f32_e32 v38, v45, v46
	v_fma_f32 v40, v44, v48, -v40
	v_fmac_f32_e32 v42, v45, v48
	v_mul_f32_e32 v44, v71, v51
	v_mul_f32_e32 v45, v70, v51
	v_mul_f32_e32 v46, v71, v53
	v_mul_f32_e32 v48, v70, v53
	v_add_f32_e32 v12, v12, v21
	v_add_f32_e32 v13, v13, v84
	v_add_f32_e32 v10, v10, v34
	v_add_f32_e32 v11, v11, v87
	v_add_f32_e32 v8, v8, v28
	v_add_f32_e32 v9, v9, v29
	v_add_f32_e32 v7, v7, v30
	v_add_f32_e32 v6, v6, v32
	v_mul_f32_e32 v51, v61, v55
	v_mul_f32_e32 v53, v60, v55
	v_mul_f32_e32 v86, v61, v57
	v_mul_f32_e32 v88, v60, v57
	v_fma_f32 v37, v58, v50, -v37
	v_fmac_f32_e32 v43, v59, v50
	v_fma_f32 v47, v58, v52, -v47
	v_fmac_f32_e32 v49, v59, v52
	v_fma_f32 v44, v70, v50, -v44
	v_fmac_f32_e32 v45, v71, v50
	v_fma_f32 v46, v70, v52, -v46
	v_fmac_f32_e32 v48, v71, v52
	v_mul_f32_e32 v50, v73, v55
	v_mul_f32_e32 v52, v72, v55
	v_mul_f32_e32 v55, v73, v57
	v_mul_f32_e32 v57, v72, v57
	v_add_f32_e32 v12, v12, v39
	v_add_f32_e32 v13, v13, v41
	v_add_f32_e32 v10, v10, v36
	v_add_f32_e32 v11, v11, v90
	v_add_f32_e32 v8, v8, v35
	v_add_f32_e32 v9, v9, v38
	v_add_f32_e32 v7, v7, v40
	v_add_f32_e32 v6, v6, v42
	;; [unrolled: 48-line block ×3, first 2 shown]
	v_fma_f32 v71, v64, v78, -v71
	v_fmac_f32_e32 v72, v65, v78
	v_fma_f32 v64, v64, v80, -v73
	v_fmac_f32_e32 v86, v65, v80
	;; [unrolled: 2-line block ×4, first 2 shown]
	v_add_f32_e32 v12, v12, v59
	v_add_f32_e32 v13, v13, v60
	;; [unrolled: 1-line block ×16, first 2 shown]
	s_cbranch_vccnz .LBB235_2
.LBB235_3:
	s_lshl_b64 s[0:1], s[30:31], 3
	v_add_co_u32 v0, s6, s6, v0
	s_waitcnt lgkmcnt(0)
	s_add_u32 s0, s8, s0
	s_addc_u32 s1, s9, s1
	v_add_co_u32 v4, s9, s10, v1
	s_or_b32 s8, s2, s3
	v_add_co_ci_u32_e64 v5, null, s11, 0, s9
	v_add_co_ci_u32_e64 v1, null, s7, 0, s6
	s_bitset0_b32 s8, 31
	s_mov_b32 s6, 0
	s_cmp_lg_u32 s8, 0
	s_cbranch_scc1 .LBB235_5
; %bb.4:
	v_mul_lo_u32 v14, v5, s28
	v_mul_lo_u32 v15, v4, s29
	v_mad_u64_u32 v[2:3], null, v4, s28, 0
	v_lshlrev_b64 v[17:18], 3, v[0:1]
	s_lshl_b64 s[8:9], s[28:29], 7
	v_mul_f32_e32 v19, s15, v13
	v_mul_f32_e32 v16, s14, v13
	;; [unrolled: 1-line block ×4, first 2 shown]
	v_add3_u32 v3, v3, v15, v14
	v_mul_f32_e32 v14, s15, v11
	v_fma_f32 v15, v12, s14, -v19
	v_mul_f32_e32 v24, s14, v9
	v_mul_f32_e32 v25, s15, v6
	v_lshlrev_b64 v[2:3], 3, v[2:3]
	v_fma_f32 v19, v10, s14, -v14
	v_mul_f32_e32 v14, s14, v6
	v_fmac_f32_e32 v16, s15, v12
	v_fmac_f32_e32 v20, s15, v10
	v_fma_f32 v23, v8, s14, -v23
	v_add_co_u32 v2, vcc_lo, s0, v2
	v_add_co_ci_u32_e64 v3, null, s1, v3, vcc_lo
	v_fmac_f32_e32 v14, s15, v7
	v_add_co_u32 v21, vcc_lo, v2, v17
	v_add_co_ci_u32_e64 v22, null, v3, v18, vcc_lo
	v_add_co_u32 v2, vcc_lo, v2, s8
	v_add_co_ci_u32_e64 v3, null, s9, v3, vcc_lo
	v_fmac_f32_e32 v24, s15, v8
	v_add_co_u32 v17, vcc_lo, v2, v17
	v_add_co_ci_u32_e64 v18, null, v3, v18, vcc_lo
	v_fma_f32 v25, v7, s14, -v25
	v_add_co_u32 v2, vcc_lo, 0x80, v17
	v_add_co_ci_u32_e64 v3, null, 0, v18, vcc_lo
	flat_store_dwordx2 v[21:22], v[15:16]
	flat_store_dwordx2 v[21:22], v[19:20] offset:128
	flat_store_dwordx2 v[17:18], v[23:24]
	flat_store_dword v[17:18], v25 offset:128
	s_andn2_b32 vcc_lo, exec_lo, s6
	s_cbranch_vccz .LBB235_6
	s_branch .LBB235_7
.LBB235_5:
                                        ; implicit-def: $vgpr14
                                        ; implicit-def: $vgpr2_vgpr3
.LBB235_6:
	v_mul_lo_u32 v14, v5, s38
	v_mul_lo_u32 v15, v4, s39
	v_mad_u64_u32 v[2:3], null, v4, s38, 0
	s_lshl_b64 s[6:7], s[40:41], 3
	v_lshlrev_b64 v[0:1], 3, v[0:1]
	s_add_u32 s4, s4, s6
	s_addc_u32 s5, s5, s7
	v_mul_lo_u32 v18, v5, s28
	v_mul_lo_u32 v19, v4, s29
	v_add3_u32 v3, v3, v15, v14
	v_mad_u64_u32 v[4:5], null, v4, s28, 0
	v_lshlrev_b64 v[2:3], 3, v[2:3]
	v_add3_u32 v5, v5, v19, v18
	v_mul_f32_e32 v18, s15, v13
	v_add_co_u32 v16, vcc_lo, s4, v2
	v_add_co_ci_u32_e64 v17, null, s5, v3, vcc_lo
	v_mul_f32_e32 v13, s14, v13
	v_add_co_u32 v2, vcc_lo, v16, v0
	v_add_co_ci_u32_e64 v3, null, v17, v1, vcc_lo
	v_lshlrev_b64 v[4:5], 3, v[4:5]
	v_fma_f32 v18, v12, s14, -v18
	v_fmac_f32_e32 v13, s15, v12
	flat_load_dwordx2 v[14:15], v[2:3]
	v_add_co_u32 v19, vcc_lo, s0, v4
	v_add_co_ci_u32_e64 v20, null, s1, v5, vcc_lo
	s_lshl_b64 s[0:1], s[38:39], 7
	v_add_co_u32 v4, vcc_lo, v19, v0
	v_add_co_ci_u32_e64 v5, null, v20, v1, vcc_lo
	s_waitcnt vmcnt(0) lgkmcnt(0)
	v_mul_f32_e32 v12, s3, v15
	v_mul_f32_e32 v15, s2, v15
	v_fma_f32 v12, v14, s2, -v12
	v_fmac_f32_e32 v15, s3, v14
	v_add_f32_e32 v12, v18, v12
	v_add_f32_e32 v13, v13, v15
	flat_store_dwordx2 v[4:5], v[12:13]
	flat_load_dwordx2 v[2:3], v[2:3] offset:128
	v_mul_f32_e32 v12, s15, v11
	v_mul_f32_e32 v11, s14, v11
	v_fma_f32 v12, v10, s14, -v12
	v_fmac_f32_e32 v11, s15, v10
	s_waitcnt vmcnt(0) lgkmcnt(0)
	v_mul_f32_e32 v13, s3, v3
	v_mul_f32_e32 v3, s2, v3
	v_fma_f32 v10, v2, s2, -v13
	v_add_co_u32 v13, vcc_lo, v16, s0
	v_fmac_f32_e32 v3, s3, v2
	v_add_co_ci_u32_e64 v14, null, s1, v17, vcc_lo
	v_add_f32_e32 v2, v12, v10
	v_add_co_u32 v10, vcc_lo, v13, v0
	v_add_f32_e32 v3, v11, v3
	v_add_co_ci_u32_e64 v11, null, v14, v1, vcc_lo
	s_lshl_b64 s[0:1], s[28:29], 7
	flat_store_dwordx2 v[4:5], v[2:3] offset:128
	flat_load_dwordx2 v[2:3], v[10:11]
	v_mul_f32_e32 v4, s15, v9
	v_mul_f32_e32 v5, s14, v9
	v_add_co_u32 v9, vcc_lo, v19, s0
	v_add_co_ci_u32_e64 v12, null, s1, v20, vcc_lo
	v_fma_f32 v4, v8, s14, -v4
	v_fmac_f32_e32 v5, s15, v8
	v_add_co_u32 v0, vcc_lo, v9, v0
	v_add_co_ci_u32_e64 v1, null, v12, v1, vcc_lo
	s_waitcnt vmcnt(0) lgkmcnt(0)
	v_mul_f32_e32 v8, s3, v3
	v_mul_f32_e32 v3, s2, v3
	v_fma_f32 v8, v2, s2, -v8
	v_fmac_f32_e32 v3, s3, v2
	v_add_f32_e32 v2, v4, v8
	v_add_f32_e32 v3, v5, v3
	v_mul_f32_e32 v4, s15, v6
	v_mul_f32_e32 v5, s14, v6
	flat_store_dwordx2 v[0:1], v[2:3]
	flat_load_dwordx2 v[2:3], v[10:11] offset:128
	v_fma_f32 v4, v7, s14, -v4
	v_fmac_f32_e32 v5, s15, v7
	s_waitcnt vmcnt(0) lgkmcnt(0)
	v_mul_f32_e32 v6, s3, v3
	v_mul_f32_e32 v3, s2, v3
	v_fma_f32 v6, v2, s2, -v6
	v_fmac_f32_e32 v3, s3, v2
	v_add_co_u32 v2, vcc_lo, 0x80, v0
	v_add_f32_e32 v4, v4, v6
	v_add_f32_e32 v14, v5, v3
	v_add_co_ci_u32_e64 v3, null, 0, v1, vcc_lo
	flat_store_dword v[0:1], v4 offset:128
.LBB235_7:
	flat_store_dword v[2:3], v14 offset:4
	s_endpgm
	.section	.rodata,"a",@progbits
	.p2align	6, 0x0
	.amdhsa_kernel _ZN12_GLOBAL__N_127rocblas_gemm_batched_kernelI19rocblas_complex_numIfELi16ELi16ELi32ELi32ELi8ELi32ELi8ELi8ELi32ELc84ELc84EKPKS2_S5_KPS2_EEvlllT_PT11_llSA_llS8_PT12_llPT13_lli
		.amdhsa_group_segment_fixed_size 4096
		.amdhsa_private_segment_fixed_size 0
		.amdhsa_kernarg_size 140
		.amdhsa_user_sgpr_count 6
		.amdhsa_user_sgpr_private_segment_buffer 1
		.amdhsa_user_sgpr_dispatch_ptr 0
		.amdhsa_user_sgpr_queue_ptr 0
		.amdhsa_user_sgpr_kernarg_segment_ptr 1
		.amdhsa_user_sgpr_dispatch_id 0
		.amdhsa_user_sgpr_flat_scratch_init 0
		.amdhsa_user_sgpr_private_segment_size 0
		.amdhsa_wavefront_size32 1
		.amdhsa_uses_dynamic_stack 0
		.amdhsa_system_sgpr_private_segment_wavefront_offset 0
		.amdhsa_system_sgpr_workgroup_id_x 1
		.amdhsa_system_sgpr_workgroup_id_y 1
		.amdhsa_system_sgpr_workgroup_id_z 1
		.amdhsa_system_sgpr_workgroup_info 0
		.amdhsa_system_vgpr_workitem_id 1
		.amdhsa_next_free_vgpr 92
		.amdhsa_next_free_sgpr 44
		.amdhsa_reserve_vcc 1
		.amdhsa_reserve_flat_scratch 0
		.amdhsa_float_round_mode_32 0
		.amdhsa_float_round_mode_16_64 0
		.amdhsa_float_denorm_mode_32 3
		.amdhsa_float_denorm_mode_16_64 3
		.amdhsa_dx10_clamp 1
		.amdhsa_ieee_mode 1
		.amdhsa_fp16_overflow 0
		.amdhsa_workgroup_processor_mode 1
		.amdhsa_memory_ordered 1
		.amdhsa_forward_progress 1
		.amdhsa_shared_vgpr_count 0
		.amdhsa_exception_fp_ieee_invalid_op 0
		.amdhsa_exception_fp_denorm_src 0
		.amdhsa_exception_fp_ieee_div_zero 0
		.amdhsa_exception_fp_ieee_overflow 0
		.amdhsa_exception_fp_ieee_underflow 0
		.amdhsa_exception_fp_ieee_inexact 0
		.amdhsa_exception_int_div_zero 0
	.end_amdhsa_kernel
	.section	.text._ZN12_GLOBAL__N_127rocblas_gemm_batched_kernelI19rocblas_complex_numIfELi16ELi16ELi32ELi32ELi8ELi32ELi8ELi8ELi32ELc84ELc84EKPKS2_S5_KPS2_EEvlllT_PT11_llSA_llS8_PT12_llPT13_lli,"axG",@progbits,_ZN12_GLOBAL__N_127rocblas_gemm_batched_kernelI19rocblas_complex_numIfELi16ELi16ELi32ELi32ELi8ELi32ELi8ELi8ELi32ELc84ELc84EKPKS2_S5_KPS2_EEvlllT_PT11_llSA_llS8_PT12_llPT13_lli,comdat
.Lfunc_end235:
	.size	_ZN12_GLOBAL__N_127rocblas_gemm_batched_kernelI19rocblas_complex_numIfELi16ELi16ELi32ELi32ELi8ELi32ELi8ELi8ELi32ELc84ELc84EKPKS2_S5_KPS2_EEvlllT_PT11_llSA_llS8_PT12_llPT13_lli, .Lfunc_end235-_ZN12_GLOBAL__N_127rocblas_gemm_batched_kernelI19rocblas_complex_numIfELi16ELi16ELi32ELi32ELi8ELi32ELi8ELi8ELi32ELc84ELc84EKPKS2_S5_KPS2_EEvlllT_PT11_llSA_llS8_PT12_llPT13_lli
                                        ; -- End function
	.set _ZN12_GLOBAL__N_127rocblas_gemm_batched_kernelI19rocblas_complex_numIfELi16ELi16ELi32ELi32ELi8ELi32ELi8ELi8ELi32ELc84ELc84EKPKS2_S5_KPS2_EEvlllT_PT11_llSA_llS8_PT12_llPT13_lli.num_vgpr, 92
	.set _ZN12_GLOBAL__N_127rocblas_gemm_batched_kernelI19rocblas_complex_numIfELi16ELi16ELi32ELi32ELi8ELi32ELi8ELi8ELi32ELc84ELc84EKPKS2_S5_KPS2_EEvlllT_PT11_llSA_llS8_PT12_llPT13_lli.num_agpr, 0
	.set _ZN12_GLOBAL__N_127rocblas_gemm_batched_kernelI19rocblas_complex_numIfELi16ELi16ELi32ELi32ELi8ELi32ELi8ELi8ELi32ELc84ELc84EKPKS2_S5_KPS2_EEvlllT_PT11_llSA_llS8_PT12_llPT13_lli.numbered_sgpr, 44
	.set _ZN12_GLOBAL__N_127rocblas_gemm_batched_kernelI19rocblas_complex_numIfELi16ELi16ELi32ELi32ELi8ELi32ELi8ELi8ELi32ELc84ELc84EKPKS2_S5_KPS2_EEvlllT_PT11_llSA_llS8_PT12_llPT13_lli.num_named_barrier, 0
	.set _ZN12_GLOBAL__N_127rocblas_gemm_batched_kernelI19rocblas_complex_numIfELi16ELi16ELi32ELi32ELi8ELi32ELi8ELi8ELi32ELc84ELc84EKPKS2_S5_KPS2_EEvlllT_PT11_llSA_llS8_PT12_llPT13_lli.private_seg_size, 0
	.set _ZN12_GLOBAL__N_127rocblas_gemm_batched_kernelI19rocblas_complex_numIfELi16ELi16ELi32ELi32ELi8ELi32ELi8ELi8ELi32ELc84ELc84EKPKS2_S5_KPS2_EEvlllT_PT11_llSA_llS8_PT12_llPT13_lli.uses_vcc, 1
	.set _ZN12_GLOBAL__N_127rocblas_gemm_batched_kernelI19rocblas_complex_numIfELi16ELi16ELi32ELi32ELi8ELi32ELi8ELi8ELi32ELc84ELc84EKPKS2_S5_KPS2_EEvlllT_PT11_llSA_llS8_PT12_llPT13_lli.uses_flat_scratch, 0
	.set _ZN12_GLOBAL__N_127rocblas_gemm_batched_kernelI19rocblas_complex_numIfELi16ELi16ELi32ELi32ELi8ELi32ELi8ELi8ELi32ELc84ELc84EKPKS2_S5_KPS2_EEvlllT_PT11_llSA_llS8_PT12_llPT13_lli.has_dyn_sized_stack, 0
	.set _ZN12_GLOBAL__N_127rocblas_gemm_batched_kernelI19rocblas_complex_numIfELi16ELi16ELi32ELi32ELi8ELi32ELi8ELi8ELi32ELc84ELc84EKPKS2_S5_KPS2_EEvlllT_PT11_llSA_llS8_PT12_llPT13_lli.has_recursion, 0
	.set _ZN12_GLOBAL__N_127rocblas_gemm_batched_kernelI19rocblas_complex_numIfELi16ELi16ELi32ELi32ELi8ELi32ELi8ELi8ELi32ELc84ELc84EKPKS2_S5_KPS2_EEvlllT_PT11_llSA_llS8_PT12_llPT13_lli.has_indirect_call, 0
	.section	.AMDGPU.csdata,"",@progbits
; Kernel info:
; codeLenInByte = 2504
; TotalNumSgprs: 46
; NumVgprs: 92
; ScratchSize: 0
; MemoryBound: 0
; FloatMode: 240
; IeeeMode: 1
; LDSByteSize: 4096 bytes/workgroup (compile time only)
; SGPRBlocks: 0
; VGPRBlocks: 11
; NumSGPRsForWavesPerEU: 46
; NumVGPRsForWavesPerEU: 92
; Occupancy: 10
; WaveLimiterHint : 1
; COMPUTE_PGM_RSRC2:SCRATCH_EN: 0
; COMPUTE_PGM_RSRC2:USER_SGPR: 6
; COMPUTE_PGM_RSRC2:TRAP_HANDLER: 0
; COMPUTE_PGM_RSRC2:TGID_X_EN: 1
; COMPUTE_PGM_RSRC2:TGID_Y_EN: 1
; COMPUTE_PGM_RSRC2:TGID_Z_EN: 1
; COMPUTE_PGM_RSRC2:TIDIG_COMP_CNT: 1
	.section	.text._ZN12_GLOBAL__N_127rocblas_gemm_batched_kernelI19rocblas_complex_numIfELi16ELi16ELi32ELi32ELi8ELi32ELi8ELi8ELi32ELc67ELc67EKPKS2_S5_KPS2_EEvlllT_PT11_llSA_llS8_PT12_llPT13_lli,"axG",@progbits,_ZN12_GLOBAL__N_127rocblas_gemm_batched_kernelI19rocblas_complex_numIfELi16ELi16ELi32ELi32ELi8ELi32ELi8ELi8ELi32ELc67ELc67EKPKS2_S5_KPS2_EEvlllT_PT11_llSA_llS8_PT12_llPT13_lli,comdat
	.globl	_ZN12_GLOBAL__N_127rocblas_gemm_batched_kernelI19rocblas_complex_numIfELi16ELi16ELi32ELi32ELi8ELi32ELi8ELi8ELi32ELc67ELc67EKPKS2_S5_KPS2_EEvlllT_PT11_llSA_llS8_PT12_llPT13_lli ; -- Begin function _ZN12_GLOBAL__N_127rocblas_gemm_batched_kernelI19rocblas_complex_numIfELi16ELi16ELi32ELi32ELi8ELi32ELi8ELi8ELi32ELc67ELc67EKPKS2_S5_KPS2_EEvlllT_PT11_llSA_llS8_PT12_llPT13_lli
	.p2align	8
	.type	_ZN12_GLOBAL__N_127rocblas_gemm_batched_kernelI19rocblas_complex_numIfELi16ELi16ELi32ELi32ELi8ELi32ELi8ELi8ELi32ELc67ELc67EKPKS2_S5_KPS2_EEvlllT_PT11_llSA_llS8_PT12_llPT13_lli,@function
_ZN12_GLOBAL__N_127rocblas_gemm_batched_kernelI19rocblas_complex_numIfELi16ELi16ELi32ELi32ELi8ELi32ELi8ELi8ELi32ELc67ELc67EKPKS2_S5_KPS2_EEvlllT_PT11_llSA_llS8_PT12_llPT13_lli: ; @_ZN12_GLOBAL__N_127rocblas_gemm_batched_kernelI19rocblas_complex_numIfELi16ELi16ELi32ELi32ELi8ELi32ELi8ELi8ELi32ELc67ELc67EKPKS2_S5_KPS2_EEvlllT_PT11_llSA_llS8_PT12_llPT13_lli
; %bb.0:
	s_clause 0x1
	s_load_dwordx8 s[36:43], s[4:5], 0x58
	s_load_dwordx16 s[12:27], s[4:5], 0x10
	s_mov_b32 s9, 0
	s_clause 0x1
	s_load_dwordx4 s[28:31], s[4:5], 0x78
	s_load_dwordx2 s[2:3], s[4:5], 0x50
	s_lshl_b64 s[0:1], s[8:9], 3
	s_mov_b32 s10, s7
	v_mov_b32_e32 v12, 0
	v_mov_b32_e32 v13, 0
	;; [unrolled: 1-line block ×8, first 2 shown]
	s_waitcnt lgkmcnt(0)
	s_add_u32 s4, s36, s0
	s_addc_u32 s5, s37, s1
	s_add_u32 s8, s42, s0
	s_addc_u32 s9, s43, s1
	s_load_dwordx2 s[4:5], s[4:5], 0x0
	s_load_dwordx2 s[8:9], s[8:9], 0x0
	v_cmp_lt_i64_e64 s33, s[12:13], 1
	s_ashr_i32 s7, s6, 31
	s_ashr_i32 s11, s10, 31
	s_lshl_b64 s[6:7], s[6:7], 5
	s_lshl_b64 s[10:11], s[10:11], 5
	s_and_b32 vcc_lo, exec_lo, s33
	s_cbranch_vccnz .LBB236_3
; %bb.1:
	v_lshl_add_u32 v7, v1, 4, v0
	v_and_b32_e32 v8, 7, v0
	s_add_u32 s16, s16, s0
	s_addc_u32 s17, s17, s1
	s_add_u32 s0, s22, s0
	v_lshrrev_b32_e32 v9, 3, v7
	v_and_b32_e32 v10, 31, v7
	s_addc_u32 s1, s23, s1
	v_lshlrev_b32_e32 v13, 3, v8
	s_load_dwordx2 s[16:17], s[16:17], 0x0
	s_load_dwordx2 s[0:1], s[0:1], 0x0
	v_add_co_u32 v2, s33, v9, s10
	v_add_co_ci_u32_e64 v3, null, 0, s11, s33
	v_add_co_u32 v4, s33, s6, v10
	v_add_co_ci_u32_e64 v5, null, s7, 0, s33
	v_mad_u64_u32 v[2:3], null, s24, v8, v[2:3]
	v_mul_lo_u32 v11, s19, v4
	v_mul_lo_u32 v12, s18, v5
	v_mad_u64_u32 v[4:5], null, s18, v4, 0
	v_lshrrev_b32_e32 v17, 5, v7
	s_lshl_b64 s[18:19], s[20:21], 3
	v_lshlrev_b32_e32 v10, 3, v10
	v_mov_b32_e32 v6, 0
	v_lshlrev_b32_e32 v16, 3, v0
	v_add3_u32 v5, v5, v12, v11
	v_mad_u64_u32 v[7:8], null, s25, v8, v[3:4]
	v_lshl_or_b32 v3, v9, 6, v13
	v_lshl_or_b32 v14, v17, 8, v10
	v_lshlrev_b64 v[4:5], 3, v[4:5]
	v_mov_b32_e32 v9, 0
	v_mov_b32_e32 v11, 0
	v_add_nc_u32_e32 v15, 0x800, v3
	v_mov_b32_e32 v3, v7
	v_lshlrev_b32_e32 v7, 3, v17
	v_add_co_u32 v4, vcc_lo, v4, s18
	v_add_co_ci_u32_e64 v5, null, s19, v5, vcc_lo
	s_lshl_b64 s[18:19], s[26:27], 3
	v_add_co_u32 v7, vcc_lo, v4, v7
	v_add_co_ci_u32_e64 v8, null, 0, v5, vcc_lo
	v_lshlrev_b64 v[4:5], 3, v[2:3]
	s_waitcnt lgkmcnt(0)
	v_add_co_u32 v2, vcc_lo, s16, v7
	s_add_u32 s0, s0, s18
	v_add_co_ci_u32_e64 v3, null, s17, v8, vcc_lo
	s_addc_u32 s1, s1, s19
	v_add_co_u32 v4, vcc_lo, s0, v4
	v_lshl_add_u32 v17, v1, 6, 0x800
	v_add_co_ci_u32_e64 v5, null, s1, v5, vcc_lo
	v_mov_b32_e32 v7, 0
	v_mov_b32_e32 v8, 0
	;; [unrolled: 1-line block ×5, first 2 shown]
	s_lshl_b64 s[16:17], s[24:25], 6
	s_mov_b64 s[18:19], 0
.LBB236_2:                              ; =>This Inner Loop Header: Depth=1
	flat_load_dwordx2 v[18:19], v[2:3]
	s_add_u32 s18, s18, 8
	s_addc_u32 s19, s19, 0
	v_add_co_u32 v2, vcc_lo, v2, 64
	v_cmp_lt_i64_e64 s0, s[18:19], s[12:13]
	v_add_co_ci_u32_e64 v3, null, 0, v3, vcc_lo
	s_and_b32 vcc_lo, exec_lo, s0
	s_waitcnt vmcnt(0) lgkmcnt(0)
	v_xor_b32_e32 v19, 0x80000000, v19
	ds_write_b64 v14, v[18:19]
	flat_load_dwordx2 v[18:19], v[4:5]
	v_add_co_u32 v4, s0, v4, s16
	v_add_co_ci_u32_e64 v5, null, s17, v5, s0
	s_waitcnt vmcnt(0) lgkmcnt(0)
	v_xor_b32_e32 v19, 0x80000000, v19
	ds_write_b64 v15, v[18:19]
	s_waitcnt lgkmcnt(0)
	s_barrier
	buffer_gl0_inv
	ds_read_b128 v[18:21], v17
	ds_read2_b64 v[22:25], v16 offset1:16
	ds_read_b128 v[26:29], v17 offset:1024
	ds_read2_b64 v[30:33], v16 offset0:32 offset1:48
	ds_read_b128 v[34:37], v17 offset:16
	ds_read2_b64 v[38:41], v16 offset0:64 offset1:80
	;; [unrolled: 2-line block ×3, first 2 shown]
	ds_read2_b64 v[50:53], v16 offset0:128 offset1:144
	ds_read2_b64 v[54:57], v16 offset0:160 offset1:176
	ds_read_b128 v[58:61], v17 offset:32
	ds_read_b128 v[62:65], v17 offset:48
	ds_read2_b64 v[66:69], v16 offset0:192 offset1:208
	ds_read_b128 v[70:73], v17 offset:1056
	ds_read_b128 v[74:77], v17 offset:1072
	ds_read2_b64 v[78:81], v16 offset0:224 offset1:240
	s_waitcnt lgkmcnt(0)
	s_barrier
	buffer_gl0_inv
	v_mul_f32_e32 v82, v19, v23
	v_mul_f32_e32 v83, v18, v23
	;; [unrolled: 1-line block ×12, first 2 shown]
	v_fma_f32 v82, v18, v22, -v82
	v_fmac_f32_e32 v83, v19, v22
	v_fma_f32 v18, v18, v24, -v84
	v_fmac_f32_e32 v85, v19, v24
	;; [unrolled: 2-line block ×4, first 2 shown]
	v_mul_f32_e32 v24, v29, v31
	v_mul_f32_e32 v26, v28, v31
	;; [unrolled: 1-line block ×4, first 2 shown]
	v_fma_f32 v33, v20, v30, -v88
	v_fmac_f32_e32 v89, v21, v30
	v_fma_f32 v20, v20, v32, -v90
	v_fmac_f32_e32 v91, v21, v32
	v_mul_f32_e32 v21, v35, v39
	v_mul_f32_e32 v84, v34, v39
	v_mul_f32_e32 v86, v35, v41
	v_mul_f32_e32 v87, v34, v41
	v_fma_f32 v24, v28, v30, -v24
	v_fmac_f32_e32 v26, v29, v30
	v_fma_f32 v27, v28, v32, -v27
	v_fmac_f32_e32 v31, v29, v32
	v_mul_f32_e32 v28, v43, v39
	v_mul_f32_e32 v29, v42, v39
	v_mul_f32_e32 v30, v43, v41
	v_mul_f32_e32 v32, v42, v41
	v_add_f32_e32 v12, v12, v82
	v_add_f32_e32 v13, v13, v83
	v_add_f32_e32 v10, v10, v18
	v_add_f32_e32 v11, v11, v85
	v_add_f32_e32 v8, v8, v19
	v_add_f32_e32 v9, v9, v23
	v_add_f32_e32 v7, v7, v22
	v_add_f32_e32 v6, v6, v25
	v_mul_f32_e32 v39, v37, v47
	v_mul_f32_e32 v41, v36, v47
	v_mul_f32_e32 v88, v37, v49
	v_mul_f32_e32 v90, v36, v49
	v_fma_f32 v21, v34, v38, -v21
	v_fmac_f32_e32 v84, v35, v38
	v_fma_f32 v34, v34, v40, -v86
	v_fmac_f32_e32 v87, v35, v40
	v_fma_f32 v28, v42, v38, -v28
	v_fmac_f32_e32 v29, v43, v38
	v_fma_f32 v30, v42, v40, -v30
	v_fmac_f32_e32 v32, v43, v40
	v_mul_f32_e32 v35, v45, v47
	v_mul_f32_e32 v38, v44, v47
	v_mul_f32_e32 v40, v45, v49
	v_mul_f32_e32 v42, v44, v49
	v_add_f32_e32 v12, v12, v33
	v_add_f32_e32 v13, v13, v89
	v_add_f32_e32 v10, v10, v20
	v_add_f32_e32 v11, v11, v91
	v_add_f32_e32 v8, v8, v24
	v_add_f32_e32 v9, v9, v26
	v_add_f32_e32 v7, v7, v27
	v_add_f32_e32 v6, v6, v31
	v_fma_f32 v39, v36, v46, -v39
	v_fmac_f32_e32 v41, v37, v46
	v_fma_f32 v36, v36, v48, -v88
	v_fmac_f32_e32 v90, v37, v48
	v_mul_f32_e32 v37, v59, v51
	v_mul_f32_e32 v43, v58, v51
	v_mul_f32_e32 v47, v59, v53
	v_mul_f32_e32 v49, v58, v53
	v_fma_f32 v35, v44, v46, -v35
	v_fmac_f32_e32 v38, v45, v46
	v_fma_f32 v40, v44, v48, -v40
	v_fmac_f32_e32 v42, v45, v48
	v_mul_f32_e32 v44, v71, v51
	v_mul_f32_e32 v45, v70, v51
	v_mul_f32_e32 v46, v71, v53
	v_mul_f32_e32 v48, v70, v53
	v_add_f32_e32 v12, v12, v21
	v_add_f32_e32 v13, v13, v84
	v_add_f32_e32 v10, v10, v34
	v_add_f32_e32 v11, v11, v87
	v_add_f32_e32 v8, v8, v28
	v_add_f32_e32 v9, v9, v29
	v_add_f32_e32 v7, v7, v30
	v_add_f32_e32 v6, v6, v32
	v_mul_f32_e32 v51, v61, v55
	v_mul_f32_e32 v53, v60, v55
	v_mul_f32_e32 v86, v61, v57
	v_mul_f32_e32 v88, v60, v57
	v_fma_f32 v37, v58, v50, -v37
	v_fmac_f32_e32 v43, v59, v50
	v_fma_f32 v47, v58, v52, -v47
	v_fmac_f32_e32 v49, v59, v52
	v_fma_f32 v44, v70, v50, -v44
	v_fmac_f32_e32 v45, v71, v50
	v_fma_f32 v46, v70, v52, -v46
	v_fmac_f32_e32 v48, v71, v52
	v_mul_f32_e32 v50, v73, v55
	v_mul_f32_e32 v52, v72, v55
	v_mul_f32_e32 v55, v73, v57
	v_mul_f32_e32 v57, v72, v57
	v_add_f32_e32 v12, v12, v39
	v_add_f32_e32 v13, v13, v41
	v_add_f32_e32 v10, v10, v36
	v_add_f32_e32 v11, v11, v90
	v_add_f32_e32 v8, v8, v35
	v_add_f32_e32 v9, v9, v38
	v_add_f32_e32 v7, v7, v40
	v_add_f32_e32 v6, v6, v42
	;; [unrolled: 48-line block ×3, first 2 shown]
	v_fma_f32 v71, v64, v78, -v71
	v_fmac_f32_e32 v72, v65, v78
	v_fma_f32 v64, v64, v80, -v73
	v_fmac_f32_e32 v86, v65, v80
	;; [unrolled: 2-line block ×4, first 2 shown]
	v_add_f32_e32 v12, v12, v59
	v_add_f32_e32 v13, v13, v60
	;; [unrolled: 1-line block ×16, first 2 shown]
	s_cbranch_vccnz .LBB236_2
.LBB236_3:
	s_lshl_b64 s[0:1], s[30:31], 3
	v_add_co_u32 v0, s6, s6, v0
	s_waitcnt lgkmcnt(0)
	s_add_u32 s0, s8, s0
	s_addc_u32 s1, s9, s1
	v_add_co_u32 v4, s9, s10, v1
	s_or_b32 s8, s2, s3
	v_add_co_ci_u32_e64 v5, null, s11, 0, s9
	v_add_co_ci_u32_e64 v1, null, s7, 0, s6
	s_bitset0_b32 s8, 31
	s_mov_b32 s6, 0
	s_cmp_lg_u32 s8, 0
	s_cbranch_scc1 .LBB236_5
; %bb.4:
	v_mul_lo_u32 v14, v5, s28
	v_mul_lo_u32 v15, v4, s29
	v_mad_u64_u32 v[2:3], null, v4, s28, 0
	v_lshlrev_b64 v[17:18], 3, v[0:1]
	s_lshl_b64 s[8:9], s[28:29], 7
	v_mul_f32_e32 v19, s15, v13
	v_mul_f32_e32 v16, s14, v13
	;; [unrolled: 1-line block ×4, first 2 shown]
	v_add3_u32 v3, v3, v15, v14
	v_mul_f32_e32 v14, s15, v11
	v_fma_f32 v15, v12, s14, -v19
	v_mul_f32_e32 v24, s14, v9
	v_mul_f32_e32 v25, s15, v6
	v_lshlrev_b64 v[2:3], 3, v[2:3]
	v_fma_f32 v19, v10, s14, -v14
	v_mul_f32_e32 v14, s14, v6
	v_fmac_f32_e32 v16, s15, v12
	v_fmac_f32_e32 v20, s15, v10
	v_fma_f32 v23, v8, s14, -v23
	v_add_co_u32 v2, vcc_lo, s0, v2
	v_add_co_ci_u32_e64 v3, null, s1, v3, vcc_lo
	v_fmac_f32_e32 v14, s15, v7
	v_add_co_u32 v21, vcc_lo, v2, v17
	v_add_co_ci_u32_e64 v22, null, v3, v18, vcc_lo
	v_add_co_u32 v2, vcc_lo, v2, s8
	v_add_co_ci_u32_e64 v3, null, s9, v3, vcc_lo
	v_fmac_f32_e32 v24, s15, v8
	v_add_co_u32 v17, vcc_lo, v2, v17
	v_add_co_ci_u32_e64 v18, null, v3, v18, vcc_lo
	v_fma_f32 v25, v7, s14, -v25
	v_add_co_u32 v2, vcc_lo, 0x80, v17
	v_add_co_ci_u32_e64 v3, null, 0, v18, vcc_lo
	flat_store_dwordx2 v[21:22], v[15:16]
	flat_store_dwordx2 v[21:22], v[19:20] offset:128
	flat_store_dwordx2 v[17:18], v[23:24]
	flat_store_dword v[17:18], v25 offset:128
	s_andn2_b32 vcc_lo, exec_lo, s6
	s_cbranch_vccz .LBB236_6
	s_branch .LBB236_7
.LBB236_5:
                                        ; implicit-def: $vgpr14
                                        ; implicit-def: $vgpr2_vgpr3
.LBB236_6:
	v_mul_lo_u32 v14, v5, s38
	v_mul_lo_u32 v15, v4, s39
	v_mad_u64_u32 v[2:3], null, v4, s38, 0
	s_lshl_b64 s[6:7], s[40:41], 3
	v_lshlrev_b64 v[0:1], 3, v[0:1]
	s_add_u32 s4, s4, s6
	s_addc_u32 s5, s5, s7
	v_mul_lo_u32 v18, v5, s28
	v_mul_lo_u32 v19, v4, s29
	v_add3_u32 v3, v3, v15, v14
	v_mad_u64_u32 v[4:5], null, v4, s28, 0
	v_lshlrev_b64 v[2:3], 3, v[2:3]
	v_add3_u32 v5, v5, v19, v18
	v_mul_f32_e32 v18, s15, v13
	v_add_co_u32 v16, vcc_lo, s4, v2
	v_add_co_ci_u32_e64 v17, null, s5, v3, vcc_lo
	v_mul_f32_e32 v13, s14, v13
	v_add_co_u32 v2, vcc_lo, v16, v0
	v_add_co_ci_u32_e64 v3, null, v17, v1, vcc_lo
	v_lshlrev_b64 v[4:5], 3, v[4:5]
	v_fma_f32 v18, v12, s14, -v18
	v_fmac_f32_e32 v13, s15, v12
	flat_load_dwordx2 v[14:15], v[2:3]
	v_add_co_u32 v19, vcc_lo, s0, v4
	v_add_co_ci_u32_e64 v20, null, s1, v5, vcc_lo
	s_lshl_b64 s[0:1], s[38:39], 7
	v_add_co_u32 v4, vcc_lo, v19, v0
	v_add_co_ci_u32_e64 v5, null, v20, v1, vcc_lo
	s_waitcnt vmcnt(0) lgkmcnt(0)
	v_mul_f32_e32 v12, s3, v15
	v_mul_f32_e32 v15, s2, v15
	v_fma_f32 v12, v14, s2, -v12
	v_fmac_f32_e32 v15, s3, v14
	v_add_f32_e32 v12, v18, v12
	v_add_f32_e32 v13, v13, v15
	flat_store_dwordx2 v[4:5], v[12:13]
	flat_load_dwordx2 v[2:3], v[2:3] offset:128
	v_mul_f32_e32 v12, s15, v11
	v_mul_f32_e32 v11, s14, v11
	v_fma_f32 v12, v10, s14, -v12
	v_fmac_f32_e32 v11, s15, v10
	s_waitcnt vmcnt(0) lgkmcnt(0)
	v_mul_f32_e32 v13, s3, v3
	v_mul_f32_e32 v3, s2, v3
	v_fma_f32 v10, v2, s2, -v13
	v_add_co_u32 v13, vcc_lo, v16, s0
	v_fmac_f32_e32 v3, s3, v2
	v_add_co_ci_u32_e64 v14, null, s1, v17, vcc_lo
	v_add_f32_e32 v2, v12, v10
	v_add_co_u32 v10, vcc_lo, v13, v0
	v_add_f32_e32 v3, v11, v3
	v_add_co_ci_u32_e64 v11, null, v14, v1, vcc_lo
	s_lshl_b64 s[0:1], s[28:29], 7
	flat_store_dwordx2 v[4:5], v[2:3] offset:128
	flat_load_dwordx2 v[2:3], v[10:11]
	v_mul_f32_e32 v4, s15, v9
	v_mul_f32_e32 v5, s14, v9
	v_add_co_u32 v9, vcc_lo, v19, s0
	v_add_co_ci_u32_e64 v12, null, s1, v20, vcc_lo
	v_fma_f32 v4, v8, s14, -v4
	v_fmac_f32_e32 v5, s15, v8
	v_add_co_u32 v0, vcc_lo, v9, v0
	v_add_co_ci_u32_e64 v1, null, v12, v1, vcc_lo
	s_waitcnt vmcnt(0) lgkmcnt(0)
	v_mul_f32_e32 v8, s3, v3
	v_mul_f32_e32 v3, s2, v3
	v_fma_f32 v8, v2, s2, -v8
	v_fmac_f32_e32 v3, s3, v2
	v_add_f32_e32 v2, v4, v8
	v_add_f32_e32 v3, v5, v3
	v_mul_f32_e32 v4, s15, v6
	v_mul_f32_e32 v5, s14, v6
	flat_store_dwordx2 v[0:1], v[2:3]
	flat_load_dwordx2 v[2:3], v[10:11] offset:128
	v_fma_f32 v4, v7, s14, -v4
	v_fmac_f32_e32 v5, s15, v7
	s_waitcnt vmcnt(0) lgkmcnt(0)
	v_mul_f32_e32 v6, s3, v3
	v_mul_f32_e32 v3, s2, v3
	v_fma_f32 v6, v2, s2, -v6
	v_fmac_f32_e32 v3, s3, v2
	v_add_co_u32 v2, vcc_lo, 0x80, v0
	v_add_f32_e32 v4, v4, v6
	v_add_f32_e32 v14, v5, v3
	v_add_co_ci_u32_e64 v3, null, 0, v1, vcc_lo
	flat_store_dword v[0:1], v4 offset:128
.LBB236_7:
	flat_store_dword v[2:3], v14 offset:4
	s_endpgm
	.section	.rodata,"a",@progbits
	.p2align	6, 0x0
	.amdhsa_kernel _ZN12_GLOBAL__N_127rocblas_gemm_batched_kernelI19rocblas_complex_numIfELi16ELi16ELi32ELi32ELi8ELi32ELi8ELi8ELi32ELc67ELc67EKPKS2_S5_KPS2_EEvlllT_PT11_llSA_llS8_PT12_llPT13_lli
		.amdhsa_group_segment_fixed_size 4096
		.amdhsa_private_segment_fixed_size 0
		.amdhsa_kernarg_size 140
		.amdhsa_user_sgpr_count 6
		.amdhsa_user_sgpr_private_segment_buffer 1
		.amdhsa_user_sgpr_dispatch_ptr 0
		.amdhsa_user_sgpr_queue_ptr 0
		.amdhsa_user_sgpr_kernarg_segment_ptr 1
		.amdhsa_user_sgpr_dispatch_id 0
		.amdhsa_user_sgpr_flat_scratch_init 0
		.amdhsa_user_sgpr_private_segment_size 0
		.amdhsa_wavefront_size32 1
		.amdhsa_uses_dynamic_stack 0
		.amdhsa_system_sgpr_private_segment_wavefront_offset 0
		.amdhsa_system_sgpr_workgroup_id_x 1
		.amdhsa_system_sgpr_workgroup_id_y 1
		.amdhsa_system_sgpr_workgroup_id_z 1
		.amdhsa_system_sgpr_workgroup_info 0
		.amdhsa_system_vgpr_workitem_id 1
		.amdhsa_next_free_vgpr 92
		.amdhsa_next_free_sgpr 44
		.amdhsa_reserve_vcc 1
		.amdhsa_reserve_flat_scratch 0
		.amdhsa_float_round_mode_32 0
		.amdhsa_float_round_mode_16_64 0
		.amdhsa_float_denorm_mode_32 3
		.amdhsa_float_denorm_mode_16_64 3
		.amdhsa_dx10_clamp 1
		.amdhsa_ieee_mode 1
		.amdhsa_fp16_overflow 0
		.amdhsa_workgroup_processor_mode 1
		.amdhsa_memory_ordered 1
		.amdhsa_forward_progress 1
		.amdhsa_shared_vgpr_count 0
		.amdhsa_exception_fp_ieee_invalid_op 0
		.amdhsa_exception_fp_denorm_src 0
		.amdhsa_exception_fp_ieee_div_zero 0
		.amdhsa_exception_fp_ieee_overflow 0
		.amdhsa_exception_fp_ieee_underflow 0
		.amdhsa_exception_fp_ieee_inexact 0
		.amdhsa_exception_int_div_zero 0
	.end_amdhsa_kernel
	.section	.text._ZN12_GLOBAL__N_127rocblas_gemm_batched_kernelI19rocblas_complex_numIfELi16ELi16ELi32ELi32ELi8ELi32ELi8ELi8ELi32ELc67ELc67EKPKS2_S5_KPS2_EEvlllT_PT11_llSA_llS8_PT12_llPT13_lli,"axG",@progbits,_ZN12_GLOBAL__N_127rocblas_gemm_batched_kernelI19rocblas_complex_numIfELi16ELi16ELi32ELi32ELi8ELi32ELi8ELi8ELi32ELc67ELc67EKPKS2_S5_KPS2_EEvlllT_PT11_llSA_llS8_PT12_llPT13_lli,comdat
.Lfunc_end236:
	.size	_ZN12_GLOBAL__N_127rocblas_gemm_batched_kernelI19rocblas_complex_numIfELi16ELi16ELi32ELi32ELi8ELi32ELi8ELi8ELi32ELc67ELc67EKPKS2_S5_KPS2_EEvlllT_PT11_llSA_llS8_PT12_llPT13_lli, .Lfunc_end236-_ZN12_GLOBAL__N_127rocblas_gemm_batched_kernelI19rocblas_complex_numIfELi16ELi16ELi32ELi32ELi8ELi32ELi8ELi8ELi32ELc67ELc67EKPKS2_S5_KPS2_EEvlllT_PT11_llSA_llS8_PT12_llPT13_lli
                                        ; -- End function
	.set _ZN12_GLOBAL__N_127rocblas_gemm_batched_kernelI19rocblas_complex_numIfELi16ELi16ELi32ELi32ELi8ELi32ELi8ELi8ELi32ELc67ELc67EKPKS2_S5_KPS2_EEvlllT_PT11_llSA_llS8_PT12_llPT13_lli.num_vgpr, 92
	.set _ZN12_GLOBAL__N_127rocblas_gemm_batched_kernelI19rocblas_complex_numIfELi16ELi16ELi32ELi32ELi8ELi32ELi8ELi8ELi32ELc67ELc67EKPKS2_S5_KPS2_EEvlllT_PT11_llSA_llS8_PT12_llPT13_lli.num_agpr, 0
	.set _ZN12_GLOBAL__N_127rocblas_gemm_batched_kernelI19rocblas_complex_numIfELi16ELi16ELi32ELi32ELi8ELi32ELi8ELi8ELi32ELc67ELc67EKPKS2_S5_KPS2_EEvlllT_PT11_llSA_llS8_PT12_llPT13_lli.numbered_sgpr, 44
	.set _ZN12_GLOBAL__N_127rocblas_gemm_batched_kernelI19rocblas_complex_numIfELi16ELi16ELi32ELi32ELi8ELi32ELi8ELi8ELi32ELc67ELc67EKPKS2_S5_KPS2_EEvlllT_PT11_llSA_llS8_PT12_llPT13_lli.num_named_barrier, 0
	.set _ZN12_GLOBAL__N_127rocblas_gemm_batched_kernelI19rocblas_complex_numIfELi16ELi16ELi32ELi32ELi8ELi32ELi8ELi8ELi32ELc67ELc67EKPKS2_S5_KPS2_EEvlllT_PT11_llSA_llS8_PT12_llPT13_lli.private_seg_size, 0
	.set _ZN12_GLOBAL__N_127rocblas_gemm_batched_kernelI19rocblas_complex_numIfELi16ELi16ELi32ELi32ELi8ELi32ELi8ELi8ELi32ELc67ELc67EKPKS2_S5_KPS2_EEvlllT_PT11_llSA_llS8_PT12_llPT13_lli.uses_vcc, 1
	.set _ZN12_GLOBAL__N_127rocblas_gemm_batched_kernelI19rocblas_complex_numIfELi16ELi16ELi32ELi32ELi8ELi32ELi8ELi8ELi32ELc67ELc67EKPKS2_S5_KPS2_EEvlllT_PT11_llSA_llS8_PT12_llPT13_lli.uses_flat_scratch, 0
	.set _ZN12_GLOBAL__N_127rocblas_gemm_batched_kernelI19rocblas_complex_numIfELi16ELi16ELi32ELi32ELi8ELi32ELi8ELi8ELi32ELc67ELc67EKPKS2_S5_KPS2_EEvlllT_PT11_llSA_llS8_PT12_llPT13_lli.has_dyn_sized_stack, 0
	.set _ZN12_GLOBAL__N_127rocblas_gemm_batched_kernelI19rocblas_complex_numIfELi16ELi16ELi32ELi32ELi8ELi32ELi8ELi8ELi32ELc67ELc67EKPKS2_S5_KPS2_EEvlllT_PT11_llSA_llS8_PT12_llPT13_lli.has_recursion, 0
	.set _ZN12_GLOBAL__N_127rocblas_gemm_batched_kernelI19rocblas_complex_numIfELi16ELi16ELi32ELi32ELi8ELi32ELi8ELi8ELi32ELc67ELc67EKPKS2_S5_KPS2_EEvlllT_PT11_llSA_llS8_PT12_llPT13_lli.has_indirect_call, 0
	.section	.AMDGPU.csdata,"",@progbits
; Kernel info:
; codeLenInByte = 2520
; TotalNumSgprs: 46
; NumVgprs: 92
; ScratchSize: 0
; MemoryBound: 0
; FloatMode: 240
; IeeeMode: 1
; LDSByteSize: 4096 bytes/workgroup (compile time only)
; SGPRBlocks: 0
; VGPRBlocks: 11
; NumSGPRsForWavesPerEU: 46
; NumVGPRsForWavesPerEU: 92
; Occupancy: 10
; WaveLimiterHint : 1
; COMPUTE_PGM_RSRC2:SCRATCH_EN: 0
; COMPUTE_PGM_RSRC2:USER_SGPR: 6
; COMPUTE_PGM_RSRC2:TRAP_HANDLER: 0
; COMPUTE_PGM_RSRC2:TGID_X_EN: 1
; COMPUTE_PGM_RSRC2:TGID_Y_EN: 1
; COMPUTE_PGM_RSRC2:TGID_Z_EN: 1
; COMPUTE_PGM_RSRC2:TIDIG_COMP_CNT: 1
	.section	.text._ZN12_GLOBAL__N_127rocblas_gemm_batched_kernelI19rocblas_complex_numIfELi16ELi16ELi32ELi32ELi8ELi32ELi8ELi8ELi32ELc67ELc78EKPKS2_S5_KPS2_EEvlllT_PT11_llSA_llS8_PT12_llPT13_lli,"axG",@progbits,_ZN12_GLOBAL__N_127rocblas_gemm_batched_kernelI19rocblas_complex_numIfELi16ELi16ELi32ELi32ELi8ELi32ELi8ELi8ELi32ELc67ELc78EKPKS2_S5_KPS2_EEvlllT_PT11_llSA_llS8_PT12_llPT13_lli,comdat
	.globl	_ZN12_GLOBAL__N_127rocblas_gemm_batched_kernelI19rocblas_complex_numIfELi16ELi16ELi32ELi32ELi8ELi32ELi8ELi8ELi32ELc67ELc78EKPKS2_S5_KPS2_EEvlllT_PT11_llSA_llS8_PT12_llPT13_lli ; -- Begin function _ZN12_GLOBAL__N_127rocblas_gemm_batched_kernelI19rocblas_complex_numIfELi16ELi16ELi32ELi32ELi8ELi32ELi8ELi8ELi32ELc67ELc78EKPKS2_S5_KPS2_EEvlllT_PT11_llSA_llS8_PT12_llPT13_lli
	.p2align	8
	.type	_ZN12_GLOBAL__N_127rocblas_gemm_batched_kernelI19rocblas_complex_numIfELi16ELi16ELi32ELi32ELi8ELi32ELi8ELi8ELi32ELc67ELc78EKPKS2_S5_KPS2_EEvlllT_PT11_llSA_llS8_PT12_llPT13_lli,@function
_ZN12_GLOBAL__N_127rocblas_gemm_batched_kernelI19rocblas_complex_numIfELi16ELi16ELi32ELi32ELi8ELi32ELi8ELi8ELi32ELc67ELc78EKPKS2_S5_KPS2_EEvlllT_PT11_llSA_llS8_PT12_llPT13_lli: ; @_ZN12_GLOBAL__N_127rocblas_gemm_batched_kernelI19rocblas_complex_numIfELi16ELi16ELi32ELi32ELi8ELi32ELi8ELi8ELi32ELc67ELc78EKPKS2_S5_KPS2_EEvlllT_PT11_llSA_llS8_PT12_llPT13_lli
; %bb.0:
	s_clause 0x1
	s_load_dwordx8 s[36:43], s[4:5], 0x58
	s_load_dwordx16 s[12:27], s[4:5], 0x10
	s_mov_b32 s9, 0
	s_clause 0x1
	s_load_dwordx4 s[28:31], s[4:5], 0x78
	s_load_dwordx2 s[2:3], s[4:5], 0x50
	s_lshl_b64 s[0:1], s[8:9], 3
	s_mov_b32 s10, s7
	v_mov_b32_e32 v12, 0
	v_mov_b32_e32 v13, 0
	;; [unrolled: 1-line block ×8, first 2 shown]
	s_waitcnt lgkmcnt(0)
	s_add_u32 s4, s36, s0
	s_addc_u32 s5, s37, s1
	s_add_u32 s8, s42, s0
	s_addc_u32 s9, s43, s1
	s_load_dwordx2 s[4:5], s[4:5], 0x0
	s_load_dwordx2 s[8:9], s[8:9], 0x0
	v_cmp_lt_i64_e64 s33, s[12:13], 1
	s_ashr_i32 s7, s6, 31
	s_ashr_i32 s11, s10, 31
	s_lshl_b64 s[6:7], s[6:7], 5
	s_lshl_b64 s[10:11], s[10:11], 5
	s_and_b32 vcc_lo, exec_lo, s33
	s_cbranch_vccnz .LBB237_3
; %bb.1:
	v_lshl_add_u32 v2, v1, 4, v0
	s_add_u32 s16, s16, s0
	s_addc_u32 s17, s17, s1
	s_add_u32 s0, s22, s0
	v_and_b32_e32 v3, 7, v0
	v_and_b32_e32 v6, 31, v2
	v_lshrrev_b32_e32 v7, 3, v2
	v_lshrrev_b32_e32 v10, 5, v2
	s_load_dwordx2 s[16:17], s[16:17], 0x0
	v_lshlrev_b32_e32 v11, 3, v3
	v_add_co_u32 v4, s22, s6, v6
	v_add_co_ci_u32_e64 v5, null, s7, 0, s22
	v_add_co_u32 v8, s22, v7, s10
	v_add_co_ci_u32_e64 v9, null, 0, s11, s22
	v_mul_lo_u32 v12, s19, v4
	v_mul_lo_u32 v13, s18, v5
	v_mad_u64_u32 v[2:3], null, s18, v4, 0
	v_mul_lo_u32 v16, s25, v8
	v_mul_lo_u32 v9, s24, v9
	v_mad_u64_u32 v[4:5], null, s24, v8, 0
	s_addc_u32 s1, s23, s1
	v_lshl_or_b32 v7, v7, 6, v11
	v_add3_u32 v3, v3, v13, v12
	s_load_dwordx2 s[0:1], s[0:1], 0x0
	s_lshl_b64 s[18:19], s[20:21], 3
	v_lshlrev_b32_e32 v8, 3, v6
	v_add3_u32 v5, v5, v9, v16
	v_lshlrev_b64 v[2:3], 3, v[2:3]
	v_add_nc_u32_e32 v15, 0x800, v7
	v_lshlrev_b32_e32 v7, 3, v10
	v_mov_b32_e32 v6, 0
	v_lshlrev_b64 v[4:5], 3, v[4:5]
	v_lshl_or_b32 v14, v10, 8, v8
	v_add_co_u32 v2, vcc_lo, v2, s18
	v_add_co_ci_u32_e64 v3, null, s19, v3, vcc_lo
	s_lshl_b64 s[18:19], s[26:27], 3
	v_lshlrev_b32_e32 v16, 3, v0
	v_add_co_u32 v4, vcc_lo, v4, s18
	v_add_co_ci_u32_e64 v5, null, s19, v5, vcc_lo
	v_add_co_u32 v2, vcc_lo, v2, v7
	v_add_co_ci_u32_e64 v3, null, 0, v3, vcc_lo
	;; [unrolled: 2-line block ×3, first 2 shown]
	s_waitcnt lgkmcnt(0)
	v_add_co_u32 v2, vcc_lo, s16, v2
	v_add_co_ci_u32_e64 v3, null, s17, v3, vcc_lo
	v_add_co_u32 v4, vcc_lo, s0, v4
	v_lshl_add_u32 v17, v1, 6, 0x800
	v_add_co_ci_u32_e64 v5, null, s1, v5, vcc_lo
	v_mov_b32_e32 v7, 0
	v_mov_b32_e32 v9, 0
	;; [unrolled: 1-line block ×7, first 2 shown]
	s_mov_b64 s[16:17], 0
.LBB237_2:                              ; =>This Inner Loop Header: Depth=1
	flat_load_dwordx2 v[18:19], v[2:3]
	s_add_u32 s16, s16, 8
	s_addc_u32 s17, s17, 0
	v_add_co_u32 v2, vcc_lo, v2, 64
	v_cmp_lt_i64_e64 s0, s[16:17], s[12:13]
	v_add_co_ci_u32_e64 v3, null, 0, v3, vcc_lo
	s_and_b32 vcc_lo, exec_lo, s0
	s_waitcnt vmcnt(0) lgkmcnt(0)
	v_xor_b32_e32 v19, 0x80000000, v19
	ds_write_b64 v14, v[18:19]
	flat_load_dwordx2 v[18:19], v[4:5]
	v_add_co_u32 v4, s0, v4, 64
	v_add_co_ci_u32_e64 v5, null, 0, v5, s0
	s_waitcnt vmcnt(0) lgkmcnt(0)
	ds_write_b64 v15, v[18:19]
	s_waitcnt lgkmcnt(0)
	s_barrier
	buffer_gl0_inv
	ds_read_b128 v[18:21], v17
	ds_read2_b64 v[22:25], v16 offset1:16
	ds_read_b128 v[26:29], v17 offset:1024
	ds_read2_b64 v[30:33], v16 offset0:32 offset1:48
	ds_read_b128 v[34:37], v17 offset:16
	ds_read2_b64 v[38:41], v16 offset0:64 offset1:80
	;; [unrolled: 2-line block ×3, first 2 shown]
	ds_read2_b64 v[50:53], v16 offset0:128 offset1:144
	ds_read2_b64 v[54:57], v16 offset0:160 offset1:176
	ds_read_b128 v[58:61], v17 offset:32
	ds_read_b128 v[62:65], v17 offset:48
	ds_read2_b64 v[66:69], v16 offset0:192 offset1:208
	ds_read_b128 v[70:73], v17 offset:1056
	ds_read_b128 v[74:77], v17 offset:1072
	ds_read2_b64 v[78:81], v16 offset0:224 offset1:240
	s_waitcnt lgkmcnt(0)
	s_barrier
	buffer_gl0_inv
	v_mul_f32_e32 v82, v19, v23
	v_mul_f32_e32 v83, v18, v23
	;; [unrolled: 1-line block ×12, first 2 shown]
	v_fma_f32 v82, v18, v22, -v82
	v_fmac_f32_e32 v83, v19, v22
	v_fma_f32 v18, v18, v24, -v84
	v_fmac_f32_e32 v85, v19, v24
	;; [unrolled: 2-line block ×4, first 2 shown]
	v_mul_f32_e32 v24, v29, v31
	v_mul_f32_e32 v26, v28, v31
	;; [unrolled: 1-line block ×4, first 2 shown]
	v_fma_f32 v33, v20, v30, -v88
	v_fmac_f32_e32 v89, v21, v30
	v_fma_f32 v20, v20, v32, -v90
	v_fmac_f32_e32 v91, v21, v32
	v_mul_f32_e32 v21, v35, v39
	v_mul_f32_e32 v84, v34, v39
	v_mul_f32_e32 v86, v35, v41
	v_mul_f32_e32 v87, v34, v41
	v_fma_f32 v24, v28, v30, -v24
	v_fmac_f32_e32 v26, v29, v30
	v_fma_f32 v27, v28, v32, -v27
	v_fmac_f32_e32 v31, v29, v32
	v_mul_f32_e32 v28, v43, v39
	v_mul_f32_e32 v29, v42, v39
	v_mul_f32_e32 v30, v43, v41
	v_mul_f32_e32 v32, v42, v41
	v_add_f32_e32 v12, v12, v82
	v_add_f32_e32 v13, v13, v83
	v_add_f32_e32 v10, v10, v18
	v_add_f32_e32 v11, v11, v85
	v_add_f32_e32 v8, v8, v19
	v_add_f32_e32 v9, v9, v23
	v_add_f32_e32 v7, v7, v22
	v_add_f32_e32 v6, v6, v25
	v_mul_f32_e32 v39, v37, v47
	v_mul_f32_e32 v41, v36, v47
	v_mul_f32_e32 v88, v37, v49
	v_mul_f32_e32 v90, v36, v49
	v_fma_f32 v21, v34, v38, -v21
	v_fmac_f32_e32 v84, v35, v38
	v_fma_f32 v34, v34, v40, -v86
	v_fmac_f32_e32 v87, v35, v40
	v_fma_f32 v28, v42, v38, -v28
	v_fmac_f32_e32 v29, v43, v38
	v_fma_f32 v30, v42, v40, -v30
	v_fmac_f32_e32 v32, v43, v40
	v_mul_f32_e32 v35, v45, v47
	v_mul_f32_e32 v38, v44, v47
	v_mul_f32_e32 v40, v45, v49
	v_mul_f32_e32 v42, v44, v49
	v_add_f32_e32 v12, v12, v33
	v_add_f32_e32 v13, v13, v89
	v_add_f32_e32 v10, v10, v20
	v_add_f32_e32 v11, v11, v91
	v_add_f32_e32 v8, v8, v24
	v_add_f32_e32 v9, v9, v26
	v_add_f32_e32 v7, v7, v27
	v_add_f32_e32 v6, v6, v31
	v_fma_f32 v39, v36, v46, -v39
	v_fmac_f32_e32 v41, v37, v46
	v_fma_f32 v36, v36, v48, -v88
	v_fmac_f32_e32 v90, v37, v48
	v_mul_f32_e32 v37, v59, v51
	v_mul_f32_e32 v43, v58, v51
	v_mul_f32_e32 v47, v59, v53
	v_mul_f32_e32 v49, v58, v53
	v_fma_f32 v35, v44, v46, -v35
	v_fmac_f32_e32 v38, v45, v46
	v_fma_f32 v40, v44, v48, -v40
	v_fmac_f32_e32 v42, v45, v48
	v_mul_f32_e32 v44, v71, v51
	v_mul_f32_e32 v45, v70, v51
	v_mul_f32_e32 v46, v71, v53
	v_mul_f32_e32 v48, v70, v53
	v_add_f32_e32 v12, v12, v21
	v_add_f32_e32 v13, v13, v84
	v_add_f32_e32 v10, v10, v34
	v_add_f32_e32 v11, v11, v87
	v_add_f32_e32 v8, v8, v28
	v_add_f32_e32 v9, v9, v29
	v_add_f32_e32 v7, v7, v30
	v_add_f32_e32 v6, v6, v32
	v_mul_f32_e32 v51, v61, v55
	v_mul_f32_e32 v53, v60, v55
	v_mul_f32_e32 v86, v61, v57
	v_mul_f32_e32 v88, v60, v57
	v_fma_f32 v37, v58, v50, -v37
	v_fmac_f32_e32 v43, v59, v50
	v_fma_f32 v47, v58, v52, -v47
	v_fmac_f32_e32 v49, v59, v52
	v_fma_f32 v44, v70, v50, -v44
	v_fmac_f32_e32 v45, v71, v50
	v_fma_f32 v46, v70, v52, -v46
	v_fmac_f32_e32 v48, v71, v52
	v_mul_f32_e32 v50, v73, v55
	v_mul_f32_e32 v52, v72, v55
	v_mul_f32_e32 v55, v73, v57
	v_mul_f32_e32 v57, v72, v57
	v_add_f32_e32 v12, v12, v39
	v_add_f32_e32 v13, v13, v41
	v_add_f32_e32 v10, v10, v36
	v_add_f32_e32 v11, v11, v90
	v_add_f32_e32 v8, v8, v35
	v_add_f32_e32 v9, v9, v38
	v_add_f32_e32 v7, v7, v40
	v_add_f32_e32 v6, v6, v42
	;; [unrolled: 48-line block ×3, first 2 shown]
	v_fma_f32 v71, v64, v78, -v71
	v_fmac_f32_e32 v72, v65, v78
	v_fma_f32 v64, v64, v80, -v73
	v_fmac_f32_e32 v86, v65, v80
	;; [unrolled: 2-line block ×4, first 2 shown]
	v_add_f32_e32 v12, v12, v59
	v_add_f32_e32 v13, v13, v60
	;; [unrolled: 1-line block ×16, first 2 shown]
	s_cbranch_vccnz .LBB237_2
.LBB237_3:
	s_lshl_b64 s[0:1], s[30:31], 3
	v_add_co_u32 v0, s6, s6, v0
	s_waitcnt lgkmcnt(0)
	s_add_u32 s0, s8, s0
	s_addc_u32 s1, s9, s1
	v_add_co_u32 v4, s9, s10, v1
	s_or_b32 s8, s2, s3
	v_add_co_ci_u32_e64 v5, null, s11, 0, s9
	v_add_co_ci_u32_e64 v1, null, s7, 0, s6
	s_bitset0_b32 s8, 31
	s_mov_b32 s6, 0
	s_cmp_lg_u32 s8, 0
	s_cbranch_scc1 .LBB237_5
; %bb.4:
	v_mul_lo_u32 v14, v5, s28
	v_mul_lo_u32 v15, v4, s29
	v_mad_u64_u32 v[2:3], null, v4, s28, 0
	v_lshlrev_b64 v[17:18], 3, v[0:1]
	s_lshl_b64 s[8:9], s[28:29], 7
	v_mul_f32_e32 v19, s15, v13
	v_mul_f32_e32 v16, s14, v13
	;; [unrolled: 1-line block ×4, first 2 shown]
	v_add3_u32 v3, v3, v15, v14
	v_mul_f32_e32 v14, s15, v11
	v_fma_f32 v15, v12, s14, -v19
	v_mul_f32_e32 v24, s14, v9
	v_mul_f32_e32 v25, s15, v6
	v_lshlrev_b64 v[2:3], 3, v[2:3]
	v_fma_f32 v19, v10, s14, -v14
	v_mul_f32_e32 v14, s14, v6
	v_fmac_f32_e32 v16, s15, v12
	v_fmac_f32_e32 v20, s15, v10
	v_fma_f32 v23, v8, s14, -v23
	v_add_co_u32 v2, vcc_lo, s0, v2
	v_add_co_ci_u32_e64 v3, null, s1, v3, vcc_lo
	v_fmac_f32_e32 v14, s15, v7
	v_add_co_u32 v21, vcc_lo, v2, v17
	v_add_co_ci_u32_e64 v22, null, v3, v18, vcc_lo
	v_add_co_u32 v2, vcc_lo, v2, s8
	v_add_co_ci_u32_e64 v3, null, s9, v3, vcc_lo
	v_fmac_f32_e32 v24, s15, v8
	v_add_co_u32 v17, vcc_lo, v2, v17
	v_add_co_ci_u32_e64 v18, null, v3, v18, vcc_lo
	v_fma_f32 v25, v7, s14, -v25
	v_add_co_u32 v2, vcc_lo, 0x80, v17
	v_add_co_ci_u32_e64 v3, null, 0, v18, vcc_lo
	flat_store_dwordx2 v[21:22], v[15:16]
	flat_store_dwordx2 v[21:22], v[19:20] offset:128
	flat_store_dwordx2 v[17:18], v[23:24]
	flat_store_dword v[17:18], v25 offset:128
	s_andn2_b32 vcc_lo, exec_lo, s6
	s_cbranch_vccz .LBB237_6
	s_branch .LBB237_7
.LBB237_5:
                                        ; implicit-def: $vgpr14
                                        ; implicit-def: $vgpr2_vgpr3
.LBB237_6:
	v_mul_lo_u32 v14, v5, s38
	v_mul_lo_u32 v15, v4, s39
	v_mad_u64_u32 v[2:3], null, v4, s38, 0
	s_lshl_b64 s[6:7], s[40:41], 3
	v_lshlrev_b64 v[0:1], 3, v[0:1]
	s_add_u32 s4, s4, s6
	s_addc_u32 s5, s5, s7
	v_mul_lo_u32 v18, v5, s28
	v_mul_lo_u32 v19, v4, s29
	v_add3_u32 v3, v3, v15, v14
	v_mad_u64_u32 v[4:5], null, v4, s28, 0
	v_lshlrev_b64 v[2:3], 3, v[2:3]
	v_add3_u32 v5, v5, v19, v18
	v_mul_f32_e32 v18, s15, v13
	v_add_co_u32 v16, vcc_lo, s4, v2
	v_add_co_ci_u32_e64 v17, null, s5, v3, vcc_lo
	v_mul_f32_e32 v13, s14, v13
	v_add_co_u32 v2, vcc_lo, v16, v0
	v_add_co_ci_u32_e64 v3, null, v17, v1, vcc_lo
	v_lshlrev_b64 v[4:5], 3, v[4:5]
	v_fma_f32 v18, v12, s14, -v18
	v_fmac_f32_e32 v13, s15, v12
	flat_load_dwordx2 v[14:15], v[2:3]
	v_add_co_u32 v19, vcc_lo, s0, v4
	v_add_co_ci_u32_e64 v20, null, s1, v5, vcc_lo
	s_lshl_b64 s[0:1], s[38:39], 7
	v_add_co_u32 v4, vcc_lo, v19, v0
	v_add_co_ci_u32_e64 v5, null, v20, v1, vcc_lo
	s_waitcnt vmcnt(0) lgkmcnt(0)
	v_mul_f32_e32 v12, s3, v15
	v_mul_f32_e32 v15, s2, v15
	v_fma_f32 v12, v14, s2, -v12
	v_fmac_f32_e32 v15, s3, v14
	v_add_f32_e32 v12, v18, v12
	v_add_f32_e32 v13, v13, v15
	flat_store_dwordx2 v[4:5], v[12:13]
	flat_load_dwordx2 v[2:3], v[2:3] offset:128
	v_mul_f32_e32 v12, s15, v11
	v_mul_f32_e32 v11, s14, v11
	v_fma_f32 v12, v10, s14, -v12
	v_fmac_f32_e32 v11, s15, v10
	s_waitcnt vmcnt(0) lgkmcnt(0)
	v_mul_f32_e32 v13, s3, v3
	v_mul_f32_e32 v3, s2, v3
	v_fma_f32 v10, v2, s2, -v13
	v_add_co_u32 v13, vcc_lo, v16, s0
	v_fmac_f32_e32 v3, s3, v2
	v_add_co_ci_u32_e64 v14, null, s1, v17, vcc_lo
	v_add_f32_e32 v2, v12, v10
	v_add_co_u32 v10, vcc_lo, v13, v0
	v_add_f32_e32 v3, v11, v3
	v_add_co_ci_u32_e64 v11, null, v14, v1, vcc_lo
	s_lshl_b64 s[0:1], s[28:29], 7
	flat_store_dwordx2 v[4:5], v[2:3] offset:128
	flat_load_dwordx2 v[2:3], v[10:11]
	v_mul_f32_e32 v4, s15, v9
	v_mul_f32_e32 v5, s14, v9
	v_add_co_u32 v9, vcc_lo, v19, s0
	v_add_co_ci_u32_e64 v12, null, s1, v20, vcc_lo
	v_fma_f32 v4, v8, s14, -v4
	v_fmac_f32_e32 v5, s15, v8
	v_add_co_u32 v0, vcc_lo, v9, v0
	v_add_co_ci_u32_e64 v1, null, v12, v1, vcc_lo
	s_waitcnt vmcnt(0) lgkmcnt(0)
	v_mul_f32_e32 v8, s3, v3
	v_mul_f32_e32 v3, s2, v3
	v_fma_f32 v8, v2, s2, -v8
	v_fmac_f32_e32 v3, s3, v2
	v_add_f32_e32 v2, v4, v8
	v_add_f32_e32 v3, v5, v3
	v_mul_f32_e32 v4, s15, v6
	v_mul_f32_e32 v5, s14, v6
	flat_store_dwordx2 v[0:1], v[2:3]
	flat_load_dwordx2 v[2:3], v[10:11] offset:128
	v_fma_f32 v4, v7, s14, -v4
	v_fmac_f32_e32 v5, s15, v7
	s_waitcnt vmcnt(0) lgkmcnt(0)
	v_mul_f32_e32 v6, s3, v3
	v_mul_f32_e32 v3, s2, v3
	v_fma_f32 v6, v2, s2, -v6
	v_fmac_f32_e32 v3, s3, v2
	v_add_co_u32 v2, vcc_lo, 0x80, v0
	v_add_f32_e32 v4, v4, v6
	v_add_f32_e32 v14, v5, v3
	v_add_co_ci_u32_e64 v3, null, 0, v1, vcc_lo
	flat_store_dword v[0:1], v4 offset:128
.LBB237_7:
	flat_store_dword v[2:3], v14 offset:4
	s_endpgm
	.section	.rodata,"a",@progbits
	.p2align	6, 0x0
	.amdhsa_kernel _ZN12_GLOBAL__N_127rocblas_gemm_batched_kernelI19rocblas_complex_numIfELi16ELi16ELi32ELi32ELi8ELi32ELi8ELi8ELi32ELc67ELc78EKPKS2_S5_KPS2_EEvlllT_PT11_llSA_llS8_PT12_llPT13_lli
		.amdhsa_group_segment_fixed_size 4096
		.amdhsa_private_segment_fixed_size 0
		.amdhsa_kernarg_size 140
		.amdhsa_user_sgpr_count 6
		.amdhsa_user_sgpr_private_segment_buffer 1
		.amdhsa_user_sgpr_dispatch_ptr 0
		.amdhsa_user_sgpr_queue_ptr 0
		.amdhsa_user_sgpr_kernarg_segment_ptr 1
		.amdhsa_user_sgpr_dispatch_id 0
		.amdhsa_user_sgpr_flat_scratch_init 0
		.amdhsa_user_sgpr_private_segment_size 0
		.amdhsa_wavefront_size32 1
		.amdhsa_uses_dynamic_stack 0
		.amdhsa_system_sgpr_private_segment_wavefront_offset 0
		.amdhsa_system_sgpr_workgroup_id_x 1
		.amdhsa_system_sgpr_workgroup_id_y 1
		.amdhsa_system_sgpr_workgroup_id_z 1
		.amdhsa_system_sgpr_workgroup_info 0
		.amdhsa_system_vgpr_workitem_id 1
		.amdhsa_next_free_vgpr 92
		.amdhsa_next_free_sgpr 44
		.amdhsa_reserve_vcc 1
		.amdhsa_reserve_flat_scratch 0
		.amdhsa_float_round_mode_32 0
		.amdhsa_float_round_mode_16_64 0
		.amdhsa_float_denorm_mode_32 3
		.amdhsa_float_denorm_mode_16_64 3
		.amdhsa_dx10_clamp 1
		.amdhsa_ieee_mode 1
		.amdhsa_fp16_overflow 0
		.amdhsa_workgroup_processor_mode 1
		.amdhsa_memory_ordered 1
		.amdhsa_forward_progress 1
		.amdhsa_shared_vgpr_count 0
		.amdhsa_exception_fp_ieee_invalid_op 0
		.amdhsa_exception_fp_denorm_src 0
		.amdhsa_exception_fp_ieee_div_zero 0
		.amdhsa_exception_fp_ieee_overflow 0
		.amdhsa_exception_fp_ieee_underflow 0
		.amdhsa_exception_fp_ieee_inexact 0
		.amdhsa_exception_int_div_zero 0
	.end_amdhsa_kernel
	.section	.text._ZN12_GLOBAL__N_127rocblas_gemm_batched_kernelI19rocblas_complex_numIfELi16ELi16ELi32ELi32ELi8ELi32ELi8ELi8ELi32ELc67ELc78EKPKS2_S5_KPS2_EEvlllT_PT11_llSA_llS8_PT12_llPT13_lli,"axG",@progbits,_ZN12_GLOBAL__N_127rocblas_gemm_batched_kernelI19rocblas_complex_numIfELi16ELi16ELi32ELi32ELi8ELi32ELi8ELi8ELi32ELc67ELc78EKPKS2_S5_KPS2_EEvlllT_PT11_llSA_llS8_PT12_llPT13_lli,comdat
.Lfunc_end237:
	.size	_ZN12_GLOBAL__N_127rocblas_gemm_batched_kernelI19rocblas_complex_numIfELi16ELi16ELi32ELi32ELi8ELi32ELi8ELi8ELi32ELc67ELc78EKPKS2_S5_KPS2_EEvlllT_PT11_llSA_llS8_PT12_llPT13_lli, .Lfunc_end237-_ZN12_GLOBAL__N_127rocblas_gemm_batched_kernelI19rocblas_complex_numIfELi16ELi16ELi32ELi32ELi8ELi32ELi8ELi8ELi32ELc67ELc78EKPKS2_S5_KPS2_EEvlllT_PT11_llSA_llS8_PT12_llPT13_lli
                                        ; -- End function
	.set _ZN12_GLOBAL__N_127rocblas_gemm_batched_kernelI19rocblas_complex_numIfELi16ELi16ELi32ELi32ELi8ELi32ELi8ELi8ELi32ELc67ELc78EKPKS2_S5_KPS2_EEvlllT_PT11_llSA_llS8_PT12_llPT13_lli.num_vgpr, 92
	.set _ZN12_GLOBAL__N_127rocblas_gemm_batched_kernelI19rocblas_complex_numIfELi16ELi16ELi32ELi32ELi8ELi32ELi8ELi8ELi32ELc67ELc78EKPKS2_S5_KPS2_EEvlllT_PT11_llSA_llS8_PT12_llPT13_lli.num_agpr, 0
	.set _ZN12_GLOBAL__N_127rocblas_gemm_batched_kernelI19rocblas_complex_numIfELi16ELi16ELi32ELi32ELi8ELi32ELi8ELi8ELi32ELc67ELc78EKPKS2_S5_KPS2_EEvlllT_PT11_llSA_llS8_PT12_llPT13_lli.numbered_sgpr, 44
	.set _ZN12_GLOBAL__N_127rocblas_gemm_batched_kernelI19rocblas_complex_numIfELi16ELi16ELi32ELi32ELi8ELi32ELi8ELi8ELi32ELc67ELc78EKPKS2_S5_KPS2_EEvlllT_PT11_llSA_llS8_PT12_llPT13_lli.num_named_barrier, 0
	.set _ZN12_GLOBAL__N_127rocblas_gemm_batched_kernelI19rocblas_complex_numIfELi16ELi16ELi32ELi32ELi8ELi32ELi8ELi8ELi32ELc67ELc78EKPKS2_S5_KPS2_EEvlllT_PT11_llSA_llS8_PT12_llPT13_lli.private_seg_size, 0
	.set _ZN12_GLOBAL__N_127rocblas_gemm_batched_kernelI19rocblas_complex_numIfELi16ELi16ELi32ELi32ELi8ELi32ELi8ELi8ELi32ELc67ELc78EKPKS2_S5_KPS2_EEvlllT_PT11_llSA_llS8_PT12_llPT13_lli.uses_vcc, 1
	.set _ZN12_GLOBAL__N_127rocblas_gemm_batched_kernelI19rocblas_complex_numIfELi16ELi16ELi32ELi32ELi8ELi32ELi8ELi8ELi32ELc67ELc78EKPKS2_S5_KPS2_EEvlllT_PT11_llSA_llS8_PT12_llPT13_lli.uses_flat_scratch, 0
	.set _ZN12_GLOBAL__N_127rocblas_gemm_batched_kernelI19rocblas_complex_numIfELi16ELi16ELi32ELi32ELi8ELi32ELi8ELi8ELi32ELc67ELc78EKPKS2_S5_KPS2_EEvlllT_PT11_llSA_llS8_PT12_llPT13_lli.has_dyn_sized_stack, 0
	.set _ZN12_GLOBAL__N_127rocblas_gemm_batched_kernelI19rocblas_complex_numIfELi16ELi16ELi32ELi32ELi8ELi32ELi8ELi8ELi32ELc67ELc78EKPKS2_S5_KPS2_EEvlllT_PT11_llSA_llS8_PT12_llPT13_lli.has_recursion, 0
	.set _ZN12_GLOBAL__N_127rocblas_gemm_batched_kernelI19rocblas_complex_numIfELi16ELi16ELi32ELi32ELi8ELi32ELi8ELi8ELi32ELc67ELc78EKPKS2_S5_KPS2_EEvlllT_PT11_llSA_llS8_PT12_llPT13_lli.has_indirect_call, 0
	.section	.AMDGPU.csdata,"",@progbits
; Kernel info:
; codeLenInByte = 2544
; TotalNumSgprs: 46
; NumVgprs: 92
; ScratchSize: 0
; MemoryBound: 0
; FloatMode: 240
; IeeeMode: 1
; LDSByteSize: 4096 bytes/workgroup (compile time only)
; SGPRBlocks: 0
; VGPRBlocks: 11
; NumSGPRsForWavesPerEU: 46
; NumVGPRsForWavesPerEU: 92
; Occupancy: 10
; WaveLimiterHint : 1
; COMPUTE_PGM_RSRC2:SCRATCH_EN: 0
; COMPUTE_PGM_RSRC2:USER_SGPR: 6
; COMPUTE_PGM_RSRC2:TRAP_HANDLER: 0
; COMPUTE_PGM_RSRC2:TGID_X_EN: 1
; COMPUTE_PGM_RSRC2:TGID_Y_EN: 1
; COMPUTE_PGM_RSRC2:TGID_Z_EN: 1
; COMPUTE_PGM_RSRC2:TIDIG_COMP_CNT: 1
	.section	.text._ZN12_GLOBAL__N_127rocblas_gemm_batched_kernelI19rocblas_complex_numIfELi16ELi16ELi32ELi32ELi8ELi32ELi8ELi8ELi32ELc67ELc84EKPKS2_S5_KPS2_EEvlllT_PT11_llSA_llS8_PT12_llPT13_lli,"axG",@progbits,_ZN12_GLOBAL__N_127rocblas_gemm_batched_kernelI19rocblas_complex_numIfELi16ELi16ELi32ELi32ELi8ELi32ELi8ELi8ELi32ELc67ELc84EKPKS2_S5_KPS2_EEvlllT_PT11_llSA_llS8_PT12_llPT13_lli,comdat
	.globl	_ZN12_GLOBAL__N_127rocblas_gemm_batched_kernelI19rocblas_complex_numIfELi16ELi16ELi32ELi32ELi8ELi32ELi8ELi8ELi32ELc67ELc84EKPKS2_S5_KPS2_EEvlllT_PT11_llSA_llS8_PT12_llPT13_lli ; -- Begin function _ZN12_GLOBAL__N_127rocblas_gemm_batched_kernelI19rocblas_complex_numIfELi16ELi16ELi32ELi32ELi8ELi32ELi8ELi8ELi32ELc67ELc84EKPKS2_S5_KPS2_EEvlllT_PT11_llSA_llS8_PT12_llPT13_lli
	.p2align	8
	.type	_ZN12_GLOBAL__N_127rocblas_gemm_batched_kernelI19rocblas_complex_numIfELi16ELi16ELi32ELi32ELi8ELi32ELi8ELi8ELi32ELc67ELc84EKPKS2_S5_KPS2_EEvlllT_PT11_llSA_llS8_PT12_llPT13_lli,@function
_ZN12_GLOBAL__N_127rocblas_gemm_batched_kernelI19rocblas_complex_numIfELi16ELi16ELi32ELi32ELi8ELi32ELi8ELi8ELi32ELc67ELc84EKPKS2_S5_KPS2_EEvlllT_PT11_llSA_llS8_PT12_llPT13_lli: ; @_ZN12_GLOBAL__N_127rocblas_gemm_batched_kernelI19rocblas_complex_numIfELi16ELi16ELi32ELi32ELi8ELi32ELi8ELi8ELi32ELc67ELc84EKPKS2_S5_KPS2_EEvlllT_PT11_llSA_llS8_PT12_llPT13_lli
; %bb.0:
	s_clause 0x1
	s_load_dwordx8 s[36:43], s[4:5], 0x58
	s_load_dwordx16 s[12:27], s[4:5], 0x10
	s_mov_b32 s9, 0
	s_clause 0x1
	s_load_dwordx4 s[28:31], s[4:5], 0x78
	s_load_dwordx2 s[2:3], s[4:5], 0x50
	s_lshl_b64 s[0:1], s[8:9], 3
	s_mov_b32 s10, s7
	v_mov_b32_e32 v12, 0
	v_mov_b32_e32 v13, 0
	;; [unrolled: 1-line block ×8, first 2 shown]
	s_waitcnt lgkmcnt(0)
	s_add_u32 s4, s36, s0
	s_addc_u32 s5, s37, s1
	s_add_u32 s8, s42, s0
	s_addc_u32 s9, s43, s1
	s_load_dwordx2 s[4:5], s[4:5], 0x0
	s_load_dwordx2 s[8:9], s[8:9], 0x0
	v_cmp_lt_i64_e64 s33, s[12:13], 1
	s_ashr_i32 s7, s6, 31
	s_ashr_i32 s11, s10, 31
	s_lshl_b64 s[6:7], s[6:7], 5
	s_lshl_b64 s[10:11], s[10:11], 5
	s_and_b32 vcc_lo, exec_lo, s33
	s_cbranch_vccnz .LBB238_3
; %bb.1:
	v_lshl_add_u32 v7, v1, 4, v0
	v_and_b32_e32 v8, 7, v0
	s_add_u32 s16, s16, s0
	s_addc_u32 s17, s17, s1
	s_add_u32 s0, s22, s0
	v_lshrrev_b32_e32 v9, 3, v7
	v_and_b32_e32 v10, 31, v7
	s_addc_u32 s1, s23, s1
	v_lshlrev_b32_e32 v13, 3, v8
	s_load_dwordx2 s[16:17], s[16:17], 0x0
	s_load_dwordx2 s[0:1], s[0:1], 0x0
	v_add_co_u32 v2, s33, v9, s10
	v_add_co_ci_u32_e64 v3, null, 0, s11, s33
	v_add_co_u32 v4, s33, s6, v10
	v_add_co_ci_u32_e64 v5, null, s7, 0, s33
	v_mad_u64_u32 v[2:3], null, s24, v8, v[2:3]
	v_mul_lo_u32 v11, s19, v4
	v_mul_lo_u32 v12, s18, v5
	v_mad_u64_u32 v[4:5], null, s18, v4, 0
	v_lshrrev_b32_e32 v17, 5, v7
	s_lshl_b64 s[18:19], s[20:21], 3
	v_lshlrev_b32_e32 v10, 3, v10
	v_mov_b32_e32 v6, 0
	v_lshlrev_b32_e32 v16, 3, v0
	v_add3_u32 v5, v5, v12, v11
	v_mad_u64_u32 v[7:8], null, s25, v8, v[3:4]
	v_lshl_or_b32 v3, v9, 6, v13
	v_lshl_or_b32 v14, v17, 8, v10
	v_lshlrev_b64 v[4:5], 3, v[4:5]
	v_mov_b32_e32 v9, 0
	v_mov_b32_e32 v11, 0
	v_add_nc_u32_e32 v15, 0x800, v3
	v_mov_b32_e32 v3, v7
	v_lshlrev_b32_e32 v7, 3, v17
	v_add_co_u32 v4, vcc_lo, v4, s18
	v_add_co_ci_u32_e64 v5, null, s19, v5, vcc_lo
	s_lshl_b64 s[18:19], s[26:27], 3
	v_add_co_u32 v7, vcc_lo, v4, v7
	v_add_co_ci_u32_e64 v8, null, 0, v5, vcc_lo
	v_lshlrev_b64 v[4:5], 3, v[2:3]
	s_waitcnt lgkmcnt(0)
	v_add_co_u32 v2, vcc_lo, s16, v7
	s_add_u32 s0, s0, s18
	v_add_co_ci_u32_e64 v3, null, s17, v8, vcc_lo
	s_addc_u32 s1, s1, s19
	v_add_co_u32 v4, vcc_lo, s0, v4
	v_lshl_add_u32 v17, v1, 6, 0x800
	v_add_co_ci_u32_e64 v5, null, s1, v5, vcc_lo
	v_mov_b32_e32 v7, 0
	v_mov_b32_e32 v8, 0
	;; [unrolled: 1-line block ×5, first 2 shown]
	s_lshl_b64 s[16:17], s[24:25], 6
	s_mov_b64 s[18:19], 0
.LBB238_2:                              ; =>This Inner Loop Header: Depth=1
	flat_load_dwordx2 v[18:19], v[2:3]
	s_add_u32 s18, s18, 8
	s_addc_u32 s19, s19, 0
	v_add_co_u32 v2, vcc_lo, v2, 64
	v_cmp_lt_i64_e64 s0, s[18:19], s[12:13]
	v_add_co_ci_u32_e64 v3, null, 0, v3, vcc_lo
	s_and_b32 vcc_lo, exec_lo, s0
	s_waitcnt vmcnt(0) lgkmcnt(0)
	v_xor_b32_e32 v19, 0x80000000, v19
	ds_write_b64 v14, v[18:19]
	flat_load_dwordx2 v[18:19], v[4:5]
	v_add_co_u32 v4, s0, v4, s16
	v_add_co_ci_u32_e64 v5, null, s17, v5, s0
	s_waitcnt vmcnt(0) lgkmcnt(0)
	ds_write_b64 v15, v[18:19]
	s_waitcnt lgkmcnt(0)
	s_barrier
	buffer_gl0_inv
	ds_read_b128 v[18:21], v17
	ds_read2_b64 v[22:25], v16 offset1:16
	ds_read_b128 v[26:29], v17 offset:1024
	ds_read2_b64 v[30:33], v16 offset0:32 offset1:48
	ds_read_b128 v[34:37], v17 offset:16
	ds_read2_b64 v[38:41], v16 offset0:64 offset1:80
	ds_read_b128 v[42:45], v17 offset:1040
	ds_read2_b64 v[46:49], v16 offset0:96 offset1:112
	ds_read2_b64 v[50:53], v16 offset0:128 offset1:144
	ds_read2_b64 v[54:57], v16 offset0:160 offset1:176
	ds_read_b128 v[58:61], v17 offset:32
	ds_read_b128 v[62:65], v17 offset:48
	ds_read2_b64 v[66:69], v16 offset0:192 offset1:208
	ds_read_b128 v[70:73], v17 offset:1056
	ds_read_b128 v[74:77], v17 offset:1072
	ds_read2_b64 v[78:81], v16 offset0:224 offset1:240
	s_waitcnt lgkmcnt(0)
	s_barrier
	buffer_gl0_inv
	v_mul_f32_e32 v82, v19, v23
	v_mul_f32_e32 v83, v18, v23
	;; [unrolled: 1-line block ×12, first 2 shown]
	v_fma_f32 v82, v18, v22, -v82
	v_fmac_f32_e32 v83, v19, v22
	v_fma_f32 v18, v18, v24, -v84
	v_fmac_f32_e32 v85, v19, v24
	v_fma_f32 v19, v26, v22, -v86
	v_fmac_f32_e32 v23, v27, v22
	v_fma_f32 v22, v26, v24, -v87
	v_fmac_f32_e32 v25, v27, v24
	v_mul_f32_e32 v24, v29, v31
	v_mul_f32_e32 v26, v28, v31
	v_mul_f32_e32 v27, v29, v33
	v_mul_f32_e32 v31, v28, v33
	v_fma_f32 v33, v20, v30, -v88
	v_fmac_f32_e32 v89, v21, v30
	v_fma_f32 v20, v20, v32, -v90
	v_fmac_f32_e32 v91, v21, v32
	v_mul_f32_e32 v21, v35, v39
	v_mul_f32_e32 v84, v34, v39
	v_mul_f32_e32 v86, v35, v41
	v_mul_f32_e32 v87, v34, v41
	v_fma_f32 v24, v28, v30, -v24
	v_fmac_f32_e32 v26, v29, v30
	v_fma_f32 v27, v28, v32, -v27
	v_fmac_f32_e32 v31, v29, v32
	v_mul_f32_e32 v28, v43, v39
	v_mul_f32_e32 v29, v42, v39
	v_mul_f32_e32 v30, v43, v41
	v_mul_f32_e32 v32, v42, v41
	v_add_f32_e32 v12, v12, v82
	v_add_f32_e32 v13, v13, v83
	v_add_f32_e32 v10, v10, v18
	v_add_f32_e32 v11, v11, v85
	v_add_f32_e32 v8, v8, v19
	v_add_f32_e32 v9, v9, v23
	v_add_f32_e32 v7, v7, v22
	v_add_f32_e32 v6, v6, v25
	v_mul_f32_e32 v39, v37, v47
	v_mul_f32_e32 v41, v36, v47
	v_mul_f32_e32 v88, v37, v49
	v_mul_f32_e32 v90, v36, v49
	v_fma_f32 v21, v34, v38, -v21
	v_fmac_f32_e32 v84, v35, v38
	v_fma_f32 v34, v34, v40, -v86
	v_fmac_f32_e32 v87, v35, v40
	v_fma_f32 v28, v42, v38, -v28
	v_fmac_f32_e32 v29, v43, v38
	v_fma_f32 v30, v42, v40, -v30
	v_fmac_f32_e32 v32, v43, v40
	v_mul_f32_e32 v35, v45, v47
	v_mul_f32_e32 v38, v44, v47
	v_mul_f32_e32 v40, v45, v49
	v_mul_f32_e32 v42, v44, v49
	v_add_f32_e32 v12, v12, v33
	v_add_f32_e32 v13, v13, v89
	v_add_f32_e32 v10, v10, v20
	v_add_f32_e32 v11, v11, v91
	v_add_f32_e32 v8, v8, v24
	v_add_f32_e32 v9, v9, v26
	v_add_f32_e32 v7, v7, v27
	v_add_f32_e32 v6, v6, v31
	v_fma_f32 v39, v36, v46, -v39
	v_fmac_f32_e32 v41, v37, v46
	v_fma_f32 v36, v36, v48, -v88
	v_fmac_f32_e32 v90, v37, v48
	v_mul_f32_e32 v37, v59, v51
	v_mul_f32_e32 v43, v58, v51
	v_mul_f32_e32 v47, v59, v53
	v_mul_f32_e32 v49, v58, v53
	v_fma_f32 v35, v44, v46, -v35
	v_fmac_f32_e32 v38, v45, v46
	v_fma_f32 v40, v44, v48, -v40
	v_fmac_f32_e32 v42, v45, v48
	v_mul_f32_e32 v44, v71, v51
	v_mul_f32_e32 v45, v70, v51
	v_mul_f32_e32 v46, v71, v53
	v_mul_f32_e32 v48, v70, v53
	v_add_f32_e32 v12, v12, v21
	v_add_f32_e32 v13, v13, v84
	v_add_f32_e32 v10, v10, v34
	v_add_f32_e32 v11, v11, v87
	v_add_f32_e32 v8, v8, v28
	v_add_f32_e32 v9, v9, v29
	v_add_f32_e32 v7, v7, v30
	v_add_f32_e32 v6, v6, v32
	v_mul_f32_e32 v51, v61, v55
	v_mul_f32_e32 v53, v60, v55
	v_mul_f32_e32 v86, v61, v57
	v_mul_f32_e32 v88, v60, v57
	v_fma_f32 v37, v58, v50, -v37
	v_fmac_f32_e32 v43, v59, v50
	v_fma_f32 v47, v58, v52, -v47
	v_fmac_f32_e32 v49, v59, v52
	v_fma_f32 v44, v70, v50, -v44
	v_fmac_f32_e32 v45, v71, v50
	v_fma_f32 v46, v70, v52, -v46
	v_fmac_f32_e32 v48, v71, v52
	v_mul_f32_e32 v50, v73, v55
	v_mul_f32_e32 v52, v72, v55
	v_mul_f32_e32 v55, v73, v57
	v_mul_f32_e32 v57, v72, v57
	v_add_f32_e32 v12, v12, v39
	v_add_f32_e32 v13, v13, v41
	v_add_f32_e32 v10, v10, v36
	v_add_f32_e32 v11, v11, v90
	v_add_f32_e32 v8, v8, v35
	v_add_f32_e32 v9, v9, v38
	v_add_f32_e32 v7, v7, v40
	v_add_f32_e32 v6, v6, v42
	;; [unrolled: 48-line block ×3, first 2 shown]
	v_fma_f32 v71, v64, v78, -v71
	v_fmac_f32_e32 v72, v65, v78
	v_fma_f32 v64, v64, v80, -v73
	v_fmac_f32_e32 v86, v65, v80
	;; [unrolled: 2-line block ×4, first 2 shown]
	v_add_f32_e32 v12, v12, v59
	v_add_f32_e32 v13, v13, v60
	;; [unrolled: 1-line block ×16, first 2 shown]
	s_cbranch_vccnz .LBB238_2
.LBB238_3:
	s_lshl_b64 s[0:1], s[30:31], 3
	v_add_co_u32 v0, s6, s6, v0
	s_waitcnt lgkmcnt(0)
	s_add_u32 s0, s8, s0
	s_addc_u32 s1, s9, s1
	v_add_co_u32 v4, s9, s10, v1
	s_or_b32 s8, s2, s3
	v_add_co_ci_u32_e64 v5, null, s11, 0, s9
	v_add_co_ci_u32_e64 v1, null, s7, 0, s6
	s_bitset0_b32 s8, 31
	s_mov_b32 s6, 0
	s_cmp_lg_u32 s8, 0
	s_cbranch_scc1 .LBB238_5
; %bb.4:
	v_mul_lo_u32 v14, v5, s28
	v_mul_lo_u32 v15, v4, s29
	v_mad_u64_u32 v[2:3], null, v4, s28, 0
	v_lshlrev_b64 v[17:18], 3, v[0:1]
	s_lshl_b64 s[8:9], s[28:29], 7
	v_mul_f32_e32 v19, s15, v13
	v_mul_f32_e32 v16, s14, v13
	;; [unrolled: 1-line block ×4, first 2 shown]
	v_add3_u32 v3, v3, v15, v14
	v_mul_f32_e32 v14, s15, v11
	v_fma_f32 v15, v12, s14, -v19
	v_mul_f32_e32 v24, s14, v9
	v_mul_f32_e32 v25, s15, v6
	v_lshlrev_b64 v[2:3], 3, v[2:3]
	v_fma_f32 v19, v10, s14, -v14
	v_mul_f32_e32 v14, s14, v6
	v_fmac_f32_e32 v16, s15, v12
	v_fmac_f32_e32 v20, s15, v10
	v_fma_f32 v23, v8, s14, -v23
	v_add_co_u32 v2, vcc_lo, s0, v2
	v_add_co_ci_u32_e64 v3, null, s1, v3, vcc_lo
	v_fmac_f32_e32 v14, s15, v7
	v_add_co_u32 v21, vcc_lo, v2, v17
	v_add_co_ci_u32_e64 v22, null, v3, v18, vcc_lo
	v_add_co_u32 v2, vcc_lo, v2, s8
	v_add_co_ci_u32_e64 v3, null, s9, v3, vcc_lo
	v_fmac_f32_e32 v24, s15, v8
	v_add_co_u32 v17, vcc_lo, v2, v17
	v_add_co_ci_u32_e64 v18, null, v3, v18, vcc_lo
	v_fma_f32 v25, v7, s14, -v25
	v_add_co_u32 v2, vcc_lo, 0x80, v17
	v_add_co_ci_u32_e64 v3, null, 0, v18, vcc_lo
	flat_store_dwordx2 v[21:22], v[15:16]
	flat_store_dwordx2 v[21:22], v[19:20] offset:128
	flat_store_dwordx2 v[17:18], v[23:24]
	flat_store_dword v[17:18], v25 offset:128
	s_andn2_b32 vcc_lo, exec_lo, s6
	s_cbranch_vccz .LBB238_6
	s_branch .LBB238_7
.LBB238_5:
                                        ; implicit-def: $vgpr14
                                        ; implicit-def: $vgpr2_vgpr3
.LBB238_6:
	v_mul_lo_u32 v14, v5, s38
	v_mul_lo_u32 v15, v4, s39
	v_mad_u64_u32 v[2:3], null, v4, s38, 0
	s_lshl_b64 s[6:7], s[40:41], 3
	v_lshlrev_b64 v[0:1], 3, v[0:1]
	s_add_u32 s4, s4, s6
	s_addc_u32 s5, s5, s7
	v_mul_lo_u32 v18, v5, s28
	v_mul_lo_u32 v19, v4, s29
	v_add3_u32 v3, v3, v15, v14
	v_mad_u64_u32 v[4:5], null, v4, s28, 0
	v_lshlrev_b64 v[2:3], 3, v[2:3]
	v_add3_u32 v5, v5, v19, v18
	v_mul_f32_e32 v18, s15, v13
	v_add_co_u32 v16, vcc_lo, s4, v2
	v_add_co_ci_u32_e64 v17, null, s5, v3, vcc_lo
	v_mul_f32_e32 v13, s14, v13
	v_add_co_u32 v2, vcc_lo, v16, v0
	v_add_co_ci_u32_e64 v3, null, v17, v1, vcc_lo
	v_lshlrev_b64 v[4:5], 3, v[4:5]
	v_fma_f32 v18, v12, s14, -v18
	v_fmac_f32_e32 v13, s15, v12
	flat_load_dwordx2 v[14:15], v[2:3]
	v_add_co_u32 v19, vcc_lo, s0, v4
	v_add_co_ci_u32_e64 v20, null, s1, v5, vcc_lo
	s_lshl_b64 s[0:1], s[38:39], 7
	v_add_co_u32 v4, vcc_lo, v19, v0
	v_add_co_ci_u32_e64 v5, null, v20, v1, vcc_lo
	s_waitcnt vmcnt(0) lgkmcnt(0)
	v_mul_f32_e32 v12, s3, v15
	v_mul_f32_e32 v15, s2, v15
	v_fma_f32 v12, v14, s2, -v12
	v_fmac_f32_e32 v15, s3, v14
	v_add_f32_e32 v12, v18, v12
	v_add_f32_e32 v13, v13, v15
	flat_store_dwordx2 v[4:5], v[12:13]
	flat_load_dwordx2 v[2:3], v[2:3] offset:128
	v_mul_f32_e32 v12, s15, v11
	v_mul_f32_e32 v11, s14, v11
	v_fma_f32 v12, v10, s14, -v12
	v_fmac_f32_e32 v11, s15, v10
	s_waitcnt vmcnt(0) lgkmcnt(0)
	v_mul_f32_e32 v13, s3, v3
	v_mul_f32_e32 v3, s2, v3
	v_fma_f32 v10, v2, s2, -v13
	v_add_co_u32 v13, vcc_lo, v16, s0
	v_fmac_f32_e32 v3, s3, v2
	v_add_co_ci_u32_e64 v14, null, s1, v17, vcc_lo
	v_add_f32_e32 v2, v12, v10
	v_add_co_u32 v10, vcc_lo, v13, v0
	v_add_f32_e32 v3, v11, v3
	v_add_co_ci_u32_e64 v11, null, v14, v1, vcc_lo
	s_lshl_b64 s[0:1], s[28:29], 7
	flat_store_dwordx2 v[4:5], v[2:3] offset:128
	flat_load_dwordx2 v[2:3], v[10:11]
	v_mul_f32_e32 v4, s15, v9
	v_mul_f32_e32 v5, s14, v9
	v_add_co_u32 v9, vcc_lo, v19, s0
	v_add_co_ci_u32_e64 v12, null, s1, v20, vcc_lo
	v_fma_f32 v4, v8, s14, -v4
	v_fmac_f32_e32 v5, s15, v8
	v_add_co_u32 v0, vcc_lo, v9, v0
	v_add_co_ci_u32_e64 v1, null, v12, v1, vcc_lo
	s_waitcnt vmcnt(0) lgkmcnt(0)
	v_mul_f32_e32 v8, s3, v3
	v_mul_f32_e32 v3, s2, v3
	v_fma_f32 v8, v2, s2, -v8
	v_fmac_f32_e32 v3, s3, v2
	v_add_f32_e32 v2, v4, v8
	v_add_f32_e32 v3, v5, v3
	v_mul_f32_e32 v4, s15, v6
	v_mul_f32_e32 v5, s14, v6
	flat_store_dwordx2 v[0:1], v[2:3]
	flat_load_dwordx2 v[2:3], v[10:11] offset:128
	v_fma_f32 v4, v7, s14, -v4
	v_fmac_f32_e32 v5, s15, v7
	s_waitcnt vmcnt(0) lgkmcnt(0)
	v_mul_f32_e32 v6, s3, v3
	v_mul_f32_e32 v3, s2, v3
	v_fma_f32 v6, v2, s2, -v6
	v_fmac_f32_e32 v3, s3, v2
	v_add_co_u32 v2, vcc_lo, 0x80, v0
	v_add_f32_e32 v4, v4, v6
	v_add_f32_e32 v14, v5, v3
	v_add_co_ci_u32_e64 v3, null, 0, v1, vcc_lo
	flat_store_dword v[0:1], v4 offset:128
.LBB238_7:
	flat_store_dword v[2:3], v14 offset:4
	s_endpgm
	.section	.rodata,"a",@progbits
	.p2align	6, 0x0
	.amdhsa_kernel _ZN12_GLOBAL__N_127rocblas_gemm_batched_kernelI19rocblas_complex_numIfELi16ELi16ELi32ELi32ELi8ELi32ELi8ELi8ELi32ELc67ELc84EKPKS2_S5_KPS2_EEvlllT_PT11_llSA_llS8_PT12_llPT13_lli
		.amdhsa_group_segment_fixed_size 4096
		.amdhsa_private_segment_fixed_size 0
		.amdhsa_kernarg_size 140
		.amdhsa_user_sgpr_count 6
		.amdhsa_user_sgpr_private_segment_buffer 1
		.amdhsa_user_sgpr_dispatch_ptr 0
		.amdhsa_user_sgpr_queue_ptr 0
		.amdhsa_user_sgpr_kernarg_segment_ptr 1
		.amdhsa_user_sgpr_dispatch_id 0
		.amdhsa_user_sgpr_flat_scratch_init 0
		.amdhsa_user_sgpr_private_segment_size 0
		.amdhsa_wavefront_size32 1
		.amdhsa_uses_dynamic_stack 0
		.amdhsa_system_sgpr_private_segment_wavefront_offset 0
		.amdhsa_system_sgpr_workgroup_id_x 1
		.amdhsa_system_sgpr_workgroup_id_y 1
		.amdhsa_system_sgpr_workgroup_id_z 1
		.amdhsa_system_sgpr_workgroup_info 0
		.amdhsa_system_vgpr_workitem_id 1
		.amdhsa_next_free_vgpr 92
		.amdhsa_next_free_sgpr 44
		.amdhsa_reserve_vcc 1
		.amdhsa_reserve_flat_scratch 0
		.amdhsa_float_round_mode_32 0
		.amdhsa_float_round_mode_16_64 0
		.amdhsa_float_denorm_mode_32 3
		.amdhsa_float_denorm_mode_16_64 3
		.amdhsa_dx10_clamp 1
		.amdhsa_ieee_mode 1
		.amdhsa_fp16_overflow 0
		.amdhsa_workgroup_processor_mode 1
		.amdhsa_memory_ordered 1
		.amdhsa_forward_progress 1
		.amdhsa_shared_vgpr_count 0
		.amdhsa_exception_fp_ieee_invalid_op 0
		.amdhsa_exception_fp_denorm_src 0
		.amdhsa_exception_fp_ieee_div_zero 0
		.amdhsa_exception_fp_ieee_overflow 0
		.amdhsa_exception_fp_ieee_underflow 0
		.amdhsa_exception_fp_ieee_inexact 0
		.amdhsa_exception_int_div_zero 0
	.end_amdhsa_kernel
	.section	.text._ZN12_GLOBAL__N_127rocblas_gemm_batched_kernelI19rocblas_complex_numIfELi16ELi16ELi32ELi32ELi8ELi32ELi8ELi8ELi32ELc67ELc84EKPKS2_S5_KPS2_EEvlllT_PT11_llSA_llS8_PT12_llPT13_lli,"axG",@progbits,_ZN12_GLOBAL__N_127rocblas_gemm_batched_kernelI19rocblas_complex_numIfELi16ELi16ELi32ELi32ELi8ELi32ELi8ELi8ELi32ELc67ELc84EKPKS2_S5_KPS2_EEvlllT_PT11_llSA_llS8_PT12_llPT13_lli,comdat
.Lfunc_end238:
	.size	_ZN12_GLOBAL__N_127rocblas_gemm_batched_kernelI19rocblas_complex_numIfELi16ELi16ELi32ELi32ELi8ELi32ELi8ELi8ELi32ELc67ELc84EKPKS2_S5_KPS2_EEvlllT_PT11_llSA_llS8_PT12_llPT13_lli, .Lfunc_end238-_ZN12_GLOBAL__N_127rocblas_gemm_batched_kernelI19rocblas_complex_numIfELi16ELi16ELi32ELi32ELi8ELi32ELi8ELi8ELi32ELc67ELc84EKPKS2_S5_KPS2_EEvlllT_PT11_llSA_llS8_PT12_llPT13_lli
                                        ; -- End function
	.set _ZN12_GLOBAL__N_127rocblas_gemm_batched_kernelI19rocblas_complex_numIfELi16ELi16ELi32ELi32ELi8ELi32ELi8ELi8ELi32ELc67ELc84EKPKS2_S5_KPS2_EEvlllT_PT11_llSA_llS8_PT12_llPT13_lli.num_vgpr, 92
	.set _ZN12_GLOBAL__N_127rocblas_gemm_batched_kernelI19rocblas_complex_numIfELi16ELi16ELi32ELi32ELi8ELi32ELi8ELi8ELi32ELc67ELc84EKPKS2_S5_KPS2_EEvlllT_PT11_llSA_llS8_PT12_llPT13_lli.num_agpr, 0
	.set _ZN12_GLOBAL__N_127rocblas_gemm_batched_kernelI19rocblas_complex_numIfELi16ELi16ELi32ELi32ELi8ELi32ELi8ELi8ELi32ELc67ELc84EKPKS2_S5_KPS2_EEvlllT_PT11_llSA_llS8_PT12_llPT13_lli.numbered_sgpr, 44
	.set _ZN12_GLOBAL__N_127rocblas_gemm_batched_kernelI19rocblas_complex_numIfELi16ELi16ELi32ELi32ELi8ELi32ELi8ELi8ELi32ELc67ELc84EKPKS2_S5_KPS2_EEvlllT_PT11_llSA_llS8_PT12_llPT13_lli.num_named_barrier, 0
	.set _ZN12_GLOBAL__N_127rocblas_gemm_batched_kernelI19rocblas_complex_numIfELi16ELi16ELi32ELi32ELi8ELi32ELi8ELi8ELi32ELc67ELc84EKPKS2_S5_KPS2_EEvlllT_PT11_llSA_llS8_PT12_llPT13_lli.private_seg_size, 0
	.set _ZN12_GLOBAL__N_127rocblas_gemm_batched_kernelI19rocblas_complex_numIfELi16ELi16ELi32ELi32ELi8ELi32ELi8ELi8ELi32ELc67ELc84EKPKS2_S5_KPS2_EEvlllT_PT11_llSA_llS8_PT12_llPT13_lli.uses_vcc, 1
	.set _ZN12_GLOBAL__N_127rocblas_gemm_batched_kernelI19rocblas_complex_numIfELi16ELi16ELi32ELi32ELi8ELi32ELi8ELi8ELi32ELc67ELc84EKPKS2_S5_KPS2_EEvlllT_PT11_llSA_llS8_PT12_llPT13_lli.uses_flat_scratch, 0
	.set _ZN12_GLOBAL__N_127rocblas_gemm_batched_kernelI19rocblas_complex_numIfELi16ELi16ELi32ELi32ELi8ELi32ELi8ELi8ELi32ELc67ELc84EKPKS2_S5_KPS2_EEvlllT_PT11_llSA_llS8_PT12_llPT13_lli.has_dyn_sized_stack, 0
	.set _ZN12_GLOBAL__N_127rocblas_gemm_batched_kernelI19rocblas_complex_numIfELi16ELi16ELi32ELi32ELi8ELi32ELi8ELi8ELi32ELc67ELc84EKPKS2_S5_KPS2_EEvlllT_PT11_llSA_llS8_PT12_llPT13_lli.has_recursion, 0
	.set _ZN12_GLOBAL__N_127rocblas_gemm_batched_kernelI19rocblas_complex_numIfELi16ELi16ELi32ELi32ELi8ELi32ELi8ELi8ELi32ELc67ELc84EKPKS2_S5_KPS2_EEvlllT_PT11_llSA_llS8_PT12_llPT13_lli.has_indirect_call, 0
	.section	.AMDGPU.csdata,"",@progbits
; Kernel info:
; codeLenInByte = 2512
; TotalNumSgprs: 46
; NumVgprs: 92
; ScratchSize: 0
; MemoryBound: 0
; FloatMode: 240
; IeeeMode: 1
; LDSByteSize: 4096 bytes/workgroup (compile time only)
; SGPRBlocks: 0
; VGPRBlocks: 11
; NumSGPRsForWavesPerEU: 46
; NumVGPRsForWavesPerEU: 92
; Occupancy: 10
; WaveLimiterHint : 1
; COMPUTE_PGM_RSRC2:SCRATCH_EN: 0
; COMPUTE_PGM_RSRC2:USER_SGPR: 6
; COMPUTE_PGM_RSRC2:TRAP_HANDLER: 0
; COMPUTE_PGM_RSRC2:TGID_X_EN: 1
; COMPUTE_PGM_RSRC2:TGID_Y_EN: 1
; COMPUTE_PGM_RSRC2:TGID_Z_EN: 1
; COMPUTE_PGM_RSRC2:TIDIG_COMP_CNT: 1
	.section	.text._ZN12_GLOBAL__N_127rocblas_gemm_batched_kernelI19rocblas_complex_numIfELi16ELi16ELi32ELi32ELi8ELi32ELi8ELi8ELi32ELc78ELc67EKPKS2_S5_KPS2_EEvlllT_PT11_llSA_llS8_PT12_llPT13_lli,"axG",@progbits,_ZN12_GLOBAL__N_127rocblas_gemm_batched_kernelI19rocblas_complex_numIfELi16ELi16ELi32ELi32ELi8ELi32ELi8ELi8ELi32ELc78ELc67EKPKS2_S5_KPS2_EEvlllT_PT11_llSA_llS8_PT12_llPT13_lli,comdat
	.globl	_ZN12_GLOBAL__N_127rocblas_gemm_batched_kernelI19rocblas_complex_numIfELi16ELi16ELi32ELi32ELi8ELi32ELi8ELi8ELi32ELc78ELc67EKPKS2_S5_KPS2_EEvlllT_PT11_llSA_llS8_PT12_llPT13_lli ; -- Begin function _ZN12_GLOBAL__N_127rocblas_gemm_batched_kernelI19rocblas_complex_numIfELi16ELi16ELi32ELi32ELi8ELi32ELi8ELi8ELi32ELc78ELc67EKPKS2_S5_KPS2_EEvlllT_PT11_llSA_llS8_PT12_llPT13_lli
	.p2align	8
	.type	_ZN12_GLOBAL__N_127rocblas_gemm_batched_kernelI19rocblas_complex_numIfELi16ELi16ELi32ELi32ELi8ELi32ELi8ELi8ELi32ELc78ELc67EKPKS2_S5_KPS2_EEvlllT_PT11_llSA_llS8_PT12_llPT13_lli,@function
_ZN12_GLOBAL__N_127rocblas_gemm_batched_kernelI19rocblas_complex_numIfELi16ELi16ELi32ELi32ELi8ELi32ELi8ELi8ELi32ELc78ELc67EKPKS2_S5_KPS2_EEvlllT_PT11_llSA_llS8_PT12_llPT13_lli: ; @_ZN12_GLOBAL__N_127rocblas_gemm_batched_kernelI19rocblas_complex_numIfELi16ELi16ELi32ELi32ELi8ELi32ELi8ELi8ELi32ELc78ELc67EKPKS2_S5_KPS2_EEvlllT_PT11_llSA_llS8_PT12_llPT13_lli
; %bb.0:
	s_clause 0x1
	s_load_dwordx8 s[36:43], s[4:5], 0x58
	s_load_dwordx16 s[12:27], s[4:5], 0x10
	s_mov_b32 s9, 0
	s_clause 0x1
	s_load_dwordx4 s[28:31], s[4:5], 0x78
	s_load_dwordx2 s[2:3], s[4:5], 0x50
	s_lshl_b64 s[0:1], s[8:9], 3
	s_mov_b32 s10, s7
	v_mov_b32_e32 v12, 0
	v_mov_b32_e32 v13, 0
	;; [unrolled: 1-line block ×8, first 2 shown]
	s_waitcnt lgkmcnt(0)
	s_add_u32 s4, s36, s0
	s_addc_u32 s5, s37, s1
	s_add_u32 s8, s42, s0
	s_addc_u32 s9, s43, s1
	s_load_dwordx2 s[4:5], s[4:5], 0x0
	s_load_dwordx2 s[8:9], s[8:9], 0x0
	v_cmp_lt_i64_e64 s33, s[12:13], 1
	s_ashr_i32 s7, s6, 31
	s_ashr_i32 s11, s10, 31
	s_lshl_b64 s[6:7], s[6:7], 5
	s_lshl_b64 s[10:11], s[10:11], 5
	s_and_b32 vcc_lo, exec_lo, s33
	s_cbranch_vccnz .LBB239_3
; %bb.1:
	v_lshl_add_u32 v9, v1, 4, v0
	v_and_b32_e32 v11, 7, v0
	s_add_u32 s16, s16, s0
	s_addc_u32 s17, s17, s1
	s_add_u32 s0, s22, s0
	v_lshrrev_b32_e32 v10, 3, v9
	v_lshrrev_b32_e32 v12, 5, v9
	s_addc_u32 s1, s23, s1
	s_load_dwordx2 s[16:17], s[16:17], 0x0
	s_load_dwordx2 s[0:1], s[0:1], 0x0
	s_lshl_b64 s[20:21], s[20:21], 3
	v_add_co_u32 v2, s33, v10, s10
	v_add_co_ci_u32_e64 v3, null, 0, s11, s33
	v_mad_u64_u32 v[4:5], null, s18, v12, s[6:7]
	v_lshlrev_b32_e32 v13, 3, v11
	v_mad_u64_u32 v[7:8], null, s24, v11, v[2:3]
	v_mov_b32_e32 v6, 0
	v_lshlrev_b32_e32 v14, 3, v0
	v_lshl_or_b32 v10, v10, 6, v13
	v_mov_b32_e32 v2, v5
	v_and_b32_e32 v5, 31, v9
	v_lshl_add_u32 v17, v1, 6, 0x800
	v_mov_b32_e32 v3, v8
	v_add_nc_u32_e32 v16, 0x800, v10
	s_waitcnt lgkmcnt(0)
	s_add_u32 s16, s16, s20
	s_addc_u32 s17, s17, s21
	s_lshl_b64 s[20:21], s[26:27], 3
	v_mad_u64_u32 v[8:9], null, s19, v12, v[2:3]
	v_mad_u64_u32 v[2:3], null, s25, v11, v[3:4]
	v_add_co_u32 v3, vcc_lo, v4, v5
	v_lshlrev_b32_e32 v9, 3, v5
	v_mov_b32_e32 v11, 0
	v_add_co_ci_u32_e64 v4, null, 0, v8, vcc_lo
	v_mov_b32_e32 v8, v2
	v_lshl_or_b32 v15, v12, 8, v9
	v_mov_b32_e32 v9, 0
	v_lshlrev_b64 v[2:3], 3, v[3:4]
	v_mov_b32_e32 v10, 0
	v_lshlrev_b64 v[4:5], 3, v[7:8]
	v_mov_b32_e32 v7, 0
	v_mov_b32_e32 v8, 0
	;; [unrolled: 1-line block ×3, first 2 shown]
	v_add_co_u32 v2, vcc_lo, s16, v2
	v_add_co_ci_u32_e64 v3, null, s17, v3, vcc_lo
	s_lshl_b64 s[16:17], s[18:19], 6
	s_add_u32 s0, s0, s20
	s_addc_u32 s1, s1, s21
	v_add_co_u32 v4, vcc_lo, s0, v4
	v_add_co_ci_u32_e64 v5, null, s1, v5, vcc_lo
	v_mov_b32_e32 v12, 0
	s_lshl_b64 s[18:19], s[24:25], 6
	s_mov_b64 s[20:21], 0
.LBB239_2:                              ; =>This Inner Loop Header: Depth=1
	flat_load_dwordx2 v[18:19], v[2:3]
	s_add_u32 s20, s20, 8
	s_addc_u32 s21, s21, 0
	v_add_co_u32 v2, vcc_lo, v2, s16
	v_cmp_lt_i64_e64 s0, s[20:21], s[12:13]
	v_add_co_ci_u32_e64 v3, null, s17, v3, vcc_lo
	s_and_b32 vcc_lo, exec_lo, s0
	s_waitcnt vmcnt(0) lgkmcnt(0)
	ds_write_b64 v15, v[18:19]
	flat_load_dwordx2 v[18:19], v[4:5]
	v_add_co_u32 v4, s0, v4, s18
	v_add_co_ci_u32_e64 v5, null, s19, v5, s0
	s_waitcnt vmcnt(0) lgkmcnt(0)
	v_xor_b32_e32 v19, 0x80000000, v19
	ds_write_b64 v16, v[18:19]
	s_waitcnt lgkmcnt(0)
	s_barrier
	buffer_gl0_inv
	ds_read_b128 v[18:21], v17
	ds_read2_b64 v[22:25], v14 offset1:16
	ds_read_b128 v[26:29], v17 offset:1024
	ds_read2_b64 v[30:33], v14 offset0:32 offset1:48
	ds_read_b128 v[34:37], v17 offset:16
	ds_read2_b64 v[38:41], v14 offset0:64 offset1:80
	;; [unrolled: 2-line block ×3, first 2 shown]
	ds_read2_b64 v[50:53], v14 offset0:128 offset1:144
	ds_read2_b64 v[54:57], v14 offset0:160 offset1:176
	ds_read_b128 v[58:61], v17 offset:32
	ds_read_b128 v[62:65], v17 offset:48
	ds_read2_b64 v[66:69], v14 offset0:192 offset1:208
	ds_read_b128 v[70:73], v17 offset:1056
	ds_read_b128 v[74:77], v17 offset:1072
	ds_read2_b64 v[78:81], v14 offset0:224 offset1:240
	s_waitcnt lgkmcnt(0)
	s_barrier
	buffer_gl0_inv
	v_mul_f32_e32 v82, v19, v23
	v_mul_f32_e32 v83, v18, v23
	;; [unrolled: 1-line block ×12, first 2 shown]
	v_fma_f32 v82, v18, v22, -v82
	v_fmac_f32_e32 v83, v19, v22
	v_fma_f32 v18, v18, v24, -v84
	v_fmac_f32_e32 v85, v19, v24
	;; [unrolled: 2-line block ×4, first 2 shown]
	v_mul_f32_e32 v24, v29, v31
	v_mul_f32_e32 v26, v28, v31
	;; [unrolled: 1-line block ×4, first 2 shown]
	v_fma_f32 v33, v20, v30, -v88
	v_fmac_f32_e32 v89, v21, v30
	v_fma_f32 v20, v20, v32, -v90
	v_fmac_f32_e32 v91, v21, v32
	v_mul_f32_e32 v21, v35, v39
	v_mul_f32_e32 v84, v34, v39
	v_mul_f32_e32 v86, v35, v41
	v_mul_f32_e32 v87, v34, v41
	v_fma_f32 v24, v28, v30, -v24
	v_fmac_f32_e32 v26, v29, v30
	v_fma_f32 v27, v28, v32, -v27
	v_fmac_f32_e32 v31, v29, v32
	v_mul_f32_e32 v28, v43, v39
	v_mul_f32_e32 v29, v42, v39
	v_mul_f32_e32 v30, v43, v41
	v_mul_f32_e32 v32, v42, v41
	v_add_f32_e32 v12, v12, v82
	v_add_f32_e32 v13, v13, v83
	v_add_f32_e32 v10, v10, v18
	v_add_f32_e32 v11, v11, v85
	v_add_f32_e32 v8, v8, v19
	v_add_f32_e32 v9, v9, v23
	v_add_f32_e32 v7, v7, v22
	v_add_f32_e32 v6, v6, v25
	v_mul_f32_e32 v39, v37, v47
	v_mul_f32_e32 v41, v36, v47
	v_mul_f32_e32 v88, v37, v49
	v_mul_f32_e32 v90, v36, v49
	v_fma_f32 v21, v34, v38, -v21
	v_fmac_f32_e32 v84, v35, v38
	v_fma_f32 v34, v34, v40, -v86
	v_fmac_f32_e32 v87, v35, v40
	v_fma_f32 v28, v42, v38, -v28
	v_fmac_f32_e32 v29, v43, v38
	v_fma_f32 v30, v42, v40, -v30
	v_fmac_f32_e32 v32, v43, v40
	v_mul_f32_e32 v35, v45, v47
	v_mul_f32_e32 v38, v44, v47
	v_mul_f32_e32 v40, v45, v49
	v_mul_f32_e32 v42, v44, v49
	v_add_f32_e32 v12, v12, v33
	v_add_f32_e32 v13, v13, v89
	v_add_f32_e32 v10, v10, v20
	v_add_f32_e32 v11, v11, v91
	v_add_f32_e32 v8, v8, v24
	v_add_f32_e32 v9, v9, v26
	v_add_f32_e32 v7, v7, v27
	v_add_f32_e32 v6, v6, v31
	v_fma_f32 v39, v36, v46, -v39
	v_fmac_f32_e32 v41, v37, v46
	v_fma_f32 v36, v36, v48, -v88
	v_fmac_f32_e32 v90, v37, v48
	v_mul_f32_e32 v37, v59, v51
	v_mul_f32_e32 v43, v58, v51
	v_mul_f32_e32 v47, v59, v53
	v_mul_f32_e32 v49, v58, v53
	v_fma_f32 v35, v44, v46, -v35
	v_fmac_f32_e32 v38, v45, v46
	v_fma_f32 v40, v44, v48, -v40
	v_fmac_f32_e32 v42, v45, v48
	v_mul_f32_e32 v44, v71, v51
	v_mul_f32_e32 v45, v70, v51
	v_mul_f32_e32 v46, v71, v53
	v_mul_f32_e32 v48, v70, v53
	v_add_f32_e32 v12, v12, v21
	v_add_f32_e32 v13, v13, v84
	v_add_f32_e32 v10, v10, v34
	v_add_f32_e32 v11, v11, v87
	v_add_f32_e32 v8, v8, v28
	v_add_f32_e32 v9, v9, v29
	v_add_f32_e32 v7, v7, v30
	v_add_f32_e32 v6, v6, v32
	v_mul_f32_e32 v51, v61, v55
	v_mul_f32_e32 v53, v60, v55
	v_mul_f32_e32 v86, v61, v57
	v_mul_f32_e32 v88, v60, v57
	v_fma_f32 v37, v58, v50, -v37
	v_fmac_f32_e32 v43, v59, v50
	v_fma_f32 v47, v58, v52, -v47
	v_fmac_f32_e32 v49, v59, v52
	v_fma_f32 v44, v70, v50, -v44
	v_fmac_f32_e32 v45, v71, v50
	v_fma_f32 v46, v70, v52, -v46
	v_fmac_f32_e32 v48, v71, v52
	v_mul_f32_e32 v50, v73, v55
	v_mul_f32_e32 v52, v72, v55
	v_mul_f32_e32 v55, v73, v57
	v_mul_f32_e32 v57, v72, v57
	v_add_f32_e32 v12, v12, v39
	v_add_f32_e32 v13, v13, v41
	v_add_f32_e32 v10, v10, v36
	v_add_f32_e32 v11, v11, v90
	v_add_f32_e32 v8, v8, v35
	v_add_f32_e32 v9, v9, v38
	v_add_f32_e32 v7, v7, v40
	v_add_f32_e32 v6, v6, v42
	;; [unrolled: 48-line block ×3, first 2 shown]
	v_fma_f32 v71, v64, v78, -v71
	v_fmac_f32_e32 v72, v65, v78
	v_fma_f32 v64, v64, v80, -v73
	v_fmac_f32_e32 v86, v65, v80
	;; [unrolled: 2-line block ×4, first 2 shown]
	v_add_f32_e32 v12, v12, v59
	v_add_f32_e32 v13, v13, v60
	v_add_f32_e32 v10, v10, v61
	v_add_f32_e32 v11, v11, v70
	v_add_f32_e32 v8, v8, v55
	v_add_f32_e32 v9, v9, v56
	v_add_f32_e32 v7, v7, v62
	v_add_f32_e32 v6, v6, v69
	v_add_f32_e32 v12, v12, v71
	v_add_f32_e32 v13, v13, v72
	v_add_f32_e32 v10, v10, v64
	v_add_f32_e32 v11, v11, v86
	v_add_f32_e32 v8, v8, v63
	v_add_f32_e32 v9, v9, v66
	v_add_f32_e32 v7, v7, v65
	v_add_f32_e32 v6, v6, v68
	s_cbranch_vccnz .LBB239_2
.LBB239_3:
	s_lshl_b64 s[0:1], s[30:31], 3
	v_add_co_u32 v0, s6, s6, v0
	s_waitcnt lgkmcnt(0)
	s_add_u32 s0, s8, s0
	s_addc_u32 s1, s9, s1
	v_add_co_u32 v4, s9, s10, v1
	s_or_b32 s8, s2, s3
	v_add_co_ci_u32_e64 v5, null, s11, 0, s9
	v_add_co_ci_u32_e64 v1, null, s7, 0, s6
	s_bitset0_b32 s8, 31
	s_mov_b32 s6, 0
	s_cmp_lg_u32 s8, 0
	s_cbranch_scc1 .LBB239_5
; %bb.4:
	v_mul_lo_u32 v14, v5, s28
	v_mul_lo_u32 v15, v4, s29
	v_mad_u64_u32 v[2:3], null, v4, s28, 0
	v_lshlrev_b64 v[17:18], 3, v[0:1]
	s_lshl_b64 s[8:9], s[28:29], 7
	v_mul_f32_e32 v19, s15, v13
	v_mul_f32_e32 v16, s14, v13
	v_mul_f32_e32 v20, s14, v11
	v_mul_f32_e32 v23, s15, v9
	v_add3_u32 v3, v3, v15, v14
	v_mul_f32_e32 v14, s15, v11
	v_fma_f32 v15, v12, s14, -v19
	v_mul_f32_e32 v24, s14, v9
	v_mul_f32_e32 v25, s15, v6
	v_lshlrev_b64 v[2:3], 3, v[2:3]
	v_fma_f32 v19, v10, s14, -v14
	v_mul_f32_e32 v14, s14, v6
	v_fmac_f32_e32 v16, s15, v12
	v_fmac_f32_e32 v20, s15, v10
	v_fma_f32 v23, v8, s14, -v23
	v_add_co_u32 v2, vcc_lo, s0, v2
	v_add_co_ci_u32_e64 v3, null, s1, v3, vcc_lo
	v_fmac_f32_e32 v14, s15, v7
	v_add_co_u32 v21, vcc_lo, v2, v17
	v_add_co_ci_u32_e64 v22, null, v3, v18, vcc_lo
	v_add_co_u32 v2, vcc_lo, v2, s8
	v_add_co_ci_u32_e64 v3, null, s9, v3, vcc_lo
	v_fmac_f32_e32 v24, s15, v8
	v_add_co_u32 v17, vcc_lo, v2, v17
	v_add_co_ci_u32_e64 v18, null, v3, v18, vcc_lo
	v_fma_f32 v25, v7, s14, -v25
	v_add_co_u32 v2, vcc_lo, 0x80, v17
	v_add_co_ci_u32_e64 v3, null, 0, v18, vcc_lo
	flat_store_dwordx2 v[21:22], v[15:16]
	flat_store_dwordx2 v[21:22], v[19:20] offset:128
	flat_store_dwordx2 v[17:18], v[23:24]
	flat_store_dword v[17:18], v25 offset:128
	s_andn2_b32 vcc_lo, exec_lo, s6
	s_cbranch_vccz .LBB239_6
	s_branch .LBB239_7
.LBB239_5:
                                        ; implicit-def: $vgpr14
                                        ; implicit-def: $vgpr2_vgpr3
.LBB239_6:
	v_mul_lo_u32 v14, v5, s38
	v_mul_lo_u32 v15, v4, s39
	v_mad_u64_u32 v[2:3], null, v4, s38, 0
	s_lshl_b64 s[6:7], s[40:41], 3
	v_lshlrev_b64 v[0:1], 3, v[0:1]
	s_add_u32 s4, s4, s6
	s_addc_u32 s5, s5, s7
	v_mul_lo_u32 v18, v5, s28
	v_mul_lo_u32 v19, v4, s29
	v_add3_u32 v3, v3, v15, v14
	v_mad_u64_u32 v[4:5], null, v4, s28, 0
	v_lshlrev_b64 v[2:3], 3, v[2:3]
	v_add3_u32 v5, v5, v19, v18
	v_mul_f32_e32 v18, s15, v13
	v_add_co_u32 v16, vcc_lo, s4, v2
	v_add_co_ci_u32_e64 v17, null, s5, v3, vcc_lo
	v_mul_f32_e32 v13, s14, v13
	v_add_co_u32 v2, vcc_lo, v16, v0
	v_add_co_ci_u32_e64 v3, null, v17, v1, vcc_lo
	v_lshlrev_b64 v[4:5], 3, v[4:5]
	v_fma_f32 v18, v12, s14, -v18
	v_fmac_f32_e32 v13, s15, v12
	flat_load_dwordx2 v[14:15], v[2:3]
	v_add_co_u32 v19, vcc_lo, s0, v4
	v_add_co_ci_u32_e64 v20, null, s1, v5, vcc_lo
	s_lshl_b64 s[0:1], s[38:39], 7
	v_add_co_u32 v4, vcc_lo, v19, v0
	v_add_co_ci_u32_e64 v5, null, v20, v1, vcc_lo
	s_waitcnt vmcnt(0) lgkmcnt(0)
	v_mul_f32_e32 v12, s3, v15
	v_mul_f32_e32 v15, s2, v15
	v_fma_f32 v12, v14, s2, -v12
	v_fmac_f32_e32 v15, s3, v14
	v_add_f32_e32 v12, v18, v12
	v_add_f32_e32 v13, v13, v15
	flat_store_dwordx2 v[4:5], v[12:13]
	flat_load_dwordx2 v[2:3], v[2:3] offset:128
	v_mul_f32_e32 v12, s15, v11
	v_mul_f32_e32 v11, s14, v11
	v_fma_f32 v12, v10, s14, -v12
	v_fmac_f32_e32 v11, s15, v10
	s_waitcnt vmcnt(0) lgkmcnt(0)
	v_mul_f32_e32 v13, s3, v3
	v_mul_f32_e32 v3, s2, v3
	v_fma_f32 v10, v2, s2, -v13
	v_add_co_u32 v13, vcc_lo, v16, s0
	v_fmac_f32_e32 v3, s3, v2
	v_add_co_ci_u32_e64 v14, null, s1, v17, vcc_lo
	v_add_f32_e32 v2, v12, v10
	v_add_co_u32 v10, vcc_lo, v13, v0
	v_add_f32_e32 v3, v11, v3
	v_add_co_ci_u32_e64 v11, null, v14, v1, vcc_lo
	s_lshl_b64 s[0:1], s[28:29], 7
	flat_store_dwordx2 v[4:5], v[2:3] offset:128
	flat_load_dwordx2 v[2:3], v[10:11]
	v_mul_f32_e32 v4, s15, v9
	v_mul_f32_e32 v5, s14, v9
	v_add_co_u32 v9, vcc_lo, v19, s0
	v_add_co_ci_u32_e64 v12, null, s1, v20, vcc_lo
	v_fma_f32 v4, v8, s14, -v4
	v_fmac_f32_e32 v5, s15, v8
	v_add_co_u32 v0, vcc_lo, v9, v0
	v_add_co_ci_u32_e64 v1, null, v12, v1, vcc_lo
	s_waitcnt vmcnt(0) lgkmcnt(0)
	v_mul_f32_e32 v8, s3, v3
	v_mul_f32_e32 v3, s2, v3
	v_fma_f32 v8, v2, s2, -v8
	v_fmac_f32_e32 v3, s3, v2
	v_add_f32_e32 v2, v4, v8
	v_add_f32_e32 v3, v5, v3
	v_mul_f32_e32 v4, s15, v6
	v_mul_f32_e32 v5, s14, v6
	flat_store_dwordx2 v[0:1], v[2:3]
	flat_load_dwordx2 v[2:3], v[10:11] offset:128
	v_fma_f32 v4, v7, s14, -v4
	v_fmac_f32_e32 v5, s15, v7
	s_waitcnt vmcnt(0) lgkmcnt(0)
	v_mul_f32_e32 v6, s3, v3
	v_mul_f32_e32 v3, s2, v3
	v_fma_f32 v6, v2, s2, -v6
	v_fmac_f32_e32 v3, s3, v2
	v_add_co_u32 v2, vcc_lo, 0x80, v0
	v_add_f32_e32 v4, v4, v6
	v_add_f32_e32 v14, v5, v3
	v_add_co_ci_u32_e64 v3, null, 0, v1, vcc_lo
	flat_store_dword v[0:1], v4 offset:128
.LBB239_7:
	flat_store_dword v[2:3], v14 offset:4
	s_endpgm
	.section	.rodata,"a",@progbits
	.p2align	6, 0x0
	.amdhsa_kernel _ZN12_GLOBAL__N_127rocblas_gemm_batched_kernelI19rocblas_complex_numIfELi16ELi16ELi32ELi32ELi8ELi32ELi8ELi8ELi32ELc78ELc67EKPKS2_S5_KPS2_EEvlllT_PT11_llSA_llS8_PT12_llPT13_lli
		.amdhsa_group_segment_fixed_size 4096
		.amdhsa_private_segment_fixed_size 0
		.amdhsa_kernarg_size 140
		.amdhsa_user_sgpr_count 6
		.amdhsa_user_sgpr_private_segment_buffer 1
		.amdhsa_user_sgpr_dispatch_ptr 0
		.amdhsa_user_sgpr_queue_ptr 0
		.amdhsa_user_sgpr_kernarg_segment_ptr 1
		.amdhsa_user_sgpr_dispatch_id 0
		.amdhsa_user_sgpr_flat_scratch_init 0
		.amdhsa_user_sgpr_private_segment_size 0
		.amdhsa_wavefront_size32 1
		.amdhsa_uses_dynamic_stack 0
		.amdhsa_system_sgpr_private_segment_wavefront_offset 0
		.amdhsa_system_sgpr_workgroup_id_x 1
		.amdhsa_system_sgpr_workgroup_id_y 1
		.amdhsa_system_sgpr_workgroup_id_z 1
		.amdhsa_system_sgpr_workgroup_info 0
		.amdhsa_system_vgpr_workitem_id 1
		.amdhsa_next_free_vgpr 92
		.amdhsa_next_free_sgpr 44
		.amdhsa_reserve_vcc 1
		.amdhsa_reserve_flat_scratch 0
		.amdhsa_float_round_mode_32 0
		.amdhsa_float_round_mode_16_64 0
		.amdhsa_float_denorm_mode_32 3
		.amdhsa_float_denorm_mode_16_64 3
		.amdhsa_dx10_clamp 1
		.amdhsa_ieee_mode 1
		.amdhsa_fp16_overflow 0
		.amdhsa_workgroup_processor_mode 1
		.amdhsa_memory_ordered 1
		.amdhsa_forward_progress 1
		.amdhsa_shared_vgpr_count 0
		.amdhsa_exception_fp_ieee_invalid_op 0
		.amdhsa_exception_fp_denorm_src 0
		.amdhsa_exception_fp_ieee_div_zero 0
		.amdhsa_exception_fp_ieee_overflow 0
		.amdhsa_exception_fp_ieee_underflow 0
		.amdhsa_exception_fp_ieee_inexact 0
		.amdhsa_exception_int_div_zero 0
	.end_amdhsa_kernel
	.section	.text._ZN12_GLOBAL__N_127rocblas_gemm_batched_kernelI19rocblas_complex_numIfELi16ELi16ELi32ELi32ELi8ELi32ELi8ELi8ELi32ELc78ELc67EKPKS2_S5_KPS2_EEvlllT_PT11_llSA_llS8_PT12_llPT13_lli,"axG",@progbits,_ZN12_GLOBAL__N_127rocblas_gemm_batched_kernelI19rocblas_complex_numIfELi16ELi16ELi32ELi32ELi8ELi32ELi8ELi8ELi32ELc78ELc67EKPKS2_S5_KPS2_EEvlllT_PT11_llSA_llS8_PT12_llPT13_lli,comdat
.Lfunc_end239:
	.size	_ZN12_GLOBAL__N_127rocblas_gemm_batched_kernelI19rocblas_complex_numIfELi16ELi16ELi32ELi32ELi8ELi32ELi8ELi8ELi32ELc78ELc67EKPKS2_S5_KPS2_EEvlllT_PT11_llSA_llS8_PT12_llPT13_lli, .Lfunc_end239-_ZN12_GLOBAL__N_127rocblas_gemm_batched_kernelI19rocblas_complex_numIfELi16ELi16ELi32ELi32ELi8ELi32ELi8ELi8ELi32ELc78ELc67EKPKS2_S5_KPS2_EEvlllT_PT11_llSA_llS8_PT12_llPT13_lli
                                        ; -- End function
	.set _ZN12_GLOBAL__N_127rocblas_gemm_batched_kernelI19rocblas_complex_numIfELi16ELi16ELi32ELi32ELi8ELi32ELi8ELi8ELi32ELc78ELc67EKPKS2_S5_KPS2_EEvlllT_PT11_llSA_llS8_PT12_llPT13_lli.num_vgpr, 92
	.set _ZN12_GLOBAL__N_127rocblas_gemm_batched_kernelI19rocblas_complex_numIfELi16ELi16ELi32ELi32ELi8ELi32ELi8ELi8ELi32ELc78ELc67EKPKS2_S5_KPS2_EEvlllT_PT11_llSA_llS8_PT12_llPT13_lli.num_agpr, 0
	.set _ZN12_GLOBAL__N_127rocblas_gemm_batched_kernelI19rocblas_complex_numIfELi16ELi16ELi32ELi32ELi8ELi32ELi8ELi8ELi32ELc78ELc67EKPKS2_S5_KPS2_EEvlllT_PT11_llSA_llS8_PT12_llPT13_lli.numbered_sgpr, 44
	.set _ZN12_GLOBAL__N_127rocblas_gemm_batched_kernelI19rocblas_complex_numIfELi16ELi16ELi32ELi32ELi8ELi32ELi8ELi8ELi32ELc78ELc67EKPKS2_S5_KPS2_EEvlllT_PT11_llSA_llS8_PT12_llPT13_lli.num_named_barrier, 0
	.set _ZN12_GLOBAL__N_127rocblas_gemm_batched_kernelI19rocblas_complex_numIfELi16ELi16ELi32ELi32ELi8ELi32ELi8ELi8ELi32ELc78ELc67EKPKS2_S5_KPS2_EEvlllT_PT11_llSA_llS8_PT12_llPT13_lli.private_seg_size, 0
	.set _ZN12_GLOBAL__N_127rocblas_gemm_batched_kernelI19rocblas_complex_numIfELi16ELi16ELi32ELi32ELi8ELi32ELi8ELi8ELi32ELc78ELc67EKPKS2_S5_KPS2_EEvlllT_PT11_llSA_llS8_PT12_llPT13_lli.uses_vcc, 1
	.set _ZN12_GLOBAL__N_127rocblas_gemm_batched_kernelI19rocblas_complex_numIfELi16ELi16ELi32ELi32ELi8ELi32ELi8ELi8ELi32ELc78ELc67EKPKS2_S5_KPS2_EEvlllT_PT11_llSA_llS8_PT12_llPT13_lli.uses_flat_scratch, 0
	.set _ZN12_GLOBAL__N_127rocblas_gemm_batched_kernelI19rocblas_complex_numIfELi16ELi16ELi32ELi32ELi8ELi32ELi8ELi8ELi32ELc78ELc67EKPKS2_S5_KPS2_EEvlllT_PT11_llSA_llS8_PT12_llPT13_lli.has_dyn_sized_stack, 0
	.set _ZN12_GLOBAL__N_127rocblas_gemm_batched_kernelI19rocblas_complex_numIfELi16ELi16ELi32ELi32ELi8ELi32ELi8ELi8ELi32ELc78ELc67EKPKS2_S5_KPS2_EEvlllT_PT11_llSA_llS8_PT12_llPT13_lli.has_recursion, 0
	.set _ZN12_GLOBAL__N_127rocblas_gemm_batched_kernelI19rocblas_complex_numIfELi16ELi16ELi32ELi32ELi8ELi32ELi8ELi8ELi32ELc78ELc67EKPKS2_S5_KPS2_EEvlllT_PT11_llSA_llS8_PT12_llPT13_lli.has_indirect_call, 0
	.section	.AMDGPU.csdata,"",@progbits
; Kernel info:
; codeLenInByte = 2480
; TotalNumSgprs: 46
; NumVgprs: 92
; ScratchSize: 0
; MemoryBound: 0
; FloatMode: 240
; IeeeMode: 1
; LDSByteSize: 4096 bytes/workgroup (compile time only)
; SGPRBlocks: 0
; VGPRBlocks: 11
; NumSGPRsForWavesPerEU: 46
; NumVGPRsForWavesPerEU: 92
; Occupancy: 10
; WaveLimiterHint : 1
; COMPUTE_PGM_RSRC2:SCRATCH_EN: 0
; COMPUTE_PGM_RSRC2:USER_SGPR: 6
; COMPUTE_PGM_RSRC2:TRAP_HANDLER: 0
; COMPUTE_PGM_RSRC2:TGID_X_EN: 1
; COMPUTE_PGM_RSRC2:TGID_Y_EN: 1
; COMPUTE_PGM_RSRC2:TGID_Z_EN: 1
; COMPUTE_PGM_RSRC2:TIDIG_COMP_CNT: 1
	.section	.text._ZN12_GLOBAL__N_127rocblas_gemm_batched_kernelI19rocblas_complex_numIfELi16ELi16ELi32ELi32ELi8ELi32ELi8ELi8ELi32ELc84ELc67EKPKS2_S5_KPS2_EEvlllT_PT11_llSA_llS8_PT12_llPT13_lli,"axG",@progbits,_ZN12_GLOBAL__N_127rocblas_gemm_batched_kernelI19rocblas_complex_numIfELi16ELi16ELi32ELi32ELi8ELi32ELi8ELi8ELi32ELc84ELc67EKPKS2_S5_KPS2_EEvlllT_PT11_llSA_llS8_PT12_llPT13_lli,comdat
	.globl	_ZN12_GLOBAL__N_127rocblas_gemm_batched_kernelI19rocblas_complex_numIfELi16ELi16ELi32ELi32ELi8ELi32ELi8ELi8ELi32ELc84ELc67EKPKS2_S5_KPS2_EEvlllT_PT11_llSA_llS8_PT12_llPT13_lli ; -- Begin function _ZN12_GLOBAL__N_127rocblas_gemm_batched_kernelI19rocblas_complex_numIfELi16ELi16ELi32ELi32ELi8ELi32ELi8ELi8ELi32ELc84ELc67EKPKS2_S5_KPS2_EEvlllT_PT11_llSA_llS8_PT12_llPT13_lli
	.p2align	8
	.type	_ZN12_GLOBAL__N_127rocblas_gemm_batched_kernelI19rocblas_complex_numIfELi16ELi16ELi32ELi32ELi8ELi32ELi8ELi8ELi32ELc84ELc67EKPKS2_S5_KPS2_EEvlllT_PT11_llSA_llS8_PT12_llPT13_lli,@function
_ZN12_GLOBAL__N_127rocblas_gemm_batched_kernelI19rocblas_complex_numIfELi16ELi16ELi32ELi32ELi8ELi32ELi8ELi8ELi32ELc84ELc67EKPKS2_S5_KPS2_EEvlllT_PT11_llSA_llS8_PT12_llPT13_lli: ; @_ZN12_GLOBAL__N_127rocblas_gemm_batched_kernelI19rocblas_complex_numIfELi16ELi16ELi32ELi32ELi8ELi32ELi8ELi8ELi32ELc84ELc67EKPKS2_S5_KPS2_EEvlllT_PT11_llSA_llS8_PT12_llPT13_lli
; %bb.0:
	s_clause 0x1
	s_load_dwordx8 s[36:43], s[4:5], 0x58
	s_load_dwordx16 s[12:27], s[4:5], 0x10
	s_mov_b32 s9, 0
	s_clause 0x1
	s_load_dwordx4 s[28:31], s[4:5], 0x78
	s_load_dwordx2 s[2:3], s[4:5], 0x50
	s_lshl_b64 s[0:1], s[8:9], 3
	s_mov_b32 s10, s7
	v_mov_b32_e32 v12, 0
	v_mov_b32_e32 v13, 0
	;; [unrolled: 1-line block ×8, first 2 shown]
	s_waitcnt lgkmcnt(0)
	s_add_u32 s4, s36, s0
	s_addc_u32 s5, s37, s1
	s_add_u32 s8, s42, s0
	s_addc_u32 s9, s43, s1
	s_load_dwordx2 s[4:5], s[4:5], 0x0
	s_load_dwordx2 s[8:9], s[8:9], 0x0
	v_cmp_lt_i64_e64 s33, s[12:13], 1
	s_ashr_i32 s7, s6, 31
	s_ashr_i32 s11, s10, 31
	s_lshl_b64 s[6:7], s[6:7], 5
	s_lshl_b64 s[10:11], s[10:11], 5
	s_and_b32 vcc_lo, exec_lo, s33
	s_cbranch_vccnz .LBB240_3
; %bb.1:
	v_lshl_add_u32 v7, v1, 4, v0
	v_and_b32_e32 v8, 7, v0
	s_add_u32 s16, s16, s0
	s_addc_u32 s17, s17, s1
	s_add_u32 s0, s22, s0
	v_lshrrev_b32_e32 v9, 3, v7
	v_and_b32_e32 v10, 31, v7
	s_addc_u32 s1, s23, s1
	v_lshlrev_b32_e32 v13, 3, v8
	s_load_dwordx2 s[16:17], s[16:17], 0x0
	s_load_dwordx2 s[0:1], s[0:1], 0x0
	v_add_co_u32 v2, s33, v9, s10
	v_add_co_ci_u32_e64 v3, null, 0, s11, s33
	v_add_co_u32 v4, s33, s6, v10
	v_add_co_ci_u32_e64 v5, null, s7, 0, s33
	v_mad_u64_u32 v[2:3], null, s24, v8, v[2:3]
	v_mul_lo_u32 v11, s19, v4
	v_mul_lo_u32 v12, s18, v5
	v_mad_u64_u32 v[4:5], null, s18, v4, 0
	v_lshrrev_b32_e32 v17, 5, v7
	s_lshl_b64 s[18:19], s[20:21], 3
	v_lshlrev_b32_e32 v10, 3, v10
	v_mov_b32_e32 v6, 0
	v_lshlrev_b32_e32 v16, 3, v0
	v_add3_u32 v5, v5, v12, v11
	v_mad_u64_u32 v[7:8], null, s25, v8, v[3:4]
	v_lshl_or_b32 v3, v9, 6, v13
	v_lshl_or_b32 v14, v17, 8, v10
	v_lshlrev_b64 v[4:5], 3, v[4:5]
	v_mov_b32_e32 v9, 0
	v_mov_b32_e32 v11, 0
	v_add_nc_u32_e32 v15, 0x800, v3
	v_mov_b32_e32 v3, v7
	v_lshlrev_b32_e32 v7, 3, v17
	v_add_co_u32 v4, vcc_lo, v4, s18
	v_add_co_ci_u32_e64 v5, null, s19, v5, vcc_lo
	s_lshl_b64 s[18:19], s[26:27], 3
	v_add_co_u32 v7, vcc_lo, v4, v7
	v_add_co_ci_u32_e64 v8, null, 0, v5, vcc_lo
	v_lshlrev_b64 v[4:5], 3, v[2:3]
	s_waitcnt lgkmcnt(0)
	v_add_co_u32 v2, vcc_lo, s16, v7
	s_add_u32 s0, s0, s18
	v_add_co_ci_u32_e64 v3, null, s17, v8, vcc_lo
	s_addc_u32 s1, s1, s19
	v_add_co_u32 v4, vcc_lo, s0, v4
	v_lshl_add_u32 v17, v1, 6, 0x800
	v_add_co_ci_u32_e64 v5, null, s1, v5, vcc_lo
	v_mov_b32_e32 v7, 0
	v_mov_b32_e32 v8, 0
	v_mov_b32_e32 v10, 0
	v_mov_b32_e32 v13, 0
	v_mov_b32_e32 v12, 0
	s_lshl_b64 s[16:17], s[24:25], 6
	s_mov_b64 s[18:19], 0
.LBB240_2:                              ; =>This Inner Loop Header: Depth=1
	flat_load_dwordx2 v[18:19], v[2:3]
	s_add_u32 s18, s18, 8
	s_addc_u32 s19, s19, 0
	v_add_co_u32 v2, vcc_lo, v2, 64
	v_cmp_lt_i64_e64 s0, s[18:19], s[12:13]
	v_add_co_ci_u32_e64 v3, null, 0, v3, vcc_lo
	s_and_b32 vcc_lo, exec_lo, s0
	s_waitcnt vmcnt(0) lgkmcnt(0)
	ds_write_b64 v14, v[18:19]
	flat_load_dwordx2 v[18:19], v[4:5]
	v_add_co_u32 v4, s0, v4, s16
	v_add_co_ci_u32_e64 v5, null, s17, v5, s0
	s_waitcnt vmcnt(0) lgkmcnt(0)
	v_xor_b32_e32 v19, 0x80000000, v19
	ds_write_b64 v15, v[18:19]
	s_waitcnt lgkmcnt(0)
	s_barrier
	buffer_gl0_inv
	ds_read_b128 v[18:21], v17
	ds_read2_b64 v[22:25], v16 offset1:16
	ds_read_b128 v[26:29], v17 offset:1024
	ds_read2_b64 v[30:33], v16 offset0:32 offset1:48
	ds_read_b128 v[34:37], v17 offset:16
	ds_read2_b64 v[38:41], v16 offset0:64 offset1:80
	;; [unrolled: 2-line block ×3, first 2 shown]
	ds_read2_b64 v[50:53], v16 offset0:128 offset1:144
	ds_read2_b64 v[54:57], v16 offset0:160 offset1:176
	ds_read_b128 v[58:61], v17 offset:32
	ds_read_b128 v[62:65], v17 offset:48
	ds_read2_b64 v[66:69], v16 offset0:192 offset1:208
	ds_read_b128 v[70:73], v17 offset:1056
	ds_read_b128 v[74:77], v17 offset:1072
	ds_read2_b64 v[78:81], v16 offset0:224 offset1:240
	s_waitcnt lgkmcnt(0)
	s_barrier
	buffer_gl0_inv
	v_mul_f32_e32 v82, v19, v23
	v_mul_f32_e32 v83, v18, v23
	;; [unrolled: 1-line block ×12, first 2 shown]
	v_fma_f32 v82, v18, v22, -v82
	v_fmac_f32_e32 v83, v19, v22
	v_fma_f32 v18, v18, v24, -v84
	v_fmac_f32_e32 v85, v19, v24
	;; [unrolled: 2-line block ×4, first 2 shown]
	v_mul_f32_e32 v24, v29, v31
	v_mul_f32_e32 v26, v28, v31
	;; [unrolled: 1-line block ×4, first 2 shown]
	v_fma_f32 v33, v20, v30, -v88
	v_fmac_f32_e32 v89, v21, v30
	v_fma_f32 v20, v20, v32, -v90
	v_fmac_f32_e32 v91, v21, v32
	v_mul_f32_e32 v21, v35, v39
	v_mul_f32_e32 v84, v34, v39
	v_mul_f32_e32 v86, v35, v41
	v_mul_f32_e32 v87, v34, v41
	v_fma_f32 v24, v28, v30, -v24
	v_fmac_f32_e32 v26, v29, v30
	v_fma_f32 v27, v28, v32, -v27
	v_fmac_f32_e32 v31, v29, v32
	v_mul_f32_e32 v28, v43, v39
	v_mul_f32_e32 v29, v42, v39
	v_mul_f32_e32 v30, v43, v41
	v_mul_f32_e32 v32, v42, v41
	v_add_f32_e32 v12, v12, v82
	v_add_f32_e32 v13, v13, v83
	v_add_f32_e32 v10, v10, v18
	v_add_f32_e32 v11, v11, v85
	v_add_f32_e32 v8, v8, v19
	v_add_f32_e32 v9, v9, v23
	v_add_f32_e32 v7, v7, v22
	v_add_f32_e32 v6, v6, v25
	v_mul_f32_e32 v39, v37, v47
	v_mul_f32_e32 v41, v36, v47
	v_mul_f32_e32 v88, v37, v49
	v_mul_f32_e32 v90, v36, v49
	v_fma_f32 v21, v34, v38, -v21
	v_fmac_f32_e32 v84, v35, v38
	v_fma_f32 v34, v34, v40, -v86
	v_fmac_f32_e32 v87, v35, v40
	v_fma_f32 v28, v42, v38, -v28
	v_fmac_f32_e32 v29, v43, v38
	v_fma_f32 v30, v42, v40, -v30
	v_fmac_f32_e32 v32, v43, v40
	v_mul_f32_e32 v35, v45, v47
	v_mul_f32_e32 v38, v44, v47
	v_mul_f32_e32 v40, v45, v49
	v_mul_f32_e32 v42, v44, v49
	v_add_f32_e32 v12, v12, v33
	v_add_f32_e32 v13, v13, v89
	v_add_f32_e32 v10, v10, v20
	v_add_f32_e32 v11, v11, v91
	v_add_f32_e32 v8, v8, v24
	v_add_f32_e32 v9, v9, v26
	v_add_f32_e32 v7, v7, v27
	v_add_f32_e32 v6, v6, v31
	v_fma_f32 v39, v36, v46, -v39
	v_fmac_f32_e32 v41, v37, v46
	v_fma_f32 v36, v36, v48, -v88
	v_fmac_f32_e32 v90, v37, v48
	v_mul_f32_e32 v37, v59, v51
	v_mul_f32_e32 v43, v58, v51
	v_mul_f32_e32 v47, v59, v53
	v_mul_f32_e32 v49, v58, v53
	v_fma_f32 v35, v44, v46, -v35
	v_fmac_f32_e32 v38, v45, v46
	v_fma_f32 v40, v44, v48, -v40
	v_fmac_f32_e32 v42, v45, v48
	v_mul_f32_e32 v44, v71, v51
	v_mul_f32_e32 v45, v70, v51
	v_mul_f32_e32 v46, v71, v53
	v_mul_f32_e32 v48, v70, v53
	v_add_f32_e32 v12, v12, v21
	v_add_f32_e32 v13, v13, v84
	v_add_f32_e32 v10, v10, v34
	v_add_f32_e32 v11, v11, v87
	v_add_f32_e32 v8, v8, v28
	v_add_f32_e32 v9, v9, v29
	v_add_f32_e32 v7, v7, v30
	v_add_f32_e32 v6, v6, v32
	v_mul_f32_e32 v51, v61, v55
	v_mul_f32_e32 v53, v60, v55
	v_mul_f32_e32 v86, v61, v57
	v_mul_f32_e32 v88, v60, v57
	v_fma_f32 v37, v58, v50, -v37
	v_fmac_f32_e32 v43, v59, v50
	v_fma_f32 v47, v58, v52, -v47
	v_fmac_f32_e32 v49, v59, v52
	v_fma_f32 v44, v70, v50, -v44
	v_fmac_f32_e32 v45, v71, v50
	v_fma_f32 v46, v70, v52, -v46
	v_fmac_f32_e32 v48, v71, v52
	v_mul_f32_e32 v50, v73, v55
	v_mul_f32_e32 v52, v72, v55
	v_mul_f32_e32 v55, v73, v57
	v_mul_f32_e32 v57, v72, v57
	v_add_f32_e32 v12, v12, v39
	v_add_f32_e32 v13, v13, v41
	v_add_f32_e32 v10, v10, v36
	v_add_f32_e32 v11, v11, v90
	v_add_f32_e32 v8, v8, v35
	v_add_f32_e32 v9, v9, v38
	v_add_f32_e32 v7, v7, v40
	v_add_f32_e32 v6, v6, v42
	;; [unrolled: 48-line block ×3, first 2 shown]
	v_fma_f32 v71, v64, v78, -v71
	v_fmac_f32_e32 v72, v65, v78
	v_fma_f32 v64, v64, v80, -v73
	v_fmac_f32_e32 v86, v65, v80
	;; [unrolled: 2-line block ×4, first 2 shown]
	v_add_f32_e32 v12, v12, v59
	v_add_f32_e32 v13, v13, v60
	;; [unrolled: 1-line block ×16, first 2 shown]
	s_cbranch_vccnz .LBB240_2
.LBB240_3:
	s_lshl_b64 s[0:1], s[30:31], 3
	v_add_co_u32 v0, s6, s6, v0
	s_waitcnt lgkmcnt(0)
	s_add_u32 s0, s8, s0
	s_addc_u32 s1, s9, s1
	v_add_co_u32 v4, s9, s10, v1
	s_or_b32 s8, s2, s3
	v_add_co_ci_u32_e64 v5, null, s11, 0, s9
	v_add_co_ci_u32_e64 v1, null, s7, 0, s6
	s_bitset0_b32 s8, 31
	s_mov_b32 s6, 0
	s_cmp_lg_u32 s8, 0
	s_cbranch_scc1 .LBB240_5
; %bb.4:
	v_mul_lo_u32 v14, v5, s28
	v_mul_lo_u32 v15, v4, s29
	v_mad_u64_u32 v[2:3], null, v4, s28, 0
	v_lshlrev_b64 v[17:18], 3, v[0:1]
	s_lshl_b64 s[8:9], s[28:29], 7
	v_mul_f32_e32 v19, s15, v13
	v_mul_f32_e32 v16, s14, v13
	;; [unrolled: 1-line block ×4, first 2 shown]
	v_add3_u32 v3, v3, v15, v14
	v_mul_f32_e32 v14, s15, v11
	v_fma_f32 v15, v12, s14, -v19
	v_mul_f32_e32 v24, s14, v9
	v_mul_f32_e32 v25, s15, v6
	v_lshlrev_b64 v[2:3], 3, v[2:3]
	v_fma_f32 v19, v10, s14, -v14
	v_mul_f32_e32 v14, s14, v6
	v_fmac_f32_e32 v16, s15, v12
	v_fmac_f32_e32 v20, s15, v10
	v_fma_f32 v23, v8, s14, -v23
	v_add_co_u32 v2, vcc_lo, s0, v2
	v_add_co_ci_u32_e64 v3, null, s1, v3, vcc_lo
	v_fmac_f32_e32 v14, s15, v7
	v_add_co_u32 v21, vcc_lo, v2, v17
	v_add_co_ci_u32_e64 v22, null, v3, v18, vcc_lo
	v_add_co_u32 v2, vcc_lo, v2, s8
	v_add_co_ci_u32_e64 v3, null, s9, v3, vcc_lo
	v_fmac_f32_e32 v24, s15, v8
	v_add_co_u32 v17, vcc_lo, v2, v17
	v_add_co_ci_u32_e64 v18, null, v3, v18, vcc_lo
	v_fma_f32 v25, v7, s14, -v25
	v_add_co_u32 v2, vcc_lo, 0x80, v17
	v_add_co_ci_u32_e64 v3, null, 0, v18, vcc_lo
	flat_store_dwordx2 v[21:22], v[15:16]
	flat_store_dwordx2 v[21:22], v[19:20] offset:128
	flat_store_dwordx2 v[17:18], v[23:24]
	flat_store_dword v[17:18], v25 offset:128
	s_andn2_b32 vcc_lo, exec_lo, s6
	s_cbranch_vccz .LBB240_6
	s_branch .LBB240_7
.LBB240_5:
                                        ; implicit-def: $vgpr14
                                        ; implicit-def: $vgpr2_vgpr3
.LBB240_6:
	v_mul_lo_u32 v14, v5, s38
	v_mul_lo_u32 v15, v4, s39
	v_mad_u64_u32 v[2:3], null, v4, s38, 0
	s_lshl_b64 s[6:7], s[40:41], 3
	v_lshlrev_b64 v[0:1], 3, v[0:1]
	s_add_u32 s4, s4, s6
	s_addc_u32 s5, s5, s7
	v_mul_lo_u32 v18, v5, s28
	v_mul_lo_u32 v19, v4, s29
	v_add3_u32 v3, v3, v15, v14
	v_mad_u64_u32 v[4:5], null, v4, s28, 0
	v_lshlrev_b64 v[2:3], 3, v[2:3]
	v_add3_u32 v5, v5, v19, v18
	v_mul_f32_e32 v18, s15, v13
	v_add_co_u32 v16, vcc_lo, s4, v2
	v_add_co_ci_u32_e64 v17, null, s5, v3, vcc_lo
	v_mul_f32_e32 v13, s14, v13
	v_add_co_u32 v2, vcc_lo, v16, v0
	v_add_co_ci_u32_e64 v3, null, v17, v1, vcc_lo
	v_lshlrev_b64 v[4:5], 3, v[4:5]
	v_fma_f32 v18, v12, s14, -v18
	v_fmac_f32_e32 v13, s15, v12
	flat_load_dwordx2 v[14:15], v[2:3]
	v_add_co_u32 v19, vcc_lo, s0, v4
	v_add_co_ci_u32_e64 v20, null, s1, v5, vcc_lo
	s_lshl_b64 s[0:1], s[38:39], 7
	v_add_co_u32 v4, vcc_lo, v19, v0
	v_add_co_ci_u32_e64 v5, null, v20, v1, vcc_lo
	s_waitcnt vmcnt(0) lgkmcnt(0)
	v_mul_f32_e32 v12, s3, v15
	v_mul_f32_e32 v15, s2, v15
	v_fma_f32 v12, v14, s2, -v12
	v_fmac_f32_e32 v15, s3, v14
	v_add_f32_e32 v12, v18, v12
	v_add_f32_e32 v13, v13, v15
	flat_store_dwordx2 v[4:5], v[12:13]
	flat_load_dwordx2 v[2:3], v[2:3] offset:128
	v_mul_f32_e32 v12, s15, v11
	v_mul_f32_e32 v11, s14, v11
	v_fma_f32 v12, v10, s14, -v12
	v_fmac_f32_e32 v11, s15, v10
	s_waitcnt vmcnt(0) lgkmcnt(0)
	v_mul_f32_e32 v13, s3, v3
	v_mul_f32_e32 v3, s2, v3
	v_fma_f32 v10, v2, s2, -v13
	v_add_co_u32 v13, vcc_lo, v16, s0
	v_fmac_f32_e32 v3, s3, v2
	v_add_co_ci_u32_e64 v14, null, s1, v17, vcc_lo
	v_add_f32_e32 v2, v12, v10
	v_add_co_u32 v10, vcc_lo, v13, v0
	v_add_f32_e32 v3, v11, v3
	v_add_co_ci_u32_e64 v11, null, v14, v1, vcc_lo
	s_lshl_b64 s[0:1], s[28:29], 7
	flat_store_dwordx2 v[4:5], v[2:3] offset:128
	flat_load_dwordx2 v[2:3], v[10:11]
	v_mul_f32_e32 v4, s15, v9
	v_mul_f32_e32 v5, s14, v9
	v_add_co_u32 v9, vcc_lo, v19, s0
	v_add_co_ci_u32_e64 v12, null, s1, v20, vcc_lo
	v_fma_f32 v4, v8, s14, -v4
	v_fmac_f32_e32 v5, s15, v8
	v_add_co_u32 v0, vcc_lo, v9, v0
	v_add_co_ci_u32_e64 v1, null, v12, v1, vcc_lo
	s_waitcnt vmcnt(0) lgkmcnt(0)
	v_mul_f32_e32 v8, s3, v3
	v_mul_f32_e32 v3, s2, v3
	v_fma_f32 v8, v2, s2, -v8
	v_fmac_f32_e32 v3, s3, v2
	v_add_f32_e32 v2, v4, v8
	v_add_f32_e32 v3, v5, v3
	v_mul_f32_e32 v4, s15, v6
	v_mul_f32_e32 v5, s14, v6
	flat_store_dwordx2 v[0:1], v[2:3]
	flat_load_dwordx2 v[2:3], v[10:11] offset:128
	v_fma_f32 v4, v7, s14, -v4
	v_fmac_f32_e32 v5, s15, v7
	s_waitcnt vmcnt(0) lgkmcnt(0)
	v_mul_f32_e32 v6, s3, v3
	v_mul_f32_e32 v3, s2, v3
	v_fma_f32 v6, v2, s2, -v6
	v_fmac_f32_e32 v3, s3, v2
	v_add_co_u32 v2, vcc_lo, 0x80, v0
	v_add_f32_e32 v4, v4, v6
	v_add_f32_e32 v14, v5, v3
	v_add_co_ci_u32_e64 v3, null, 0, v1, vcc_lo
	flat_store_dword v[0:1], v4 offset:128
.LBB240_7:
	flat_store_dword v[2:3], v14 offset:4
	s_endpgm
	.section	.rodata,"a",@progbits
	.p2align	6, 0x0
	.amdhsa_kernel _ZN12_GLOBAL__N_127rocblas_gemm_batched_kernelI19rocblas_complex_numIfELi16ELi16ELi32ELi32ELi8ELi32ELi8ELi8ELi32ELc84ELc67EKPKS2_S5_KPS2_EEvlllT_PT11_llSA_llS8_PT12_llPT13_lli
		.amdhsa_group_segment_fixed_size 4096
		.amdhsa_private_segment_fixed_size 0
		.amdhsa_kernarg_size 140
		.amdhsa_user_sgpr_count 6
		.amdhsa_user_sgpr_private_segment_buffer 1
		.amdhsa_user_sgpr_dispatch_ptr 0
		.amdhsa_user_sgpr_queue_ptr 0
		.amdhsa_user_sgpr_kernarg_segment_ptr 1
		.amdhsa_user_sgpr_dispatch_id 0
		.amdhsa_user_sgpr_flat_scratch_init 0
		.amdhsa_user_sgpr_private_segment_size 0
		.amdhsa_wavefront_size32 1
		.amdhsa_uses_dynamic_stack 0
		.amdhsa_system_sgpr_private_segment_wavefront_offset 0
		.amdhsa_system_sgpr_workgroup_id_x 1
		.amdhsa_system_sgpr_workgroup_id_y 1
		.amdhsa_system_sgpr_workgroup_id_z 1
		.amdhsa_system_sgpr_workgroup_info 0
		.amdhsa_system_vgpr_workitem_id 1
		.amdhsa_next_free_vgpr 92
		.amdhsa_next_free_sgpr 44
		.amdhsa_reserve_vcc 1
		.amdhsa_reserve_flat_scratch 0
		.amdhsa_float_round_mode_32 0
		.amdhsa_float_round_mode_16_64 0
		.amdhsa_float_denorm_mode_32 3
		.amdhsa_float_denorm_mode_16_64 3
		.amdhsa_dx10_clamp 1
		.amdhsa_ieee_mode 1
		.amdhsa_fp16_overflow 0
		.amdhsa_workgroup_processor_mode 1
		.amdhsa_memory_ordered 1
		.amdhsa_forward_progress 1
		.amdhsa_shared_vgpr_count 0
		.amdhsa_exception_fp_ieee_invalid_op 0
		.amdhsa_exception_fp_denorm_src 0
		.amdhsa_exception_fp_ieee_div_zero 0
		.amdhsa_exception_fp_ieee_overflow 0
		.amdhsa_exception_fp_ieee_underflow 0
		.amdhsa_exception_fp_ieee_inexact 0
		.amdhsa_exception_int_div_zero 0
	.end_amdhsa_kernel
	.section	.text._ZN12_GLOBAL__N_127rocblas_gemm_batched_kernelI19rocblas_complex_numIfELi16ELi16ELi32ELi32ELi8ELi32ELi8ELi8ELi32ELc84ELc67EKPKS2_S5_KPS2_EEvlllT_PT11_llSA_llS8_PT12_llPT13_lli,"axG",@progbits,_ZN12_GLOBAL__N_127rocblas_gemm_batched_kernelI19rocblas_complex_numIfELi16ELi16ELi32ELi32ELi8ELi32ELi8ELi8ELi32ELc84ELc67EKPKS2_S5_KPS2_EEvlllT_PT11_llSA_llS8_PT12_llPT13_lli,comdat
.Lfunc_end240:
	.size	_ZN12_GLOBAL__N_127rocblas_gemm_batched_kernelI19rocblas_complex_numIfELi16ELi16ELi32ELi32ELi8ELi32ELi8ELi8ELi32ELc84ELc67EKPKS2_S5_KPS2_EEvlllT_PT11_llSA_llS8_PT12_llPT13_lli, .Lfunc_end240-_ZN12_GLOBAL__N_127rocblas_gemm_batched_kernelI19rocblas_complex_numIfELi16ELi16ELi32ELi32ELi8ELi32ELi8ELi8ELi32ELc84ELc67EKPKS2_S5_KPS2_EEvlllT_PT11_llSA_llS8_PT12_llPT13_lli
                                        ; -- End function
	.set _ZN12_GLOBAL__N_127rocblas_gemm_batched_kernelI19rocblas_complex_numIfELi16ELi16ELi32ELi32ELi8ELi32ELi8ELi8ELi32ELc84ELc67EKPKS2_S5_KPS2_EEvlllT_PT11_llSA_llS8_PT12_llPT13_lli.num_vgpr, 92
	.set _ZN12_GLOBAL__N_127rocblas_gemm_batched_kernelI19rocblas_complex_numIfELi16ELi16ELi32ELi32ELi8ELi32ELi8ELi8ELi32ELc84ELc67EKPKS2_S5_KPS2_EEvlllT_PT11_llSA_llS8_PT12_llPT13_lli.num_agpr, 0
	.set _ZN12_GLOBAL__N_127rocblas_gemm_batched_kernelI19rocblas_complex_numIfELi16ELi16ELi32ELi32ELi8ELi32ELi8ELi8ELi32ELc84ELc67EKPKS2_S5_KPS2_EEvlllT_PT11_llSA_llS8_PT12_llPT13_lli.numbered_sgpr, 44
	.set _ZN12_GLOBAL__N_127rocblas_gemm_batched_kernelI19rocblas_complex_numIfELi16ELi16ELi32ELi32ELi8ELi32ELi8ELi8ELi32ELc84ELc67EKPKS2_S5_KPS2_EEvlllT_PT11_llSA_llS8_PT12_llPT13_lli.num_named_barrier, 0
	.set _ZN12_GLOBAL__N_127rocblas_gemm_batched_kernelI19rocblas_complex_numIfELi16ELi16ELi32ELi32ELi8ELi32ELi8ELi8ELi32ELc84ELc67EKPKS2_S5_KPS2_EEvlllT_PT11_llSA_llS8_PT12_llPT13_lli.private_seg_size, 0
	.set _ZN12_GLOBAL__N_127rocblas_gemm_batched_kernelI19rocblas_complex_numIfELi16ELi16ELi32ELi32ELi8ELi32ELi8ELi8ELi32ELc84ELc67EKPKS2_S5_KPS2_EEvlllT_PT11_llSA_llS8_PT12_llPT13_lli.uses_vcc, 1
	.set _ZN12_GLOBAL__N_127rocblas_gemm_batched_kernelI19rocblas_complex_numIfELi16ELi16ELi32ELi32ELi8ELi32ELi8ELi8ELi32ELc84ELc67EKPKS2_S5_KPS2_EEvlllT_PT11_llSA_llS8_PT12_llPT13_lli.uses_flat_scratch, 0
	.set _ZN12_GLOBAL__N_127rocblas_gemm_batched_kernelI19rocblas_complex_numIfELi16ELi16ELi32ELi32ELi8ELi32ELi8ELi8ELi32ELc84ELc67EKPKS2_S5_KPS2_EEvlllT_PT11_llSA_llS8_PT12_llPT13_lli.has_dyn_sized_stack, 0
	.set _ZN12_GLOBAL__N_127rocblas_gemm_batched_kernelI19rocblas_complex_numIfELi16ELi16ELi32ELi32ELi8ELi32ELi8ELi8ELi32ELc84ELc67EKPKS2_S5_KPS2_EEvlllT_PT11_llSA_llS8_PT12_llPT13_lli.has_recursion, 0
	.set _ZN12_GLOBAL__N_127rocblas_gemm_batched_kernelI19rocblas_complex_numIfELi16ELi16ELi32ELi32ELi8ELi32ELi8ELi8ELi32ELc84ELc67EKPKS2_S5_KPS2_EEvlllT_PT11_llSA_llS8_PT12_llPT13_lli.has_indirect_call, 0
	.section	.AMDGPU.csdata,"",@progbits
; Kernel info:
; codeLenInByte = 2512
; TotalNumSgprs: 46
; NumVgprs: 92
; ScratchSize: 0
; MemoryBound: 0
; FloatMode: 240
; IeeeMode: 1
; LDSByteSize: 4096 bytes/workgroup (compile time only)
; SGPRBlocks: 0
; VGPRBlocks: 11
; NumSGPRsForWavesPerEU: 46
; NumVGPRsForWavesPerEU: 92
; Occupancy: 10
; WaveLimiterHint : 1
; COMPUTE_PGM_RSRC2:SCRATCH_EN: 0
; COMPUTE_PGM_RSRC2:USER_SGPR: 6
; COMPUTE_PGM_RSRC2:TRAP_HANDLER: 0
; COMPUTE_PGM_RSRC2:TGID_X_EN: 1
; COMPUTE_PGM_RSRC2:TGID_Y_EN: 1
; COMPUTE_PGM_RSRC2:TGID_Z_EN: 1
; COMPUTE_PGM_RSRC2:TIDIG_COMP_CNT: 1
	.section	.text._ZN12_GLOBAL__N_135rocblas_gemm_batched_general_kernelI19rocblas_complex_numIfELi16ELi16ELi32ELi32ELi8ELi32ELi8ELi8ELi32ELc78ELc78EKPKS2_S5_KPS2_EEvlllT_PT11_llSA_llS8_PT12_llPT13_lli,"axG",@progbits,_ZN12_GLOBAL__N_135rocblas_gemm_batched_general_kernelI19rocblas_complex_numIfELi16ELi16ELi32ELi32ELi8ELi32ELi8ELi8ELi32ELc78ELc78EKPKS2_S5_KPS2_EEvlllT_PT11_llSA_llS8_PT12_llPT13_lli,comdat
	.globl	_ZN12_GLOBAL__N_135rocblas_gemm_batched_general_kernelI19rocblas_complex_numIfELi16ELi16ELi32ELi32ELi8ELi32ELi8ELi8ELi32ELc78ELc78EKPKS2_S5_KPS2_EEvlllT_PT11_llSA_llS8_PT12_llPT13_lli ; -- Begin function _ZN12_GLOBAL__N_135rocblas_gemm_batched_general_kernelI19rocblas_complex_numIfELi16ELi16ELi32ELi32ELi8ELi32ELi8ELi8ELi32ELc78ELc78EKPKS2_S5_KPS2_EEvlllT_PT11_llSA_llS8_PT12_llPT13_lli
	.p2align	8
	.type	_ZN12_GLOBAL__N_135rocblas_gemm_batched_general_kernelI19rocblas_complex_numIfELi16ELi16ELi32ELi32ELi8ELi32ELi8ELi8ELi32ELc78ELc78EKPKS2_S5_KPS2_EEvlllT_PT11_llSA_llS8_PT12_llPT13_lli,@function
_ZN12_GLOBAL__N_135rocblas_gemm_batched_general_kernelI19rocblas_complex_numIfELi16ELi16ELi32ELi32ELi8ELi32ELi8ELi8ELi32ELc78ELc78EKPKS2_S5_KPS2_EEvlllT_PT11_llSA_llS8_PT12_llPT13_lli: ; @_ZN12_GLOBAL__N_135rocblas_gemm_batched_general_kernelI19rocblas_complex_numIfELi16ELi16ELi32ELi32ELi8ELi32ELi8ELi8ELi32ELc78ELc78EKPKS2_S5_KPS2_EEvlllT_PT11_llSA_llS8_PT12_llPT13_lli
; %bb.0:
	s_clause 0x1
	s_load_dwordx8 s[36:43], s[4:5], 0x58
	s_load_dwordx16 s[12:27], s[4:5], 0x0
	s_mov_b32 s9, 0
	s_load_dwordx4 s[28:31], s[4:5], 0x78
	s_lshl_b64 s[44:45], s[8:9], 3
	s_load_dwordx2 s[8:9], s[4:5], 0x50
	s_mov_b32 s0, s7
	v_mov_b32_e32 v20, 0
	v_mov_b32_e32 v21, 0
	;; [unrolled: 1-line block ×8, first 2 shown]
	s_waitcnt lgkmcnt(0)
	s_add_u32 s2, s36, s44
	s_addc_u32 s3, s37, s45
	s_add_u32 s34, s42, s44
	s_addc_u32 s35, s43, s45
	s_load_dwordx2 s[10:11], s[2:3], 0x0
	s_load_dwordx2 s[36:37], s[34:35], 0x0
	v_cmp_lt_i64_e64 s2, s[16:17], 1
	s_ashr_i32 s7, s6, 31
	s_ashr_i32 s1, s0, 31
	s_lshl_b64 s[34:35], s[6:7], 5
	s_lshl_b64 s[42:43], s[0:1], 5
	s_and_b32 vcc_lo, exec_lo, s2
	s_cbranch_vccnz .LBB241_11
; %bb.1:
	s_load_dwordx4 s[0:3], s[4:5], 0x40
	v_lshl_add_u32 v3, v1, 4, v0
	s_add_u32 s4, s26, s44
	v_and_b32_e32 v9, 7, v0
	s_addc_u32 s5, s27, s45
	s_add_u32 s20, s20, s44
	v_lshrrev_b32_e32 v7, 3, v3
	v_lshrrev_b32_e32 v8, 5, v3
	v_and_b32_e32 v12, 31, v3
	v_lshlrev_b32_e32 v20, 3, v9
	s_load_dwordx2 s[4:5], s[4:5], 0x0
	v_add_co_u32 v5, s26, v7, s42
	v_add_co_ci_u32_e64 v6, null, 0, s43, s26
	v_mad_u64_u32 v[3:4], null, s22, v8, 0
	s_addc_u32 s21, s21, s45
	s_lshl_b64 s[6:7], s[6:7], 8
	s_load_dwordx2 s[20:21], s[20:21], 0x0
	s_waitcnt lgkmcnt(0)
	v_mul_lo_u32 v15, s1, v5
	v_mul_lo_u32 v17, s0, v6
	v_mad_u64_u32 v[18:19], null, s0, v5, 0
	v_mad_u64_u32 v[13:14], null, s23, v8, v[4:5]
	v_lshl_or_b32 v4, v7, 6, v20
	v_cmp_gt_i64_e64 s0, s[14:15], v[5:6]
	s_lshl_b64 s[2:3], s[2:3], 3
	s_lshl_b64 s[24:25], s[24:25], 3
	v_add3_u32 v19, v19, v17, v15
	v_add_nc_u32_e32 v14, 0x800, v4
	v_mov_b32_e32 v4, v13
	v_lshlrev_b32_e32 v16, 3, v12
	v_or_b32_e32 v10, s34, v12
	v_lshlrev_b64 v[5:6], 3, v[18:19]
	v_mov_b32_e32 v11, s35
	v_lshlrev_b64 v[3:4], 3, v[3:4]
	v_mov_b32_e32 v2, 0
	v_lshl_or_b32 v12, v8, 8, v16
	v_lshlrev_b32_e32 v15, 3, v0
	v_add_co_u32 v5, s1, v5, s2
	v_add_co_ci_u32_e64 v6, null, s3, v6, s1
	s_add_u32 s1, s24, s6
	s_addc_u32 s2, s25, s7
	v_add_co_u32 v3, s1, s1, v3
	v_add_co_ci_u32_e64 v4, null, s2, v4, s1
	v_add_co_u32 v5, s1, v5, v20
	v_add_co_ci_u32_e64 v6, null, 0, v6, s1
	;; [unrolled: 2-line block ×3, first 2 shown]
	v_add_co_u32 v4, s1, s4, v5
	v_cmp_gt_i64_e32 vcc_lo, s[12:13], v[10:11]
	v_add_co_ci_u32_e64 v5, null, s5, v6, s1
	v_add_co_u32 v6, s1, s20, v3
	v_lshl_add_u32 v17, v1, 6, 0x800
	v_add_co_ci_u32_e64 v7, null, s21, v7, s1
	v_mov_b32_e32 v11, 0
	v_mov_b32_e32 v10, 0
	;; [unrolled: 1-line block ×8, first 2 shown]
	s_lshl_b64 s[2:3], s[22:23], 6
	s_mov_b64 s[4:5], 0
	s_xor_b32 s1, vcc_lo, -1
	s_xor_b32 s0, s0, -1
	s_branch .LBB241_3
.LBB241_2:                              ;   in Loop: Header=BB241_3 Depth=1
	s_or_b32 exec_lo, exec_lo, s6
	s_waitcnt lgkmcnt(0)
	s_barrier
	buffer_gl0_inv
	ds_read_b128 v[22:25], v17
	ds_read2_b64 v[26:29], v15 offset1:16
	ds_read_b128 v[30:33], v17 offset:1024
	ds_read_b128 v[34:37], v17 offset:16
	;; [unrolled: 1-line block ×4, first 2 shown]
	ds_read2_b64 v[46:49], v15 offset0:32 offset1:48
	ds_read_b128 v[50:53], v17 offset:1040
	s_add_u32 s4, s4, 8
	s_addc_u32 s5, s5, 0
	v_add_co_u32 v4, vcc_lo, v4, 64
	v_cmp_lt_i64_e64 s6, s[4:5], s[16:17]
	v_add_co_ci_u32_e64 v5, null, 0, v5, vcc_lo
	v_add_co_u32 v6, vcc_lo, v6, s2
	v_add_co_ci_u32_e64 v7, null, s3, v7, vcc_lo
	s_and_b32 vcc_lo, exec_lo, s6
	s_waitcnt lgkmcnt(6)
	v_mul_f32_e32 v3, v23, v27
	v_mul_f32_e32 v54, v22, v27
	;; [unrolled: 1-line block ×4, first 2 shown]
	s_waitcnt lgkmcnt(5)
	v_mul_f32_e32 v57, v31, v27
	v_mul_f32_e32 v27, v30, v27
	;; [unrolled: 1-line block ×3, first 2 shown]
	v_fma_f32 v3, v22, v26, -v3
	v_fmac_f32_e32 v54, v23, v26
	v_fma_f32 v22, v22, v28, -v55
	v_fmac_f32_e32 v56, v23, v28
	v_fma_f32 v23, v30, v26, -v57
	v_mul_f32_e32 v29, v30, v29
	v_fmac_f32_e32 v27, v31, v26
	v_fma_f32 v26, v30, v28, -v58
	v_add_f32_e32 v3, v20, v3
	v_add_f32_e32 v30, v21, v54
	;; [unrolled: 1-line block ×5, first 2 shown]
	s_waitcnt lgkmcnt(1)
	v_mul_f32_e32 v23, v25, v47
	ds_read2_b64 v[18:21], v15 offset0:64 offset1:80
	v_add_f32_e32 v16, v16, v27
	v_mul_f32_e32 v27, v25, v49
	v_fmac_f32_e32 v29, v31, v28
	v_fma_f32 v23, v24, v46, -v23
	v_add_f32_e32 v10, v10, v26
	v_mul_f32_e32 v26, v24, v47
	v_mul_f32_e32 v28, v24, v49
	v_add_f32_e32 v11, v11, v29
	v_add_f32_e32 v3, v3, v23
	v_fma_f32 v23, v24, v48, -v27
	v_mul_f32_e32 v24, v33, v47
	v_fmac_f32_e32 v26, v25, v46
	v_fmac_f32_e32 v28, v25, v48
	v_mul_f32_e32 v25, v32, v47
	v_add_f32_e32 v27, v22, v23
	v_fma_f32 v22, v32, v46, -v24
	v_mul_f32_e32 v23, v33, v49
	v_add_f32_e32 v26, v30, v26
	v_fmac_f32_e32 v25, v33, v46
	v_mul_f32_e32 v29, v32, v49
	v_add_f32_e32 v13, v13, v22
	v_fma_f32 v22, v32, v48, -v23
	s_waitcnt lgkmcnt(0)
	v_mul_f32_e32 v23, v35, v19
	v_mul_f32_e32 v30, v34, v19
	;; [unrolled: 1-line block ×3, first 2 shown]
	v_add_f32_e32 v16, v16, v25
	v_add_f32_e32 v10, v10, v22
	v_fma_f32 v31, v34, v18, -v23
	ds_read2_b64 v[22:25], v15 offset0:96 offset1:112
	v_fmac_f32_e32 v30, v35, v18
	v_fmac_f32_e32 v29, v33, v48
	v_add_f32_e32 v28, v54, v28
	v_add_f32_e32 v3, v3, v31
	v_fma_f32 v31, v34, v20, -v32
	v_add_f32_e32 v26, v26, v30
	v_mul_f32_e32 v30, v51, v19
	v_mul_f32_e32 v19, v50, v19
	v_add_f32_e32 v11, v11, v29
	v_add_f32_e32 v27, v27, v31
	v_mul_f32_e32 v31, v51, v21
	v_mul_f32_e32 v29, v34, v21
	v_fma_f32 v30, v50, v18, -v30
	v_fmac_f32_e32 v19, v51, v18
	v_mul_f32_e32 v32, v50, v21
	v_fma_f32 v18, v50, v20, -v31
	v_fmac_f32_e32 v29, v35, v20
	v_add_f32_e32 v13, v13, v30
	v_add_f32_e32 v16, v16, v19
	v_fmac_f32_e32 v32, v51, v20
	v_add_f32_e32 v10, v10, v18
	ds_read2_b64 v[18:21], v15 offset0:128 offset1:144
	v_add_f32_e32 v33, v28, v29
	s_waitcnt lgkmcnt(1)
	v_mul_f32_e32 v28, v37, v23
	v_mul_f32_e32 v29, v36, v23
	;; [unrolled: 1-line block ×4, first 2 shown]
	v_add_f32_e32 v11, v11, v32
	v_fma_f32 v28, v36, v22, -v28
	v_fmac_f32_e32 v29, v37, v22
	v_fma_f32 v30, v36, v24, -v30
	v_fmac_f32_e32 v31, v37, v24
	v_mul_f32_e32 v32, v53, v25
	v_add_f32_e32 v3, v3, v28
	v_mul_f32_e32 v28, v53, v23
	v_mul_f32_e32 v23, v52, v23
	v_add_f32_e32 v34, v26, v29
	v_add_f32_e32 v35, v27, v30
	;; [unrolled: 1-line block ×3, first 2 shown]
	v_fma_f32 v30, v52, v22, -v28
	ds_read_b128 v[26:29], v17 offset:1056
	v_fmac_f32_e32 v23, v53, v22
	v_mul_f32_e32 v31, v52, v25
	v_fma_f32 v22, v52, v24, -v32
	s_waitcnt lgkmcnt(1)
	v_mul_f32_e32 v25, v39, v19
	v_add_f32_e32 v13, v13, v30
	v_add_f32_e32 v16, v16, v23
	v_fmac_f32_e32 v31, v53, v24
	v_add_f32_e32 v10, v10, v22
	v_fma_f32 v30, v38, v18, -v25
	ds_read2_b64 v[22:25], v15 offset0:160 offset1:176
	v_mul_f32_e32 v32, v39, v21
	v_mul_f32_e32 v37, v38, v19
	;; [unrolled: 1-line block ×3, first 2 shown]
	v_add_f32_e32 v11, v11, v31
	v_add_f32_e32 v3, v3, v30
	v_fma_f32 v38, v38, v20, -v32
	v_fmac_f32_e32 v37, v39, v18
	ds_read_b128 v[30:33], v17 offset:1072
	v_fmac_f32_e32 v46, v39, v20
	s_waitcnt lgkmcnt(2)
	v_mul_f32_e32 v47, v27, v19
	v_mul_f32_e32 v19, v26, v19
	v_add_f32_e32 v35, v35, v38
	v_mul_f32_e32 v38, v27, v21
	v_add_f32_e32 v34, v34, v37
	v_fma_f32 v37, v26, v18, -v47
	v_fmac_f32_e32 v19, v27, v18
	v_mul_f32_e32 v39, v26, v21
	v_fma_f32 v18, v26, v20, -v38
	v_add_f32_e32 v36, v36, v46
	s_waitcnt lgkmcnt(1)
	v_mul_f32_e32 v21, v41, v23
	v_add_f32_e32 v13, v13, v37
	v_add_f32_e32 v16, v16, v19
	v_fmac_f32_e32 v39, v27, v20
	v_mul_f32_e32 v26, v40, v23
	v_add_f32_e32 v10, v10, v18
	v_fma_f32 v27, v40, v22, -v21
	ds_read2_b64 v[18:21], v15 offset0:192 offset1:208
	v_mul_f32_e32 v37, v41, v25
	v_fmac_f32_e32 v26, v41, v22
	v_add_f32_e32 v11, v11, v39
	v_add_f32_e32 v3, v3, v27
	v_mul_f32_e32 v27, v40, v25
	v_fma_f32 v37, v40, v24, -v37
	v_add_f32_e32 v26, v34, v26
	v_mul_f32_e32 v34, v29, v23
	v_mul_f32_e32 v23, v28, v23
	v_fmac_f32_e32 v27, v41, v24
	v_add_f32_e32 v35, v35, v37
	v_mul_f32_e32 v37, v29, v25
	v_fma_f32 v34, v28, v22, -v34
	v_fmac_f32_e32 v23, v29, v22
	v_add_f32_e32 v27, v36, v27
	v_mul_f32_e32 v36, v28, v25
	v_fma_f32 v22, v28, v24, -v37
	v_add_f32_e32 v13, v13, v34
	v_add_f32_e32 v16, v16, v23
	s_waitcnt lgkmcnt(0)
	v_mul_f32_e32 v28, v43, v19
	v_fmac_f32_e32 v36, v29, v24
	v_add_f32_e32 v10, v10, v22
	ds_read2_b64 v[22:25], v15 offset0:224 offset1:240
	v_mul_f32_e32 v29, v42, v19
	v_fma_f32 v28, v42, v18, -v28
	v_mul_f32_e32 v34, v43, v21
	v_add_f32_e32 v11, v11, v36
	v_mul_f32_e32 v36, v42, v21
	v_fmac_f32_e32 v29, v43, v18
	v_add_f32_e32 v3, v3, v28
	v_mul_f32_e32 v28, v31, v19
	v_fma_f32 v34, v42, v20, -v34
	v_mul_f32_e32 v19, v30, v19
	v_add_f32_e32 v26, v26, v29
	v_fmac_f32_e32 v36, v43, v20
	v_fma_f32 v28, v30, v18, -v28
	v_add_f32_e32 v29, v35, v34
	v_mul_f32_e32 v34, v31, v21
	v_fmac_f32_e32 v19, v31, v18
	v_mul_f32_e32 v18, v30, v21
	v_add_f32_e32 v13, v13, v28
	v_add_f32_e32 v27, v27, v36
	v_fma_f32 v21, v30, v20, -v34
	s_waitcnt lgkmcnt(0)
	v_mul_f32_e32 v28, v45, v23
	v_mul_f32_e32 v30, v44, v23
	v_add_f32_e32 v16, v16, v19
	v_fmac_f32_e32 v18, v31, v20
	v_add_f32_e32 v10, v10, v21
	v_fma_f32 v19, v44, v22, -v28
	v_fmac_f32_e32 v30, v45, v22
	v_mul_f32_e32 v28, v45, v25
	v_mul_f32_e32 v31, v44, v25
	v_add_f32_e32 v11, v11, v18
	v_add_f32_e32 v20, v3, v19
	;; [unrolled: 1-line block ×3, first 2 shown]
	v_fma_f32 v3, v44, v24, -v28
	v_mul_f32_e32 v19, v33, v23
	v_mul_f32_e32 v23, v32, v23
	;; [unrolled: 1-line block ×4, first 2 shown]
	v_fmac_f32_e32 v31, v45, v24
	v_add_f32_e32 v18, v29, v3
	v_fma_f32 v3, v32, v22, -v19
	v_fmac_f32_e32 v23, v33, v22
	v_fma_f32 v22, v32, v24, -v26
	v_fmac_f32_e32 v25, v33, v24
	v_add_f32_e32 v19, v27, v31
	v_add_f32_e32 v13, v13, v3
	;; [unrolled: 1-line block ×5, first 2 shown]
	s_barrier
	buffer_gl0_inv
	s_cbranch_vccz .LBB241_11
.LBB241_3:                              ; =>This Inner Loop Header: Depth=1
	v_add_co_u32 v22, s6, v8, s4
	v_add_co_ci_u32_e64 v23, null, 0, s5, s6
	v_cmp_le_i64_e32 vcc_lo, s[16:17], v[22:23]
	s_or_b32 s6, s1, vcc_lo
	s_and_saveexec_b32 s7, s6
	s_xor_b32 s6, exec_lo, s7
; %bb.4:                                ;   in Loop: Header=BB241_3 Depth=1
	v_mov_b32_e32 v3, v2
	ds_write_b64 v12, v[2:3]
; %bb.5:                                ;   in Loop: Header=BB241_3 Depth=1
	s_andn2_saveexec_b32 s6, s6
	s_cbranch_execz .LBB241_7
; %bb.6:                                ;   in Loop: Header=BB241_3 Depth=1
	flat_load_dwordx2 v[22:23], v[6:7]
	s_waitcnt vmcnt(0) lgkmcnt(0)
	ds_write_b64 v12, v[22:23]
.LBB241_7:                              ;   in Loop: Header=BB241_3 Depth=1
	s_or_b32 exec_lo, exec_lo, s6
	v_add_co_u32 v22, s6, v9, s4
	v_add_co_ci_u32_e64 v23, null, 0, s5, s6
	v_cmp_le_i64_e32 vcc_lo, s[16:17], v[22:23]
	s_or_b32 s6, vcc_lo, s0
	s_and_saveexec_b32 s7, s6
	s_xor_b32 s6, exec_lo, s7
; %bb.8:                                ;   in Loop: Header=BB241_3 Depth=1
	v_mov_b32_e32 v3, v2
	ds_write_b64 v14, v[2:3]
; %bb.9:                                ;   in Loop: Header=BB241_3 Depth=1
	s_andn2_saveexec_b32 s6, s6
	s_cbranch_execz .LBB241_2
; %bb.10:                               ;   in Loop: Header=BB241_3 Depth=1
	flat_load_dwordx2 v[22:23], v[4:5]
	s_waitcnt vmcnt(0) lgkmcnt(0)
	ds_write_b64 v14, v[22:23]
	s_branch .LBB241_2
.LBB241_11:
	v_add_co_u32 v1, s2, s42, v1
	v_add_co_ci_u32_e64 v2, null, s43, 0, s2
	s_lshl_b64 s[0:1], s[30:31], 3
	s_waitcnt lgkmcnt(0)
	s_add_u32 s3, s36, s0
	s_addc_u32 s4, s37, s1
	s_or_b32 s1, s8, s9
	v_cmp_gt_i64_e64 s0, s[14:15], v[1:2]
	s_bitset0_b32 s1, 31
	s_cmp_lg_u32 s1, 0
	s_mov_b32 s1, -1
	s_cbranch_scc1 .LBB241_23
; %bb.12:
	s_and_saveexec_b32 s5, s0
	s_cbranch_execz .LBB241_22
; %bb.13:
	v_mul_lo_u32 v5, v2, s28
	v_mul_lo_u32 v6, v1, s29
	v_mad_u64_u32 v[3:4], null, v1, s28, 0
	v_add3_u32 v4, v4, v6, v5
	v_add_co_u32 v5, s1, s34, v0
	v_add_co_ci_u32_e64 v6, null, s35, 0, s1
	v_lshlrev_b64 v[7:8], 3, v[3:4]
	v_cmp_gt_i64_e32 vcc_lo, s[12:13], v[5:6]
	v_lshlrev_b64 v[3:4], 3, v[5:6]
	v_add_co_u32 v7, s1, s3, v7
	v_add_co_ci_u32_e64 v8, null, s4, v8, s1
	s_and_saveexec_b32 s2, vcc_lo
	s_cbranch_execz .LBB241_15
; %bb.14:
	v_mul_f32_e32 v9, s19, v21
	v_mul_f32_e32 v15, s18, v21
	v_add_co_u32 v22, s1, v7, v3
	v_add_co_ci_u32_e64 v23, null, v8, v4, s1
	v_fma_f32 v14, v20, s18, -v9
	v_fmac_f32_e32 v15, s19, v20
	flat_store_dwordx2 v[22:23], v[14:15]
.LBB241_15:
	s_or_b32 exec_lo, exec_lo, s2
	v_add_co_u32 v5, s1, v5, 16
	v_add_co_ci_u32_e64 v6, null, 0, v6, s1
	v_cmp_gt_i64_e64 s1, s[12:13], v[5:6]
	s_and_saveexec_b32 s6, s1
	s_cbranch_execz .LBB241_17
; %bb.16:
	v_mul_f32_e32 v5, s19, v19
	v_mul_f32_e32 v6, s18, v19
	v_add_co_u32 v14, s2, v7, v3
	v_add_co_ci_u32_e64 v15, null, v8, v4, s2
	v_fma_f32 v5, v18, s18, -v5
	v_fmac_f32_e32 v6, s19, v18
	flat_store_dwordx2 v[14:15], v[5:6] offset:128
.LBB241_17:
	s_or_b32 exec_lo, exec_lo, s6
	v_add_co_u32 v5, s2, v1, 16
	v_add_co_ci_u32_e64 v6, null, 0, v2, s2
	v_cmp_gt_i64_e64 s2, s[14:15], v[5:6]
	s_and_b32 exec_lo, exec_lo, s2
	s_cbranch_execz .LBB241_22
; %bb.18:
	s_lshl_b64 s[6:7], s[28:29], 7
	v_add_co_u32 v5, s2, v7, s6
	v_add_co_ci_u32_e64 v6, null, s7, v8, s2
	v_add_co_u32 v3, s2, v5, v3
	v_add_co_ci_u32_e64 v4, null, v6, v4, s2
	s_and_saveexec_b32 s2, vcc_lo
	s_cbranch_execz .LBB241_20
; %bb.19:
	v_mul_f32_e32 v5, s19, v16
	v_mul_f32_e32 v6, s18, v16
	v_fma_f32 v5, v13, s18, -v5
	v_fmac_f32_e32 v6, s19, v13
	flat_store_dwordx2 v[3:4], v[5:6]
.LBB241_20:
	s_or_b32 exec_lo, exec_lo, s2
	s_and_b32 exec_lo, exec_lo, s1
	s_cbranch_execz .LBB241_22
; %bb.21:
	v_mul_f32_e32 v5, s19, v11
	v_mul_f32_e32 v6, s18, v11
	v_fma_f32 v5, v10, s18, -v5
	v_fmac_f32_e32 v6, s19, v10
	flat_store_dwordx2 v[3:4], v[5:6] offset:128
.LBB241_22:
	s_or_b32 exec_lo, exec_lo, s5
	s_mov_b32 s1, 0
.LBB241_23:
	s_andn2_b32 vcc_lo, exec_lo, s1
	s_cbranch_vccnz .LBB241_34
; %bb.24:
	s_and_saveexec_b32 s1, s0
	s_cbranch_execz .LBB241_34
; %bb.25:
	v_mul_lo_u32 v5, v2, s38
	v_mul_lo_u32 v6, v1, s39
	v_mad_u64_u32 v[3:4], null, v1, s38, 0
	v_mul_lo_u32 v9, v2, s28
	v_mul_lo_u32 v12, v1, s29
	v_mad_u64_u32 v[7:8], null, v1, s28, 0
	s_lshl_b64 s[0:1], s[40:41], 3
	v_add3_u32 v4, v4, v6, v5
	v_add_co_u32 v5, s2, s34, v0
	v_add_co_ci_u32_e64 v6, null, s35, 0, s2
	v_add3_u32 v8, v8, v12, v9
	v_lshlrev_b64 v[3:4], 3, v[3:4]
	s_add_u32 s0, s10, s0
	s_addc_u32 s1, s11, s1
	v_cmp_gt_i64_e32 vcc_lo, s[12:13], v[5:6]
	v_lshlrev_b64 v[8:9], 3, v[7:8]
	v_add_co_u32 v0, s0, s0, v3
	v_add_co_ci_u32_e64 v7, null, s1, v4, s0
	v_add_co_u32 v8, s0, s3, v8
	v_lshlrev_b64 v[3:4], 3, v[5:6]
	v_add_co_ci_u32_e64 v9, null, s4, v9, s0
	s_and_saveexec_b32 s1, vcc_lo
	s_cbranch_execz .LBB241_27
; %bb.26:
	v_add_co_u32 v14, s0, v0, v3
	v_add_co_ci_u32_e64 v15, null, v7, v4, s0
	v_mul_f32_e32 v12, s19, v21
	v_mul_f32_e32 v17, s18, v21
	flat_load_dwordx2 v[14:15], v[14:15]
	v_fma_f32 v12, v20, s18, -v12
	v_fmac_f32_e32 v17, s19, v20
	s_waitcnt vmcnt(0) lgkmcnt(0)
	v_mul_f32_e32 v21, s9, v15
	v_mul_f32_e32 v15, s8, v15
	v_fma_f32 v20, v14, s8, -v21
	v_fmac_f32_e32 v15, s9, v14
	v_add_f32_e32 v14, v12, v20
	v_add_co_u32 v20, s0, v8, v3
	v_add_f32_e32 v15, v17, v15
	v_add_co_ci_u32_e64 v21, null, v9, v4, s0
	flat_store_dwordx2 v[20:21], v[14:15]
.LBB241_27:
	s_or_b32 exec_lo, exec_lo, s1
	v_add_co_u32 v5, s0, v5, 16
	v_add_co_ci_u32_e64 v6, null, 0, v6, s0
	v_cmp_gt_i64_e64 s0, s[12:13], v[5:6]
	s_and_saveexec_b32 s2, s0
	s_cbranch_execz .LBB241_29
; %bb.28:
	v_add_co_u32 v5, s1, v0, v3
	v_add_co_ci_u32_e64 v6, null, v7, v4, s1
	v_mul_f32_e32 v14, s18, v19
	v_mul_f32_e32 v12, s19, v19
	flat_load_dwordx2 v[5:6], v[5:6] offset:128
	v_fmac_f32_e32 v14, s19, v18
	v_fma_f32 v12, v18, s18, -v12
	s_waitcnt vmcnt(0) lgkmcnt(0)
	v_mul_f32_e32 v15, s9, v6
	v_mul_f32_e32 v6, s8, v6
	v_fma_f32 v15, v5, s8, -v15
	v_fmac_f32_e32 v6, s9, v5
	v_add_f32_e32 v5, v12, v15
	v_add_f32_e32 v6, v14, v6
	v_add_co_u32 v14, s1, v8, v3
	v_add_co_ci_u32_e64 v15, null, v9, v4, s1
	flat_store_dwordx2 v[14:15], v[5:6] offset:128
.LBB241_29:
	s_or_b32 exec_lo, exec_lo, s2
	v_add_co_u32 v1, s1, v1, 16
	v_add_co_ci_u32_e64 v2, null, 0, v2, s1
	v_cmp_gt_i64_e64 s1, s[14:15], v[1:2]
	s_and_b32 exec_lo, exec_lo, s1
	s_cbranch_execz .LBB241_34
; %bb.30:
	s_lshl_b64 s[2:3], s[38:39], 7
	v_add_co_u32 v0, s1, v0, s2
	v_add_co_ci_u32_e64 v1, null, s3, v7, s1
	s_lshl_b64 s[2:3], s[28:29], 7
	v_add_co_u32 v2, s1, v8, s2
	v_add_co_ci_u32_e64 v7, null, s3, v9, s1
	v_add_co_u32 v5, s1, v0, v3
	v_add_co_ci_u32_e64 v6, null, v1, v4, s1
	;; [unrolled: 2-line block ×3, first 2 shown]
	s_and_saveexec_b32 s1, vcc_lo
	s_cbranch_execz .LBB241_32
; %bb.31:
	flat_load_dwordx2 v[2:3], v[5:6]
	v_mul_f32_e32 v4, s19, v16
	v_mul_f32_e32 v7, s18, v16
	v_fma_f32 v4, v13, s18, -v4
	v_fmac_f32_e32 v7, s19, v13
	s_waitcnt vmcnt(0) lgkmcnt(0)
	v_mul_f32_e32 v8, s9, v3
	v_mul_f32_e32 v3, s8, v3
	v_fma_f32 v8, v2, s8, -v8
	v_fmac_f32_e32 v3, s9, v2
	v_add_f32_e32 v2, v4, v8
	v_add_f32_e32 v3, v7, v3
	flat_store_dwordx2 v[0:1], v[2:3]
.LBB241_32:
	s_or_b32 exec_lo, exec_lo, s1
	s_and_b32 exec_lo, exec_lo, s0
	s_cbranch_execz .LBB241_34
; %bb.33:
	flat_load_dwordx2 v[2:3], v[5:6] offset:128
	v_mul_f32_e32 v4, s19, v11
	v_mul_f32_e32 v5, s18, v11
	v_fma_f32 v4, v10, s18, -v4
	v_fmac_f32_e32 v5, s19, v10
	s_waitcnt vmcnt(0) lgkmcnt(0)
	v_mul_f32_e32 v6, s9, v3
	v_mul_f32_e32 v3, s8, v3
	v_fma_f32 v6, v2, s8, -v6
	v_fmac_f32_e32 v3, s9, v2
	v_add_f32_e32 v2, v4, v6
	v_add_f32_e32 v3, v5, v3
	flat_store_dwordx2 v[0:1], v[2:3] offset:128
.LBB241_34:
	s_endpgm
	.section	.rodata,"a",@progbits
	.p2align	6, 0x0
	.amdhsa_kernel _ZN12_GLOBAL__N_135rocblas_gemm_batched_general_kernelI19rocblas_complex_numIfELi16ELi16ELi32ELi32ELi8ELi32ELi8ELi8ELi32ELc78ELc78EKPKS2_S5_KPS2_EEvlllT_PT11_llSA_llS8_PT12_llPT13_lli
		.amdhsa_group_segment_fixed_size 4096
		.amdhsa_private_segment_fixed_size 0
		.amdhsa_kernarg_size 140
		.amdhsa_user_sgpr_count 6
		.amdhsa_user_sgpr_private_segment_buffer 1
		.amdhsa_user_sgpr_dispatch_ptr 0
		.amdhsa_user_sgpr_queue_ptr 0
		.amdhsa_user_sgpr_kernarg_segment_ptr 1
		.amdhsa_user_sgpr_dispatch_id 0
		.amdhsa_user_sgpr_flat_scratch_init 0
		.amdhsa_user_sgpr_private_segment_size 0
		.amdhsa_wavefront_size32 1
		.amdhsa_uses_dynamic_stack 0
		.amdhsa_system_sgpr_private_segment_wavefront_offset 0
		.amdhsa_system_sgpr_workgroup_id_x 1
		.amdhsa_system_sgpr_workgroup_id_y 1
		.amdhsa_system_sgpr_workgroup_id_z 1
		.amdhsa_system_sgpr_workgroup_info 0
		.amdhsa_system_vgpr_workitem_id 1
		.amdhsa_next_free_vgpr 59
		.amdhsa_next_free_sgpr 46
		.amdhsa_reserve_vcc 1
		.amdhsa_reserve_flat_scratch 0
		.amdhsa_float_round_mode_32 0
		.amdhsa_float_round_mode_16_64 0
		.amdhsa_float_denorm_mode_32 3
		.amdhsa_float_denorm_mode_16_64 3
		.amdhsa_dx10_clamp 1
		.amdhsa_ieee_mode 1
		.amdhsa_fp16_overflow 0
		.amdhsa_workgroup_processor_mode 1
		.amdhsa_memory_ordered 1
		.amdhsa_forward_progress 1
		.amdhsa_shared_vgpr_count 0
		.amdhsa_exception_fp_ieee_invalid_op 0
		.amdhsa_exception_fp_denorm_src 0
		.amdhsa_exception_fp_ieee_div_zero 0
		.amdhsa_exception_fp_ieee_overflow 0
		.amdhsa_exception_fp_ieee_underflow 0
		.amdhsa_exception_fp_ieee_inexact 0
		.amdhsa_exception_int_div_zero 0
	.end_amdhsa_kernel
	.section	.text._ZN12_GLOBAL__N_135rocblas_gemm_batched_general_kernelI19rocblas_complex_numIfELi16ELi16ELi32ELi32ELi8ELi32ELi8ELi8ELi32ELc78ELc78EKPKS2_S5_KPS2_EEvlllT_PT11_llSA_llS8_PT12_llPT13_lli,"axG",@progbits,_ZN12_GLOBAL__N_135rocblas_gemm_batched_general_kernelI19rocblas_complex_numIfELi16ELi16ELi32ELi32ELi8ELi32ELi8ELi8ELi32ELc78ELc78EKPKS2_S5_KPS2_EEvlllT_PT11_llSA_llS8_PT12_llPT13_lli,comdat
.Lfunc_end241:
	.size	_ZN12_GLOBAL__N_135rocblas_gemm_batched_general_kernelI19rocblas_complex_numIfELi16ELi16ELi32ELi32ELi8ELi32ELi8ELi8ELi32ELc78ELc78EKPKS2_S5_KPS2_EEvlllT_PT11_llSA_llS8_PT12_llPT13_lli, .Lfunc_end241-_ZN12_GLOBAL__N_135rocblas_gemm_batched_general_kernelI19rocblas_complex_numIfELi16ELi16ELi32ELi32ELi8ELi32ELi8ELi8ELi32ELc78ELc78EKPKS2_S5_KPS2_EEvlllT_PT11_llSA_llS8_PT12_llPT13_lli
                                        ; -- End function
	.set _ZN12_GLOBAL__N_135rocblas_gemm_batched_general_kernelI19rocblas_complex_numIfELi16ELi16ELi32ELi32ELi8ELi32ELi8ELi8ELi32ELc78ELc78EKPKS2_S5_KPS2_EEvlllT_PT11_llSA_llS8_PT12_llPT13_lli.num_vgpr, 59
	.set _ZN12_GLOBAL__N_135rocblas_gemm_batched_general_kernelI19rocblas_complex_numIfELi16ELi16ELi32ELi32ELi8ELi32ELi8ELi8ELi32ELc78ELc78EKPKS2_S5_KPS2_EEvlllT_PT11_llSA_llS8_PT12_llPT13_lli.num_agpr, 0
	.set _ZN12_GLOBAL__N_135rocblas_gemm_batched_general_kernelI19rocblas_complex_numIfELi16ELi16ELi32ELi32ELi8ELi32ELi8ELi8ELi32ELc78ELc78EKPKS2_S5_KPS2_EEvlllT_PT11_llSA_llS8_PT12_llPT13_lli.numbered_sgpr, 46
	.set _ZN12_GLOBAL__N_135rocblas_gemm_batched_general_kernelI19rocblas_complex_numIfELi16ELi16ELi32ELi32ELi8ELi32ELi8ELi8ELi32ELc78ELc78EKPKS2_S5_KPS2_EEvlllT_PT11_llSA_llS8_PT12_llPT13_lli.num_named_barrier, 0
	.set _ZN12_GLOBAL__N_135rocblas_gemm_batched_general_kernelI19rocblas_complex_numIfELi16ELi16ELi32ELi32ELi8ELi32ELi8ELi8ELi32ELc78ELc78EKPKS2_S5_KPS2_EEvlllT_PT11_llSA_llS8_PT12_llPT13_lli.private_seg_size, 0
	.set _ZN12_GLOBAL__N_135rocblas_gemm_batched_general_kernelI19rocblas_complex_numIfELi16ELi16ELi32ELi32ELi8ELi32ELi8ELi8ELi32ELc78ELc78EKPKS2_S5_KPS2_EEvlllT_PT11_llSA_llS8_PT12_llPT13_lli.uses_vcc, 1
	.set _ZN12_GLOBAL__N_135rocblas_gemm_batched_general_kernelI19rocblas_complex_numIfELi16ELi16ELi32ELi32ELi8ELi32ELi8ELi8ELi32ELc78ELc78EKPKS2_S5_KPS2_EEvlllT_PT11_llSA_llS8_PT12_llPT13_lli.uses_flat_scratch, 0
	.set _ZN12_GLOBAL__N_135rocblas_gemm_batched_general_kernelI19rocblas_complex_numIfELi16ELi16ELi32ELi32ELi8ELi32ELi8ELi8ELi32ELc78ELc78EKPKS2_S5_KPS2_EEvlllT_PT11_llSA_llS8_PT12_llPT13_lli.has_dyn_sized_stack, 0
	.set _ZN12_GLOBAL__N_135rocblas_gemm_batched_general_kernelI19rocblas_complex_numIfELi16ELi16ELi32ELi32ELi8ELi32ELi8ELi8ELi32ELc78ELc78EKPKS2_S5_KPS2_EEvlllT_PT11_llSA_llS8_PT12_llPT13_lli.has_recursion, 0
	.set _ZN12_GLOBAL__N_135rocblas_gemm_batched_general_kernelI19rocblas_complex_numIfELi16ELi16ELi32ELi32ELi8ELi32ELi8ELi8ELi32ELc78ELc78EKPKS2_S5_KPS2_EEvlllT_PT11_llSA_llS8_PT12_llPT13_lli.has_indirect_call, 0
	.section	.AMDGPU.csdata,"",@progbits
; Kernel info:
; codeLenInByte = 2964
; TotalNumSgprs: 48
; NumVgprs: 59
; ScratchSize: 0
; MemoryBound: 1
; FloatMode: 240
; IeeeMode: 1
; LDSByteSize: 4096 bytes/workgroup (compile time only)
; SGPRBlocks: 0
; VGPRBlocks: 7
; NumSGPRsForWavesPerEU: 48
; NumVGPRsForWavesPerEU: 59
; Occupancy: 16
; WaveLimiterHint : 1
; COMPUTE_PGM_RSRC2:SCRATCH_EN: 0
; COMPUTE_PGM_RSRC2:USER_SGPR: 6
; COMPUTE_PGM_RSRC2:TRAP_HANDLER: 0
; COMPUTE_PGM_RSRC2:TGID_X_EN: 1
; COMPUTE_PGM_RSRC2:TGID_Y_EN: 1
; COMPUTE_PGM_RSRC2:TGID_Z_EN: 1
; COMPUTE_PGM_RSRC2:TIDIG_COMP_CNT: 1
	.section	.text._ZN12_GLOBAL__N_135rocblas_gemm_batched_general_kernelI19rocblas_complex_numIfELi16ELi16ELi32ELi32ELi8ELi32ELi8ELi8ELi32ELc84ELc78EKPKS2_S5_KPS2_EEvlllT_PT11_llSA_llS8_PT12_llPT13_lli,"axG",@progbits,_ZN12_GLOBAL__N_135rocblas_gemm_batched_general_kernelI19rocblas_complex_numIfELi16ELi16ELi32ELi32ELi8ELi32ELi8ELi8ELi32ELc84ELc78EKPKS2_S5_KPS2_EEvlllT_PT11_llSA_llS8_PT12_llPT13_lli,comdat
	.globl	_ZN12_GLOBAL__N_135rocblas_gemm_batched_general_kernelI19rocblas_complex_numIfELi16ELi16ELi32ELi32ELi8ELi32ELi8ELi8ELi32ELc84ELc78EKPKS2_S5_KPS2_EEvlllT_PT11_llSA_llS8_PT12_llPT13_lli ; -- Begin function _ZN12_GLOBAL__N_135rocblas_gemm_batched_general_kernelI19rocblas_complex_numIfELi16ELi16ELi32ELi32ELi8ELi32ELi8ELi8ELi32ELc84ELc78EKPKS2_S5_KPS2_EEvlllT_PT11_llSA_llS8_PT12_llPT13_lli
	.p2align	8
	.type	_ZN12_GLOBAL__N_135rocblas_gemm_batched_general_kernelI19rocblas_complex_numIfELi16ELi16ELi32ELi32ELi8ELi32ELi8ELi8ELi32ELc84ELc78EKPKS2_S5_KPS2_EEvlllT_PT11_llSA_llS8_PT12_llPT13_lli,@function
_ZN12_GLOBAL__N_135rocblas_gemm_batched_general_kernelI19rocblas_complex_numIfELi16ELi16ELi32ELi32ELi8ELi32ELi8ELi8ELi32ELc84ELc78EKPKS2_S5_KPS2_EEvlllT_PT11_llSA_llS8_PT12_llPT13_lli: ; @_ZN12_GLOBAL__N_135rocblas_gemm_batched_general_kernelI19rocblas_complex_numIfELi16ELi16ELi32ELi32ELi8ELi32ELi8ELi8ELi32ELc84ELc78EKPKS2_S5_KPS2_EEvlllT_PT11_llSA_llS8_PT12_llPT13_lli
; %bb.0:
	s_clause 0x1
	s_load_dwordx8 s[36:43], s[4:5], 0x58
	s_load_dwordx16 s[12:27], s[4:5], 0x0
	s_mov_b32 s9, 0
	s_load_dwordx4 s[28:31], s[4:5], 0x78
	s_lshl_b64 s[44:45], s[8:9], 3
	s_load_dwordx2 s[8:9], s[4:5], 0x50
	s_mov_b32 s0, s7
	v_mov_b32_e32 v20, 0
	v_mov_b32_e32 v21, 0
	;; [unrolled: 1-line block ×8, first 2 shown]
	s_waitcnt lgkmcnt(0)
	s_add_u32 s2, s36, s44
	s_addc_u32 s3, s37, s45
	s_add_u32 s34, s42, s44
	s_addc_u32 s35, s43, s45
	s_load_dwordx2 s[10:11], s[2:3], 0x0
	s_load_dwordx2 s[34:35], s[34:35], 0x0
	v_cmp_lt_i64_e64 s2, s[16:17], 1
	s_ashr_i32 s7, s6, 31
	s_ashr_i32 s1, s0, 31
	s_lshl_b64 s[6:7], s[6:7], 5
	s_lshl_b64 s[36:37], s[0:1], 5
	s_and_b32 vcc_lo, exec_lo, s2
	s_cbranch_vccnz .LBB242_11
; %bb.1:
	s_load_dwordx4 s[0:3], s[4:5], 0x40
	v_lshl_add_u32 v3, v1, 4, v0
	s_add_u32 s4, s26, s44
	v_and_b32_e32 v8, 7, v0
	v_mov_b32_e32 v4, s7
	s_addc_u32 s5, s27, s45
	v_lshrrev_b32_e32 v7, 3, v3
	v_and_b32_e32 v10, 31, v3
	v_lshrrev_b32_e32 v9, 5, v3
	s_add_u32 s20, s20, s44
	s_load_dwordx2 s[4:5], s[4:5], 0x0
	v_add_co_u32 v5, s26, v7, s36
	v_add_co_ci_u32_e64 v6, null, 0, s37, s26
	v_or_b32_e32 v3, s6, v10
	v_lshlrev_b32_e32 v13, 3, v10
	s_addc_u32 s21, s21, s45
	v_lshlrev_b32_e32 v12, 3, v8
	s_load_dwordx2 s[20:21], s[20:21], 0x0
	s_waitcnt lgkmcnt(0)
	v_mul_lo_u32 v14, s1, v5
	v_add_co_u32 v15, s1, s6, v10
	v_add_co_ci_u32_e64 v16, null, s7, 0, s1
	v_mul_lo_u32 v17, s0, v6
	v_mad_u64_u32 v[10:11], null, s0, v5, 0
	v_mul_lo_u32 v20, s23, v15
	v_mul_lo_u32 v16, s22, v16
	v_mad_u64_u32 v[18:19], null, s22, v15, 0
	v_cmp_gt_i64_e32 vcc_lo, s[12:13], v[3:4]
	v_cmp_gt_i64_e64 s0, s[14:15], v[5:6]
	v_add3_u32 v11, v11, v17, v14
	s_lshl_b64 s[2:3], s[2:3], 3
	v_lshl_or_b32 v7, v7, 6, v12
	v_mov_b32_e32 v2, 0
	v_add3_u32 v19, v19, v16, v20
	v_lshlrev_b64 v[3:4], 3, v[10:11]
	v_lshl_or_b32 v13, v9, 8, v13
	v_add_nc_u32_e32 v14, 0x800, v7
	v_lshlrev_b32_e32 v7, 3, v9
	v_lshlrev_b64 v[5:6], 3, v[18:19]
	v_lshlrev_b32_e32 v16, 3, v0
	v_add_co_u32 v3, s1, v3, s2
	v_add_co_ci_u32_e64 v4, null, s3, v4, s1
	s_lshl_b64 s[2:3], s[24:25], 3
	v_lshl_add_u32 v17, v1, 6, 0x800
	v_add_co_u32 v5, s1, v5, s2
	v_add_co_ci_u32_e64 v6, null, s3, v6, s1
	v_add_co_u32 v3, s1, v3, v12
	v_add_co_ci_u32_e64 v10, null, 0, v4, s1
	;; [unrolled: 2-line block ×5, first 2 shown]
	v_mov_b32_e32 v11, 0
	v_mov_b32_e32 v10, 0
	;; [unrolled: 1-line block ×8, first 2 shown]
	s_mov_b64 s[2:3], 0
	s_xor_b32 s1, vcc_lo, -1
	s_xor_b32 s0, s0, -1
	s_branch .LBB242_3
.LBB242_2:                              ;   in Loop: Header=BB242_3 Depth=1
	s_or_b32 exec_lo, exec_lo, s4
	s_waitcnt lgkmcnt(0)
	s_barrier
	buffer_gl0_inv
	ds_read_b128 v[22:25], v17
	ds_read2_b64 v[26:29], v16 offset1:16
	ds_read_b128 v[30:33], v17 offset:1024
	ds_read_b128 v[34:37], v17 offset:16
	ds_read_b128 v[38:41], v17 offset:32
	ds_read_b128 v[42:45], v17 offset:48
	ds_read2_b64 v[46:49], v16 offset0:32 offset1:48
	ds_read_b128 v[50:53], v17 offset:1040
	s_add_u32 s2, s2, 8
	s_addc_u32 s3, s3, 0
	v_add_co_u32 v4, vcc_lo, v4, 64
	v_cmp_lt_i64_e64 s4, s[2:3], s[16:17]
	v_add_co_ci_u32_e64 v5, null, 0, v5, vcc_lo
	v_add_co_u32 v6, vcc_lo, v6, 64
	v_add_co_ci_u32_e64 v7, null, 0, v7, vcc_lo
	s_and_b32 vcc_lo, exec_lo, s4
	s_waitcnt lgkmcnt(6)
	v_mul_f32_e32 v3, v23, v27
	v_mul_f32_e32 v54, v22, v27
	;; [unrolled: 1-line block ×4, first 2 shown]
	s_waitcnt lgkmcnt(5)
	v_mul_f32_e32 v57, v31, v27
	v_mul_f32_e32 v27, v30, v27
	v_mul_f32_e32 v58, v31, v29
	v_fma_f32 v3, v22, v26, -v3
	v_fmac_f32_e32 v54, v23, v26
	v_fma_f32 v22, v22, v28, -v55
	v_fmac_f32_e32 v56, v23, v28
	v_fma_f32 v23, v30, v26, -v57
	v_mul_f32_e32 v29, v30, v29
	v_fmac_f32_e32 v27, v31, v26
	v_fma_f32 v26, v30, v28, -v58
	v_add_f32_e32 v3, v20, v3
	v_add_f32_e32 v30, v21, v54
	;; [unrolled: 1-line block ×5, first 2 shown]
	s_waitcnt lgkmcnt(1)
	v_mul_f32_e32 v23, v25, v47
	ds_read2_b64 v[18:21], v16 offset0:64 offset1:80
	v_add_f32_e32 v15, v15, v27
	v_mul_f32_e32 v27, v25, v49
	v_fmac_f32_e32 v29, v31, v28
	v_fma_f32 v23, v24, v46, -v23
	v_add_f32_e32 v10, v10, v26
	v_mul_f32_e32 v26, v24, v47
	v_mul_f32_e32 v28, v24, v49
	v_add_f32_e32 v11, v11, v29
	v_add_f32_e32 v3, v3, v23
	v_fma_f32 v23, v24, v48, -v27
	v_mul_f32_e32 v24, v33, v47
	v_fmac_f32_e32 v26, v25, v46
	v_fmac_f32_e32 v28, v25, v48
	v_mul_f32_e32 v25, v32, v47
	v_add_f32_e32 v27, v22, v23
	v_fma_f32 v22, v32, v46, -v24
	v_mul_f32_e32 v23, v33, v49
	v_add_f32_e32 v26, v30, v26
	v_fmac_f32_e32 v25, v33, v46
	v_mul_f32_e32 v29, v32, v49
	v_add_f32_e32 v12, v12, v22
	v_fma_f32 v22, v32, v48, -v23
	s_waitcnt lgkmcnt(0)
	v_mul_f32_e32 v23, v35, v19
	v_mul_f32_e32 v30, v34, v19
	;; [unrolled: 1-line block ×3, first 2 shown]
	v_add_f32_e32 v15, v15, v25
	v_add_f32_e32 v10, v10, v22
	v_fma_f32 v31, v34, v18, -v23
	ds_read2_b64 v[22:25], v16 offset0:96 offset1:112
	v_fmac_f32_e32 v30, v35, v18
	v_fmac_f32_e32 v29, v33, v48
	v_add_f32_e32 v28, v54, v28
	v_add_f32_e32 v3, v3, v31
	v_fma_f32 v31, v34, v20, -v32
	v_add_f32_e32 v26, v26, v30
	v_mul_f32_e32 v30, v51, v19
	v_mul_f32_e32 v19, v50, v19
	v_add_f32_e32 v11, v11, v29
	v_add_f32_e32 v27, v27, v31
	v_mul_f32_e32 v31, v51, v21
	v_mul_f32_e32 v29, v34, v21
	v_fma_f32 v30, v50, v18, -v30
	v_fmac_f32_e32 v19, v51, v18
	v_mul_f32_e32 v32, v50, v21
	v_fma_f32 v18, v50, v20, -v31
	v_fmac_f32_e32 v29, v35, v20
	v_add_f32_e32 v12, v12, v30
	v_add_f32_e32 v15, v15, v19
	v_fmac_f32_e32 v32, v51, v20
	v_add_f32_e32 v10, v10, v18
	ds_read2_b64 v[18:21], v16 offset0:128 offset1:144
	v_add_f32_e32 v33, v28, v29
	s_waitcnt lgkmcnt(1)
	v_mul_f32_e32 v28, v37, v23
	v_mul_f32_e32 v29, v36, v23
	;; [unrolled: 1-line block ×4, first 2 shown]
	v_add_f32_e32 v11, v11, v32
	v_fma_f32 v28, v36, v22, -v28
	v_fmac_f32_e32 v29, v37, v22
	v_fma_f32 v30, v36, v24, -v30
	v_fmac_f32_e32 v31, v37, v24
	v_mul_f32_e32 v32, v53, v25
	v_add_f32_e32 v3, v3, v28
	v_mul_f32_e32 v28, v53, v23
	v_mul_f32_e32 v23, v52, v23
	v_add_f32_e32 v34, v26, v29
	v_add_f32_e32 v35, v27, v30
	;; [unrolled: 1-line block ×3, first 2 shown]
	v_fma_f32 v30, v52, v22, -v28
	ds_read_b128 v[26:29], v17 offset:1056
	v_fmac_f32_e32 v23, v53, v22
	v_mul_f32_e32 v31, v52, v25
	v_fma_f32 v22, v52, v24, -v32
	s_waitcnt lgkmcnt(1)
	v_mul_f32_e32 v25, v39, v19
	v_add_f32_e32 v12, v12, v30
	v_add_f32_e32 v15, v15, v23
	v_fmac_f32_e32 v31, v53, v24
	v_add_f32_e32 v10, v10, v22
	v_fma_f32 v30, v38, v18, -v25
	ds_read2_b64 v[22:25], v16 offset0:160 offset1:176
	v_mul_f32_e32 v32, v39, v21
	v_mul_f32_e32 v37, v38, v19
	;; [unrolled: 1-line block ×3, first 2 shown]
	v_add_f32_e32 v11, v11, v31
	v_add_f32_e32 v3, v3, v30
	v_fma_f32 v38, v38, v20, -v32
	v_fmac_f32_e32 v37, v39, v18
	ds_read_b128 v[30:33], v17 offset:1072
	v_fmac_f32_e32 v46, v39, v20
	s_waitcnt lgkmcnt(2)
	v_mul_f32_e32 v47, v27, v19
	v_mul_f32_e32 v19, v26, v19
	v_add_f32_e32 v35, v35, v38
	v_mul_f32_e32 v38, v27, v21
	v_add_f32_e32 v34, v34, v37
	v_fma_f32 v37, v26, v18, -v47
	v_fmac_f32_e32 v19, v27, v18
	v_mul_f32_e32 v39, v26, v21
	v_fma_f32 v18, v26, v20, -v38
	v_add_f32_e32 v36, v36, v46
	s_waitcnt lgkmcnt(1)
	v_mul_f32_e32 v21, v41, v23
	v_add_f32_e32 v12, v12, v37
	v_add_f32_e32 v15, v15, v19
	v_fmac_f32_e32 v39, v27, v20
	v_mul_f32_e32 v26, v40, v23
	v_add_f32_e32 v10, v10, v18
	v_fma_f32 v27, v40, v22, -v21
	ds_read2_b64 v[18:21], v16 offset0:192 offset1:208
	v_mul_f32_e32 v37, v41, v25
	v_fmac_f32_e32 v26, v41, v22
	v_add_f32_e32 v11, v11, v39
	v_add_f32_e32 v3, v3, v27
	v_mul_f32_e32 v27, v40, v25
	v_fma_f32 v37, v40, v24, -v37
	v_add_f32_e32 v26, v34, v26
	v_mul_f32_e32 v34, v29, v23
	v_mul_f32_e32 v23, v28, v23
	v_fmac_f32_e32 v27, v41, v24
	v_add_f32_e32 v35, v35, v37
	v_mul_f32_e32 v37, v29, v25
	v_fma_f32 v34, v28, v22, -v34
	v_fmac_f32_e32 v23, v29, v22
	v_add_f32_e32 v27, v36, v27
	v_mul_f32_e32 v36, v28, v25
	v_fma_f32 v22, v28, v24, -v37
	v_add_f32_e32 v12, v12, v34
	v_add_f32_e32 v15, v15, v23
	s_waitcnt lgkmcnt(0)
	v_mul_f32_e32 v28, v43, v19
	v_fmac_f32_e32 v36, v29, v24
	v_add_f32_e32 v10, v10, v22
	ds_read2_b64 v[22:25], v16 offset0:224 offset1:240
	v_mul_f32_e32 v29, v42, v19
	v_fma_f32 v28, v42, v18, -v28
	v_mul_f32_e32 v34, v43, v21
	v_add_f32_e32 v11, v11, v36
	v_mul_f32_e32 v36, v42, v21
	v_fmac_f32_e32 v29, v43, v18
	v_add_f32_e32 v3, v3, v28
	v_mul_f32_e32 v28, v31, v19
	v_fma_f32 v34, v42, v20, -v34
	v_mul_f32_e32 v19, v30, v19
	v_add_f32_e32 v26, v26, v29
	v_fmac_f32_e32 v36, v43, v20
	v_fma_f32 v28, v30, v18, -v28
	v_add_f32_e32 v29, v35, v34
	v_mul_f32_e32 v34, v31, v21
	v_fmac_f32_e32 v19, v31, v18
	v_mul_f32_e32 v18, v30, v21
	v_add_f32_e32 v12, v12, v28
	v_add_f32_e32 v27, v27, v36
	v_fma_f32 v21, v30, v20, -v34
	s_waitcnt lgkmcnt(0)
	v_mul_f32_e32 v28, v45, v23
	v_mul_f32_e32 v30, v44, v23
	v_add_f32_e32 v15, v15, v19
	v_fmac_f32_e32 v18, v31, v20
	v_add_f32_e32 v10, v10, v21
	v_fma_f32 v19, v44, v22, -v28
	v_fmac_f32_e32 v30, v45, v22
	v_mul_f32_e32 v28, v45, v25
	v_mul_f32_e32 v31, v44, v25
	v_add_f32_e32 v11, v11, v18
	v_add_f32_e32 v20, v3, v19
	;; [unrolled: 1-line block ×3, first 2 shown]
	v_fma_f32 v3, v44, v24, -v28
	v_mul_f32_e32 v19, v33, v23
	v_mul_f32_e32 v23, v32, v23
	;; [unrolled: 1-line block ×4, first 2 shown]
	v_fmac_f32_e32 v31, v45, v24
	v_add_f32_e32 v18, v29, v3
	v_fma_f32 v3, v32, v22, -v19
	v_fmac_f32_e32 v23, v33, v22
	v_fma_f32 v22, v32, v24, -v26
	v_fmac_f32_e32 v25, v33, v24
	v_add_f32_e32 v19, v27, v31
	v_add_f32_e32 v12, v12, v3
	v_add_f32_e32 v15, v15, v23
	v_add_f32_e32 v10, v10, v22
	v_add_f32_e32 v11, v11, v25
	s_barrier
	buffer_gl0_inv
	s_cbranch_vccz .LBB242_11
.LBB242_3:                              ; =>This Inner Loop Header: Depth=1
	v_add_co_u32 v22, s4, v9, s2
	v_add_co_ci_u32_e64 v23, null, 0, s3, s4
	v_cmp_le_i64_e32 vcc_lo, s[16:17], v[22:23]
	s_or_b32 s4, s1, vcc_lo
	s_and_saveexec_b32 s5, s4
	s_xor_b32 s4, exec_lo, s5
; %bb.4:                                ;   in Loop: Header=BB242_3 Depth=1
	v_mov_b32_e32 v3, v2
	ds_write_b64 v13, v[2:3]
; %bb.5:                                ;   in Loop: Header=BB242_3 Depth=1
	s_andn2_saveexec_b32 s4, s4
	s_cbranch_execz .LBB242_7
; %bb.6:                                ;   in Loop: Header=BB242_3 Depth=1
	flat_load_dwordx2 v[22:23], v[6:7]
	s_waitcnt vmcnt(0) lgkmcnt(0)
	ds_write_b64 v13, v[22:23]
.LBB242_7:                              ;   in Loop: Header=BB242_3 Depth=1
	s_or_b32 exec_lo, exec_lo, s4
	v_add_co_u32 v22, s4, v8, s2
	v_add_co_ci_u32_e64 v23, null, 0, s3, s4
	v_cmp_le_i64_e32 vcc_lo, s[16:17], v[22:23]
	s_or_b32 s4, vcc_lo, s0
	s_and_saveexec_b32 s5, s4
	s_xor_b32 s4, exec_lo, s5
; %bb.8:                                ;   in Loop: Header=BB242_3 Depth=1
	v_mov_b32_e32 v3, v2
	ds_write_b64 v14, v[2:3]
; %bb.9:                                ;   in Loop: Header=BB242_3 Depth=1
	s_andn2_saveexec_b32 s4, s4
	s_cbranch_execz .LBB242_2
; %bb.10:                               ;   in Loop: Header=BB242_3 Depth=1
	flat_load_dwordx2 v[22:23], v[4:5]
	s_waitcnt vmcnt(0) lgkmcnt(0)
	ds_write_b64 v14, v[22:23]
	s_branch .LBB242_2
.LBB242_11:
	v_add_co_u32 v1, s2, s36, v1
	v_add_co_ci_u32_e64 v2, null, s37, 0, s2
	s_lshl_b64 s[0:1], s[30:31], 3
	s_waitcnt lgkmcnt(0)
	s_add_u32 s3, s34, s0
	s_addc_u32 s4, s35, s1
	s_or_b32 s1, s8, s9
	v_cmp_gt_i64_e64 s0, s[14:15], v[1:2]
	s_bitset0_b32 s1, 31
	s_cmp_lg_u32 s1, 0
	s_mov_b32 s1, -1
	s_cbranch_scc1 .LBB242_23
; %bb.12:
	s_and_saveexec_b32 s5, s0
	s_cbranch_execz .LBB242_22
; %bb.13:
	v_mul_lo_u32 v5, v2, s28
	v_mul_lo_u32 v6, v1, s29
	v_mad_u64_u32 v[3:4], null, v1, s28, 0
	v_add3_u32 v4, v4, v6, v5
	v_add_co_u32 v5, s1, s6, v0
	v_add_co_ci_u32_e64 v6, null, s7, 0, s1
	v_lshlrev_b64 v[7:8], 3, v[3:4]
	v_cmp_gt_i64_e32 vcc_lo, s[12:13], v[5:6]
	v_lshlrev_b64 v[3:4], 3, v[5:6]
	v_add_co_u32 v7, s1, s3, v7
	v_add_co_ci_u32_e64 v8, null, s4, v8, s1
	s_and_saveexec_b32 s2, vcc_lo
	s_cbranch_execz .LBB242_15
; %bb.14:
	v_mul_f32_e32 v9, s19, v21
	v_mul_f32_e32 v14, s18, v21
	v_add_co_u32 v16, s1, v7, v3
	v_add_co_ci_u32_e64 v17, null, v8, v4, s1
	v_fma_f32 v13, v20, s18, -v9
	v_fmac_f32_e32 v14, s19, v20
	flat_store_dwordx2 v[16:17], v[13:14]
.LBB242_15:
	s_or_b32 exec_lo, exec_lo, s2
	v_add_co_u32 v5, s1, v5, 16
	v_add_co_ci_u32_e64 v6, null, 0, v6, s1
	v_cmp_gt_i64_e64 s1, s[12:13], v[5:6]
	s_and_saveexec_b32 s16, s1
	s_cbranch_execz .LBB242_17
; %bb.16:
	v_mul_f32_e32 v5, s19, v19
	v_mul_f32_e32 v6, s18, v19
	v_add_co_u32 v13, s2, v7, v3
	v_add_co_ci_u32_e64 v14, null, v8, v4, s2
	v_fma_f32 v5, v18, s18, -v5
	v_fmac_f32_e32 v6, s19, v18
	flat_store_dwordx2 v[13:14], v[5:6] offset:128
.LBB242_17:
	s_or_b32 exec_lo, exec_lo, s16
	v_add_co_u32 v5, s2, v1, 16
	v_add_co_ci_u32_e64 v6, null, 0, v2, s2
	v_cmp_gt_i64_e64 s2, s[14:15], v[5:6]
	s_and_b32 exec_lo, exec_lo, s2
	s_cbranch_execz .LBB242_22
; %bb.18:
	s_lshl_b64 s[16:17], s[28:29], 7
	v_add_co_u32 v5, s2, v7, s16
	v_add_co_ci_u32_e64 v6, null, s17, v8, s2
	v_add_co_u32 v3, s2, v5, v3
	v_add_co_ci_u32_e64 v4, null, v6, v4, s2
	s_and_saveexec_b32 s2, vcc_lo
	s_cbranch_execz .LBB242_20
; %bb.19:
	v_mul_f32_e32 v5, s19, v15
	v_mul_f32_e32 v6, s18, v15
	v_fma_f32 v5, v12, s18, -v5
	v_fmac_f32_e32 v6, s19, v12
	flat_store_dwordx2 v[3:4], v[5:6]
.LBB242_20:
	s_or_b32 exec_lo, exec_lo, s2
	s_and_b32 exec_lo, exec_lo, s1
	s_cbranch_execz .LBB242_22
; %bb.21:
	v_mul_f32_e32 v5, s19, v11
	v_mul_f32_e32 v6, s18, v11
	v_fma_f32 v5, v10, s18, -v5
	v_fmac_f32_e32 v6, s19, v10
	flat_store_dwordx2 v[3:4], v[5:6] offset:128
.LBB242_22:
	s_or_b32 exec_lo, exec_lo, s5
	s_mov_b32 s1, 0
.LBB242_23:
	s_andn2_b32 vcc_lo, exec_lo, s1
	s_cbranch_vccnz .LBB242_34
; %bb.24:
	s_and_saveexec_b32 s1, s0
	s_cbranch_execz .LBB242_34
; %bb.25:
	v_mul_lo_u32 v5, v2, s38
	v_mul_lo_u32 v6, v1, s39
	v_mad_u64_u32 v[3:4], null, v1, s38, 0
	v_mul_lo_u32 v9, v2, s28
	v_mul_lo_u32 v13, v1, s29
	v_mad_u64_u32 v[7:8], null, v1, s28, 0
	s_lshl_b64 s[0:1], s[40:41], 3
	v_add3_u32 v4, v4, v6, v5
	v_add_co_u32 v5, s2, s6, v0
	v_add_co_ci_u32_e64 v6, null, s7, 0, s2
	v_add3_u32 v8, v8, v13, v9
	v_lshlrev_b64 v[3:4], 3, v[3:4]
	s_add_u32 s0, s10, s0
	s_addc_u32 s1, s11, s1
	v_cmp_gt_i64_e32 vcc_lo, s[12:13], v[5:6]
	v_lshlrev_b64 v[8:9], 3, v[7:8]
	v_add_co_u32 v0, s0, s0, v3
	v_add_co_ci_u32_e64 v7, null, s1, v4, s0
	v_add_co_u32 v8, s0, s3, v8
	v_lshlrev_b64 v[3:4], 3, v[5:6]
	v_add_co_ci_u32_e64 v9, null, s4, v9, s0
	s_and_saveexec_b32 s1, vcc_lo
	s_cbranch_execz .LBB242_27
; %bb.26:
	v_add_co_u32 v13, s0, v0, v3
	v_add_co_ci_u32_e64 v14, null, v7, v4, s0
	v_mul_f32_e32 v16, s19, v21
	v_mul_f32_e32 v17, s18, v21
	flat_load_dwordx2 v[13:14], v[13:14]
	v_fma_f32 v16, v20, s18, -v16
	v_fmac_f32_e32 v17, s19, v20
	s_waitcnt vmcnt(0) lgkmcnt(0)
	v_mul_f32_e32 v21, s9, v14
	v_mul_f32_e32 v14, s8, v14
	v_fma_f32 v20, v13, s8, -v21
	v_fmac_f32_e32 v14, s9, v13
	v_add_f32_e32 v13, v16, v20
	v_add_co_u32 v16, s0, v8, v3
	v_add_f32_e32 v14, v17, v14
	v_add_co_ci_u32_e64 v17, null, v9, v4, s0
	flat_store_dwordx2 v[16:17], v[13:14]
.LBB242_27:
	s_or_b32 exec_lo, exec_lo, s1
	v_add_co_u32 v5, s0, v5, 16
	v_add_co_ci_u32_e64 v6, null, 0, v6, s0
	v_cmp_gt_i64_e64 s0, s[12:13], v[5:6]
	s_and_saveexec_b32 s2, s0
	s_cbranch_execz .LBB242_29
; %bb.28:
	v_add_co_u32 v5, s1, v0, v3
	v_add_co_ci_u32_e64 v6, null, v7, v4, s1
	v_mul_f32_e32 v13, s19, v19
	v_mul_f32_e32 v14, s18, v19
	flat_load_dwordx2 v[5:6], v[5:6] offset:128
	v_fma_f32 v13, v18, s18, -v13
	v_fmac_f32_e32 v14, s19, v18
	s_waitcnt vmcnt(0) lgkmcnt(0)
	v_mul_f32_e32 v16, s9, v6
	v_mul_f32_e32 v6, s8, v6
	v_fma_f32 v16, v5, s8, -v16
	v_fmac_f32_e32 v6, s9, v5
	v_add_f32_e32 v5, v13, v16
	v_add_co_u32 v13, s1, v8, v3
	v_add_f32_e32 v6, v14, v6
	v_add_co_ci_u32_e64 v14, null, v9, v4, s1
	flat_store_dwordx2 v[13:14], v[5:6] offset:128
.LBB242_29:
	s_or_b32 exec_lo, exec_lo, s2
	v_add_co_u32 v1, s1, v1, 16
	v_add_co_ci_u32_e64 v2, null, 0, v2, s1
	v_cmp_gt_i64_e64 s1, s[14:15], v[1:2]
	s_and_b32 exec_lo, exec_lo, s1
	s_cbranch_execz .LBB242_34
; %bb.30:
	s_lshl_b64 s[2:3], s[38:39], 7
	v_add_co_u32 v0, s1, v0, s2
	v_add_co_ci_u32_e64 v1, null, s3, v7, s1
	s_lshl_b64 s[2:3], s[28:29], 7
	v_add_co_u32 v2, s1, v8, s2
	v_add_co_ci_u32_e64 v7, null, s3, v9, s1
	v_add_co_u32 v5, s1, v0, v3
	v_add_co_ci_u32_e64 v6, null, v1, v4, s1
	;; [unrolled: 2-line block ×3, first 2 shown]
	s_and_saveexec_b32 s1, vcc_lo
	s_cbranch_execz .LBB242_32
; %bb.31:
	flat_load_dwordx2 v[2:3], v[5:6]
	v_mul_f32_e32 v4, s19, v15
	v_mul_f32_e32 v7, s18, v15
	v_fma_f32 v4, v12, s18, -v4
	v_fmac_f32_e32 v7, s19, v12
	s_waitcnt vmcnt(0) lgkmcnt(0)
	v_mul_f32_e32 v8, s9, v3
	v_mul_f32_e32 v3, s8, v3
	v_fma_f32 v8, v2, s8, -v8
	v_fmac_f32_e32 v3, s9, v2
	v_add_f32_e32 v2, v4, v8
	v_add_f32_e32 v3, v7, v3
	flat_store_dwordx2 v[0:1], v[2:3]
.LBB242_32:
	s_or_b32 exec_lo, exec_lo, s1
	s_and_b32 exec_lo, exec_lo, s0
	s_cbranch_execz .LBB242_34
; %bb.33:
	flat_load_dwordx2 v[2:3], v[5:6] offset:128
	v_mul_f32_e32 v4, s19, v11
	v_mul_f32_e32 v5, s18, v11
	v_fma_f32 v4, v10, s18, -v4
	v_fmac_f32_e32 v5, s19, v10
	s_waitcnt vmcnt(0) lgkmcnt(0)
	v_mul_f32_e32 v6, s9, v3
	v_mul_f32_e32 v3, s8, v3
	v_fma_f32 v6, v2, s8, -v6
	v_fmac_f32_e32 v3, s9, v2
	v_add_f32_e32 v2, v4, v6
	v_add_f32_e32 v3, v5, v3
	flat_store_dwordx2 v[0:1], v[2:3] offset:128
.LBB242_34:
	s_endpgm
	.section	.rodata,"a",@progbits
	.p2align	6, 0x0
	.amdhsa_kernel _ZN12_GLOBAL__N_135rocblas_gemm_batched_general_kernelI19rocblas_complex_numIfELi16ELi16ELi32ELi32ELi8ELi32ELi8ELi8ELi32ELc84ELc78EKPKS2_S5_KPS2_EEvlllT_PT11_llSA_llS8_PT12_llPT13_lli
		.amdhsa_group_segment_fixed_size 4096
		.amdhsa_private_segment_fixed_size 0
		.amdhsa_kernarg_size 140
		.amdhsa_user_sgpr_count 6
		.amdhsa_user_sgpr_private_segment_buffer 1
		.amdhsa_user_sgpr_dispatch_ptr 0
		.amdhsa_user_sgpr_queue_ptr 0
		.amdhsa_user_sgpr_kernarg_segment_ptr 1
		.amdhsa_user_sgpr_dispatch_id 0
		.amdhsa_user_sgpr_flat_scratch_init 0
		.amdhsa_user_sgpr_private_segment_size 0
		.amdhsa_wavefront_size32 1
		.amdhsa_uses_dynamic_stack 0
		.amdhsa_system_sgpr_private_segment_wavefront_offset 0
		.amdhsa_system_sgpr_workgroup_id_x 1
		.amdhsa_system_sgpr_workgroup_id_y 1
		.amdhsa_system_sgpr_workgroup_id_z 1
		.amdhsa_system_sgpr_workgroup_info 0
		.amdhsa_system_vgpr_workitem_id 1
		.amdhsa_next_free_vgpr 59
		.amdhsa_next_free_sgpr 46
		.amdhsa_reserve_vcc 1
		.amdhsa_reserve_flat_scratch 0
		.amdhsa_float_round_mode_32 0
		.amdhsa_float_round_mode_16_64 0
		.amdhsa_float_denorm_mode_32 3
		.amdhsa_float_denorm_mode_16_64 3
		.amdhsa_dx10_clamp 1
		.amdhsa_ieee_mode 1
		.amdhsa_fp16_overflow 0
		.amdhsa_workgroup_processor_mode 1
		.amdhsa_memory_ordered 1
		.amdhsa_forward_progress 1
		.amdhsa_shared_vgpr_count 0
		.amdhsa_exception_fp_ieee_invalid_op 0
		.amdhsa_exception_fp_denorm_src 0
		.amdhsa_exception_fp_ieee_div_zero 0
		.amdhsa_exception_fp_ieee_overflow 0
		.amdhsa_exception_fp_ieee_underflow 0
		.amdhsa_exception_fp_ieee_inexact 0
		.amdhsa_exception_int_div_zero 0
	.end_amdhsa_kernel
	.section	.text._ZN12_GLOBAL__N_135rocblas_gemm_batched_general_kernelI19rocblas_complex_numIfELi16ELi16ELi32ELi32ELi8ELi32ELi8ELi8ELi32ELc84ELc78EKPKS2_S5_KPS2_EEvlllT_PT11_llSA_llS8_PT12_llPT13_lli,"axG",@progbits,_ZN12_GLOBAL__N_135rocblas_gemm_batched_general_kernelI19rocblas_complex_numIfELi16ELi16ELi32ELi32ELi8ELi32ELi8ELi8ELi32ELc84ELc78EKPKS2_S5_KPS2_EEvlllT_PT11_llSA_llS8_PT12_llPT13_lli,comdat
.Lfunc_end242:
	.size	_ZN12_GLOBAL__N_135rocblas_gemm_batched_general_kernelI19rocblas_complex_numIfELi16ELi16ELi32ELi32ELi8ELi32ELi8ELi8ELi32ELc84ELc78EKPKS2_S5_KPS2_EEvlllT_PT11_llSA_llS8_PT12_llPT13_lli, .Lfunc_end242-_ZN12_GLOBAL__N_135rocblas_gemm_batched_general_kernelI19rocblas_complex_numIfELi16ELi16ELi32ELi32ELi8ELi32ELi8ELi8ELi32ELc84ELc78EKPKS2_S5_KPS2_EEvlllT_PT11_llSA_llS8_PT12_llPT13_lli
                                        ; -- End function
	.set _ZN12_GLOBAL__N_135rocblas_gemm_batched_general_kernelI19rocblas_complex_numIfELi16ELi16ELi32ELi32ELi8ELi32ELi8ELi8ELi32ELc84ELc78EKPKS2_S5_KPS2_EEvlllT_PT11_llSA_llS8_PT12_llPT13_lli.num_vgpr, 59
	.set _ZN12_GLOBAL__N_135rocblas_gemm_batched_general_kernelI19rocblas_complex_numIfELi16ELi16ELi32ELi32ELi8ELi32ELi8ELi8ELi32ELc84ELc78EKPKS2_S5_KPS2_EEvlllT_PT11_llSA_llS8_PT12_llPT13_lli.num_agpr, 0
	.set _ZN12_GLOBAL__N_135rocblas_gemm_batched_general_kernelI19rocblas_complex_numIfELi16ELi16ELi32ELi32ELi8ELi32ELi8ELi8ELi32ELc84ELc78EKPKS2_S5_KPS2_EEvlllT_PT11_llSA_llS8_PT12_llPT13_lli.numbered_sgpr, 46
	.set _ZN12_GLOBAL__N_135rocblas_gemm_batched_general_kernelI19rocblas_complex_numIfELi16ELi16ELi32ELi32ELi8ELi32ELi8ELi8ELi32ELc84ELc78EKPKS2_S5_KPS2_EEvlllT_PT11_llSA_llS8_PT12_llPT13_lli.num_named_barrier, 0
	.set _ZN12_GLOBAL__N_135rocblas_gemm_batched_general_kernelI19rocblas_complex_numIfELi16ELi16ELi32ELi32ELi8ELi32ELi8ELi8ELi32ELc84ELc78EKPKS2_S5_KPS2_EEvlllT_PT11_llSA_llS8_PT12_llPT13_lli.private_seg_size, 0
	.set _ZN12_GLOBAL__N_135rocblas_gemm_batched_general_kernelI19rocblas_complex_numIfELi16ELi16ELi32ELi32ELi8ELi32ELi8ELi8ELi32ELc84ELc78EKPKS2_S5_KPS2_EEvlllT_PT11_llSA_llS8_PT12_llPT13_lli.uses_vcc, 1
	.set _ZN12_GLOBAL__N_135rocblas_gemm_batched_general_kernelI19rocblas_complex_numIfELi16ELi16ELi32ELi32ELi8ELi32ELi8ELi8ELi32ELc84ELc78EKPKS2_S5_KPS2_EEvlllT_PT11_llSA_llS8_PT12_llPT13_lli.uses_flat_scratch, 0
	.set _ZN12_GLOBAL__N_135rocblas_gemm_batched_general_kernelI19rocblas_complex_numIfELi16ELi16ELi32ELi32ELi8ELi32ELi8ELi8ELi32ELc84ELc78EKPKS2_S5_KPS2_EEvlllT_PT11_llSA_llS8_PT12_llPT13_lli.has_dyn_sized_stack, 0
	.set _ZN12_GLOBAL__N_135rocblas_gemm_batched_general_kernelI19rocblas_complex_numIfELi16ELi16ELi32ELi32ELi8ELi32ELi8ELi8ELi32ELc84ELc78EKPKS2_S5_KPS2_EEvlllT_PT11_llSA_llS8_PT12_llPT13_lli.has_recursion, 0
	.set _ZN12_GLOBAL__N_135rocblas_gemm_batched_general_kernelI19rocblas_complex_numIfELi16ELi16ELi32ELi32ELi8ELi32ELi8ELi8ELi32ELc84ELc78EKPKS2_S5_KPS2_EEvlllT_PT11_llSA_llS8_PT12_llPT13_lli.has_indirect_call, 0
	.section	.AMDGPU.csdata,"",@progbits
; Kernel info:
; codeLenInByte = 2980
; TotalNumSgprs: 48
; NumVgprs: 59
; ScratchSize: 0
; MemoryBound: 1
; FloatMode: 240
; IeeeMode: 1
; LDSByteSize: 4096 bytes/workgroup (compile time only)
; SGPRBlocks: 0
; VGPRBlocks: 7
; NumSGPRsForWavesPerEU: 48
; NumVGPRsForWavesPerEU: 59
; Occupancy: 16
; WaveLimiterHint : 1
; COMPUTE_PGM_RSRC2:SCRATCH_EN: 0
; COMPUTE_PGM_RSRC2:USER_SGPR: 6
; COMPUTE_PGM_RSRC2:TRAP_HANDLER: 0
; COMPUTE_PGM_RSRC2:TGID_X_EN: 1
; COMPUTE_PGM_RSRC2:TGID_Y_EN: 1
; COMPUTE_PGM_RSRC2:TGID_Z_EN: 1
; COMPUTE_PGM_RSRC2:TIDIG_COMP_CNT: 1
	.section	.text._ZN12_GLOBAL__N_135rocblas_gemm_batched_general_kernelI19rocblas_complex_numIfELi16ELi16ELi32ELi32ELi8ELi32ELi8ELi8ELi32ELc78ELc84EKPKS2_S5_KPS2_EEvlllT_PT11_llSA_llS8_PT12_llPT13_lli,"axG",@progbits,_ZN12_GLOBAL__N_135rocblas_gemm_batched_general_kernelI19rocblas_complex_numIfELi16ELi16ELi32ELi32ELi8ELi32ELi8ELi8ELi32ELc78ELc84EKPKS2_S5_KPS2_EEvlllT_PT11_llSA_llS8_PT12_llPT13_lli,comdat
	.globl	_ZN12_GLOBAL__N_135rocblas_gemm_batched_general_kernelI19rocblas_complex_numIfELi16ELi16ELi32ELi32ELi8ELi32ELi8ELi8ELi32ELc78ELc84EKPKS2_S5_KPS2_EEvlllT_PT11_llSA_llS8_PT12_llPT13_lli ; -- Begin function _ZN12_GLOBAL__N_135rocblas_gemm_batched_general_kernelI19rocblas_complex_numIfELi16ELi16ELi32ELi32ELi8ELi32ELi8ELi8ELi32ELc78ELc84EKPKS2_S5_KPS2_EEvlllT_PT11_llSA_llS8_PT12_llPT13_lli
	.p2align	8
	.type	_ZN12_GLOBAL__N_135rocblas_gemm_batched_general_kernelI19rocblas_complex_numIfELi16ELi16ELi32ELi32ELi8ELi32ELi8ELi8ELi32ELc78ELc84EKPKS2_S5_KPS2_EEvlllT_PT11_llSA_llS8_PT12_llPT13_lli,@function
_ZN12_GLOBAL__N_135rocblas_gemm_batched_general_kernelI19rocblas_complex_numIfELi16ELi16ELi32ELi32ELi8ELi32ELi8ELi8ELi32ELc78ELc84EKPKS2_S5_KPS2_EEvlllT_PT11_llSA_llS8_PT12_llPT13_lli: ; @_ZN12_GLOBAL__N_135rocblas_gemm_batched_general_kernelI19rocblas_complex_numIfELi16ELi16ELi32ELi32ELi8ELi32ELi8ELi8ELi32ELc78ELc84EKPKS2_S5_KPS2_EEvlllT_PT11_llSA_llS8_PT12_llPT13_lli
; %bb.0:
	s_clause 0x1
	s_load_dwordx8 s[36:43], s[4:5], 0x58
	s_load_dwordx16 s[12:27], s[4:5], 0x0
	s_mov_b32 s9, 0
	s_clause 0x1
	s_load_dwordx4 s[28:31], s[4:5], 0x78
	s_load_dwordx2 s[34:35], s[4:5], 0x50
	s_lshl_b64 s[46:47], s[8:9], 3
	s_mov_b32 s0, s7
	v_mov_b32_e32 v20, 0
	v_mov_b32_e32 v21, 0
	;; [unrolled: 1-line block ×8, first 2 shown]
	s_waitcnt lgkmcnt(0)
	s_add_u32 s2, s36, s46
	s_addc_u32 s3, s37, s47
	s_add_u32 s8, s42, s46
	s_addc_u32 s9, s43, s47
	s_load_dwordx2 s[36:37], s[2:3], 0x0
	s_load_dwordx2 s[2:3], s[8:9], 0x0
	v_cmp_lt_i64_e64 s8, s[16:17], 1
	s_ashr_i32 s7, s6, 31
	s_ashr_i32 s1, s0, 31
	s_lshl_b64 s[42:43], s[6:7], 5
	s_lshl_b64 s[44:45], s[0:1], 5
	s_and_b32 vcc_lo, exec_lo, s8
	s_cbranch_vccnz .LBB243_11
; %bb.1:
	s_load_dwordx4 s[8:11], s[4:5], 0x40
	v_lshl_add_u32 v3, v1, 4, v0
	v_and_b32_e32 v8, 7, v0
	s_add_u32 s4, s26, s46
	s_addc_u32 s5, s27, s47
	s_add_u32 s20, s20, s46
	v_lshrrev_b32_e32 v11, 5, v3
	v_lshrrev_b32_e32 v17, 3, v3
	v_and_b32_e32 v18, 31, v3
	v_lshlrev_b32_e32 v19, 3, v8
	s_load_dwordx2 s[26:27], s[4:5], 0x0
	v_mad_u64_u32 v[12:13], null, s22, v11, 0
	s_addc_u32 s21, s21, s47
	s_lshl_b64 s[4:5], s[0:1], 8
	v_and_b32_e32 v20, 0x1ff8, v3
	v_add_co_u32 v15, s0, v17, s44
	v_or_b32_e32 v3, s42, v18
	v_mov_b32_e32 v7, v13
	s_waitcnt lgkmcnt(0)
	v_mad_u64_u32 v[5:6], null, s8, v8, 0
	v_lshlrev_b32_e32 v21, 3, v18
	v_lshl_or_b32 v19, v17, 6, v19
	v_mad_u64_u32 v[17:18], null, s23, v11, v[7:8]
	v_mov_b32_e32 v4, s43
	s_load_dwordx2 s[20:21], s[20:21], 0x0
	v_mad_u64_u32 v[13:14], null, s9, v8, v[6:7]
	s_lshl_b64 s[10:11], s[10:11], 3
	v_cmp_gt_i64_e32 vcc_lo, s[12:13], v[3:4]
	s_add_u32 s1, s10, s4
	s_addc_u32 s4, s11, s5
	s_lshl_b64 s[6:7], s[6:7], 8
	s_lshl_b64 s[10:11], s[24:25], 3
	v_mov_b32_e32 v6, v13
	v_mov_b32_e32 v13, v17
	v_add_co_ci_u32_e64 v16, null, 0, s45, s0
	v_mov_b32_e32 v2, 0
	v_lshlrev_b64 v[3:4], 3, v[5:6]
	v_lshlrev_b64 v[5:6], 3, v[12:13]
	v_cmp_gt_i64_e64 s0, s[14:15], v[15:16]
	v_lshlrev_b32_e32 v9, 3, v0
	v_lshl_add_u32 v10, v1, 6, 0x800
	v_lshl_or_b32 v14, v11, 8, v21
	v_add_co_u32 v3, s1, s1, v3
	v_add_co_ci_u32_e64 v4, null, s4, v4, s1
	s_lshl_b64 s[4:5], s[8:9], 6
	s_add_u32 s1, s10, s6
	s_addc_u32 s6, s11, s7
	v_add_co_u32 v5, s1, s1, v5
	v_add_co_ci_u32_e64 v6, null, s6, v6, s1
	v_add_co_u32 v3, s1, v3, v20
	v_add_co_ci_u32_e64 v7, null, 0, v4, s1
	;; [unrolled: 2-line block ×4, first 2 shown]
	s_waitcnt lgkmcnt(0)
	v_add_co_u32 v6, s1, s20, v12
	v_add_nc_u32_e32 v16, 0x800, v19
	v_add_co_ci_u32_e64 v7, null, s21, v13, s1
	v_mov_b32_e32 v13, 0
	v_mov_b32_e32 v12, 0
	;; [unrolled: 1-line block ×8, first 2 shown]
	s_lshl_b64 s[6:7], s[22:23], 6
	s_mov_b64 s[8:9], 0
	s_xor_b32 s1, vcc_lo, -1
	s_xor_b32 s0, s0, -1
	s_branch .LBB243_3
.LBB243_2:                              ;   in Loop: Header=BB243_3 Depth=1
	s_or_b32 exec_lo, exec_lo, s10
	s_waitcnt lgkmcnt(0)
	s_barrier
	buffer_gl0_inv
	ds_read_b128 v[22:25], v10
	ds_read2_b64 v[26:29], v9 offset1:16
	ds_read_b128 v[30:33], v10 offset:1024
	ds_read_b128 v[34:37], v10 offset:16
	;; [unrolled: 1-line block ×4, first 2 shown]
	ds_read2_b64 v[46:49], v9 offset0:32 offset1:48
	ds_read_b128 v[50:53], v10 offset:1040
	s_add_u32 s8, s8, 8
	s_addc_u32 s9, s9, 0
	v_add_co_u32 v4, vcc_lo, v4, s4
	v_cmp_lt_i64_e64 s10, s[8:9], s[16:17]
	v_add_co_ci_u32_e64 v5, null, s5, v5, vcc_lo
	v_add_co_u32 v6, vcc_lo, v6, s6
	v_add_co_ci_u32_e64 v7, null, s7, v7, vcc_lo
	s_and_b32 vcc_lo, exec_lo, s10
	s_waitcnt lgkmcnt(6)
	v_mul_f32_e32 v3, v23, v27
	v_mul_f32_e32 v54, v22, v27
	;; [unrolled: 1-line block ×4, first 2 shown]
	s_waitcnt lgkmcnt(5)
	v_mul_f32_e32 v57, v31, v27
	v_mul_f32_e32 v27, v30, v27
	;; [unrolled: 1-line block ×3, first 2 shown]
	v_fma_f32 v3, v22, v26, -v3
	v_fmac_f32_e32 v54, v23, v26
	v_fma_f32 v22, v22, v28, -v55
	v_fmac_f32_e32 v56, v23, v28
	;; [unrolled: 2-line block ×3, first 2 shown]
	v_mul_f32_e32 v29, v30, v29
	v_fma_f32 v26, v30, v28, -v58
	v_add_f32_e32 v3, v20, v3
	v_add_f32_e32 v22, v18, v22
	v_add_f32_e32 v30, v19, v56
	v_add_f32_e32 v15, v15, v23
	v_add_f32_e32 v23, v17, v27
	s_waitcnt lgkmcnt(1)
	v_mul_f32_e32 v27, v25, v47
	ds_read2_b64 v[17:20], v9 offset0:64 offset1:80
	v_fmac_f32_e32 v29, v31, v28
	v_mul_f32_e32 v28, v25, v49
	v_add_f32_e32 v12, v12, v26
	v_fma_f32 v27, v24, v46, -v27
	v_mul_f32_e32 v26, v24, v47
	v_add_f32_e32 v13, v13, v29
	v_mul_f32_e32 v29, v24, v49
	v_fma_f32 v24, v24, v48, -v28
	v_add_f32_e32 v3, v3, v27
	v_mul_f32_e32 v27, v33, v47
	v_add_f32_e32 v21, v21, v54
	v_fmac_f32_e32 v26, v25, v46
	v_fmac_f32_e32 v29, v25, v48
	v_add_f32_e32 v25, v22, v24
	v_fma_f32 v22, v32, v46, -v27
	v_mul_f32_e32 v24, v33, v49
	v_add_f32_e32 v26, v21, v26
	v_mul_f32_e32 v21, v32, v47
	v_add_f32_e32 v27, v30, v29
	v_add_f32_e32 v15, v15, v22
	v_fma_f32 v22, v32, v48, -v24
	s_waitcnt lgkmcnt(0)
	v_mul_f32_e32 v24, v35, v18
	v_fmac_f32_e32 v21, v33, v46
	v_mul_f32_e32 v28, v32, v49
	v_mul_f32_e32 v30, v34, v18
	;; [unrolled: 1-line block ×3, first 2 shown]
	v_fma_f32 v31, v34, v17, -v24
	v_add_f32_e32 v29, v23, v21
	v_add_f32_e32 v12, v12, v22
	ds_read2_b64 v[21:24], v9 offset0:96 offset1:112
	v_fmac_f32_e32 v30, v35, v17
	v_add_f32_e32 v3, v3, v31
	v_fma_f32 v31, v34, v19, -v32
	v_fmac_f32_e32 v28, v33, v48
	v_mul_f32_e32 v32, v50, v20
	v_add_f32_e32 v26, v26, v30
	v_mul_f32_e32 v30, v51, v18
	v_mul_f32_e32 v18, v50, v18
	v_add_f32_e32 v25, v25, v31
	v_mul_f32_e32 v31, v51, v20
	v_add_f32_e32 v13, v13, v28
	v_mul_f32_e32 v28, v34, v20
	v_fma_f32 v30, v50, v17, -v30
	v_fmac_f32_e32 v18, v51, v17
	v_fma_f32 v17, v50, v19, -v31
	v_fmac_f32_e32 v32, v51, v19
	v_fmac_f32_e32 v28, v35, v19
	v_add_f32_e32 v15, v15, v30
	v_add_f32_e32 v29, v29, v18
	;; [unrolled: 1-line block ×3, first 2 shown]
	ds_read2_b64 v[17:20], v9 offset0:128 offset1:144
	v_add_f32_e32 v33, v27, v28
	s_waitcnt lgkmcnt(1)
	v_mul_f32_e32 v27, v37, v22
	v_mul_f32_e32 v28, v36, v22
	;; [unrolled: 1-line block ×4, first 2 shown]
	v_add_f32_e32 v13, v13, v32
	v_fma_f32 v27, v36, v21, -v27
	v_fmac_f32_e32 v28, v37, v21
	v_fma_f32 v30, v36, v23, -v30
	v_fmac_f32_e32 v31, v37, v23
	v_mul_f32_e32 v32, v53, v24
	v_add_f32_e32 v3, v3, v27
	v_mul_f32_e32 v27, v53, v22
	v_mul_f32_e32 v22, v52, v22
	v_add_f32_e32 v34, v26, v28
	v_add_f32_e32 v35, v25, v30
	;; [unrolled: 1-line block ×3, first 2 shown]
	v_fma_f32 v30, v52, v21, -v27
	ds_read_b128 v[25:28], v10 offset:1056
	v_fmac_f32_e32 v22, v53, v21
	v_mul_f32_e32 v31, v52, v24
	v_fma_f32 v21, v52, v23, -v32
	s_waitcnt lgkmcnt(1)
	v_mul_f32_e32 v24, v39, v18
	v_add_f32_e32 v15, v15, v30
	v_add_f32_e32 v36, v29, v22
	v_fmac_f32_e32 v31, v53, v23
	v_add_f32_e32 v12, v12, v21
	v_fma_f32 v29, v38, v17, -v24
	ds_read2_b64 v[21:24], v9 offset0:160 offset1:176
	v_mul_f32_e32 v37, v38, v18
	v_mul_f32_e32 v30, v39, v20
	v_add_f32_e32 v13, v13, v31
	v_add_f32_e32 v3, v3, v29
	v_mul_f32_e32 v46, v38, v20
	v_fmac_f32_e32 v37, v39, v17
	v_fma_f32 v38, v38, v19, -v30
	ds_read_b128 v[29:32], v10 offset:1072
	s_waitcnt lgkmcnt(2)
	v_mul_f32_e32 v47, v26, v18
	v_mul_f32_e32 v18, v25, v18
	v_add_f32_e32 v34, v34, v37
	v_fmac_f32_e32 v46, v39, v19
	v_add_f32_e32 v35, v35, v38
	v_fma_f32 v37, v25, v17, -v47
	v_mul_f32_e32 v38, v26, v20
	v_fmac_f32_e32 v18, v26, v17
	v_mul_f32_e32 v39, v25, v20
	v_add_f32_e32 v33, v33, v46
	s_waitcnt lgkmcnt(1)
	v_mul_f32_e32 v20, v41, v22
	v_add_f32_e32 v15, v15, v37
	v_fma_f32 v17, v25, v19, -v38
	v_add_f32_e32 v25, v36, v18
	v_fmac_f32_e32 v39, v26, v19
	v_mul_f32_e32 v26, v40, v22
	v_fma_f32 v36, v40, v21, -v20
	v_mul_f32_e32 v37, v41, v24
	v_add_f32_e32 v12, v12, v17
	ds_read2_b64 v[17:20], v9 offset0:192 offset1:208
	v_fmac_f32_e32 v26, v41, v21
	v_add_f32_e32 v3, v3, v36
	v_mul_f32_e32 v36, v40, v24
	v_fma_f32 v37, v40, v23, -v37
	v_add_f32_e32 v13, v13, v39
	v_add_f32_e32 v26, v34, v26
	v_mul_f32_e32 v34, v28, v22
	v_mul_f32_e32 v22, v27, v22
	v_fmac_f32_e32 v36, v41, v23
	v_add_f32_e32 v35, v35, v37
	v_mul_f32_e32 v37, v28, v24
	v_fma_f32 v34, v27, v21, -v34
	v_fmac_f32_e32 v22, v28, v21
	v_add_f32_e32 v21, v33, v36
	v_mul_f32_e32 v33, v27, v24
	v_fma_f32 v24, v27, v23, -v37
	v_add_f32_e32 v15, v15, v34
	v_add_f32_e32 v27, v25, v22
	v_fmac_f32_e32 v33, v28, v23
	v_add_f32_e32 v12, v12, v24
	ds_read2_b64 v[22:25], v9 offset0:224 offset1:240
	s_waitcnt lgkmcnt(1)
	v_mul_f32_e32 v34, v43, v18
	v_mul_f32_e32 v28, v42, v18
	v_add_f32_e32 v13, v13, v33
	v_mul_f32_e32 v33, v43, v20
	v_mul_f32_e32 v36, v42, v20
	v_fma_f32 v34, v42, v17, -v34
	v_fmac_f32_e32 v28, v43, v17
	s_waitcnt lgkmcnt(0)
	v_fma_f32 v33, v42, v19, -v33
	v_fmac_f32_e32 v36, v43, v19
	v_add_f32_e32 v3, v3, v34
	v_mul_f32_e32 v34, v30, v18
	v_mul_f32_e32 v18, v29, v18
	v_add_f32_e32 v26, v26, v28
	v_add_f32_e32 v33, v35, v33
	;; [unrolled: 1-line block ×3, first 2 shown]
	v_fma_f32 v28, v29, v17, -v34
	v_mul_f32_e32 v34, v30, v20
	v_fmac_f32_e32 v18, v30, v17
	v_mul_f32_e32 v17, v29, v20
	v_mul_f32_e32 v21, v45, v23
	v_add_f32_e32 v15, v15, v28
	v_fma_f32 v20, v29, v19, -v34
	v_add_f32_e32 v27, v27, v18
	v_fmac_f32_e32 v17, v30, v19
	v_fma_f32 v18, v44, v22, -v21
	v_mul_f32_e32 v19, v45, v25
	v_mul_f32_e32 v28, v44, v23
	v_add_f32_e32 v12, v12, v20
	v_mul_f32_e32 v29, v44, v25
	v_add_f32_e32 v13, v13, v17
	v_add_f32_e32 v20, v3, v18
	v_fma_f32 v3, v44, v24, -v19
	v_mul_f32_e32 v17, v32, v23
	v_mul_f32_e32 v23, v31, v23
	;; [unrolled: 1-line block ×4, first 2 shown]
	v_fmac_f32_e32 v28, v45, v22
	v_fmac_f32_e32 v29, v45, v24
	v_add_f32_e32 v18, v33, v3
	v_fma_f32 v3, v31, v22, -v17
	v_fmac_f32_e32 v23, v32, v22
	v_fma_f32 v22, v31, v24, -v19
	v_fmac_f32_e32 v25, v32, v24
	v_add_f32_e32 v21, v26, v28
	v_add_f32_e32 v19, v35, v29
	;; [unrolled: 1-line block ×6, first 2 shown]
	s_barrier
	buffer_gl0_inv
	s_cbranch_vccz .LBB243_11
.LBB243_3:                              ; =>This Inner Loop Header: Depth=1
	v_add_co_u32 v22, s10, v11, s8
	v_add_co_ci_u32_e64 v23, null, 0, s9, s10
	v_cmp_le_i64_e32 vcc_lo, s[16:17], v[22:23]
	s_or_b32 s10, s1, vcc_lo
	s_and_saveexec_b32 s11, s10
	s_xor_b32 s10, exec_lo, s11
; %bb.4:                                ;   in Loop: Header=BB243_3 Depth=1
	v_mov_b32_e32 v3, v2
	ds_write_b64 v14, v[2:3]
; %bb.5:                                ;   in Loop: Header=BB243_3 Depth=1
	s_andn2_saveexec_b32 s10, s10
	s_cbranch_execz .LBB243_7
; %bb.6:                                ;   in Loop: Header=BB243_3 Depth=1
	flat_load_dwordx2 v[22:23], v[6:7]
	s_waitcnt vmcnt(0) lgkmcnt(0)
	ds_write_b64 v14, v[22:23]
.LBB243_7:                              ;   in Loop: Header=BB243_3 Depth=1
	s_or_b32 exec_lo, exec_lo, s10
	v_add_co_u32 v22, s10, v8, s8
	v_add_co_ci_u32_e64 v23, null, 0, s9, s10
	v_cmp_le_i64_e32 vcc_lo, s[16:17], v[22:23]
	s_or_b32 s10, vcc_lo, s0
	s_and_saveexec_b32 s11, s10
	s_xor_b32 s10, exec_lo, s11
; %bb.8:                                ;   in Loop: Header=BB243_3 Depth=1
	v_mov_b32_e32 v3, v2
	ds_write_b64 v16, v[2:3]
; %bb.9:                                ;   in Loop: Header=BB243_3 Depth=1
	s_andn2_saveexec_b32 s10, s10
	s_cbranch_execz .LBB243_2
; %bb.10:                               ;   in Loop: Header=BB243_3 Depth=1
	flat_load_dwordx2 v[22:23], v[4:5]
	s_waitcnt vmcnt(0) lgkmcnt(0)
	ds_write_b64 v16, v[22:23]
	s_branch .LBB243_2
.LBB243_11:
	v_add_co_u32 v1, s4, s44, v1
	v_add_co_ci_u32_e64 v2, null, s45, 0, s4
	s_lshl_b64 s[0:1], s[30:31], 3
	s_waitcnt lgkmcnt(0)
	s_add_u32 s4, s2, s0
	s_addc_u32 s3, s3, s1
	s_or_b32 s1, s34, s35
	v_cmp_gt_i64_e64 s0, s[14:15], v[1:2]
	s_bitset0_b32 s1, 31
	s_cmp_lg_u32 s1, 0
	s_mov_b32 s1, -1
	s_cbranch_scc1 .LBB243_23
; %bb.12:
	s_and_saveexec_b32 s5, s0
	s_cbranch_execz .LBB243_22
; %bb.13:
	v_mul_lo_u32 v5, v2, s28
	v_mul_lo_u32 v6, v1, s29
	v_mad_u64_u32 v[3:4], null, v1, s28, 0
	v_add3_u32 v4, v4, v6, v5
	v_add_co_u32 v5, s1, s42, v0
	v_add_co_ci_u32_e64 v6, null, s43, 0, s1
	v_lshlrev_b64 v[7:8], 3, v[3:4]
	v_cmp_gt_i64_e32 vcc_lo, s[12:13], v[5:6]
	v_lshlrev_b64 v[3:4], 3, v[5:6]
	v_add_co_u32 v7, s1, s4, v7
	v_add_co_ci_u32_e64 v8, null, s3, v8, s1
	s_and_saveexec_b32 s2, vcc_lo
	s_cbranch_execz .LBB243_15
; %bb.14:
	v_mul_f32_e32 v9, s19, v21
	v_mul_f32_e32 v10, s18, v21
	v_add_co_u32 v22, s1, v7, v3
	v_add_co_ci_u32_e64 v23, null, v8, v4, s1
	v_fma_f32 v9, v20, s18, -v9
	v_fmac_f32_e32 v10, s19, v20
	flat_store_dwordx2 v[22:23], v[9:10]
.LBB243_15:
	s_or_b32 exec_lo, exec_lo, s2
	v_add_co_u32 v5, s1, v5, 16
	v_add_co_ci_u32_e64 v6, null, 0, v6, s1
	v_cmp_gt_i64_e64 s1, s[12:13], v[5:6]
	s_and_saveexec_b32 s6, s1
	s_cbranch_execz .LBB243_17
; %bb.16:
	v_mul_f32_e32 v5, s19, v19
	v_mul_f32_e32 v6, s18, v19
	v_add_co_u32 v9, s2, v7, v3
	v_add_co_ci_u32_e64 v10, null, v8, v4, s2
	v_fma_f32 v5, v18, s18, -v5
	v_fmac_f32_e32 v6, s19, v18
	flat_store_dwordx2 v[9:10], v[5:6] offset:128
.LBB243_17:
	s_or_b32 exec_lo, exec_lo, s6
	v_add_co_u32 v5, s2, v1, 16
	v_add_co_ci_u32_e64 v6, null, 0, v2, s2
	v_cmp_gt_i64_e64 s2, s[14:15], v[5:6]
	s_and_b32 exec_lo, exec_lo, s2
	s_cbranch_execz .LBB243_22
; %bb.18:
	s_lshl_b64 s[6:7], s[28:29], 7
	v_add_co_u32 v5, s2, v7, s6
	v_add_co_ci_u32_e64 v6, null, s7, v8, s2
	v_add_co_u32 v3, s2, v5, v3
	v_add_co_ci_u32_e64 v4, null, v6, v4, s2
	s_and_saveexec_b32 s2, vcc_lo
	s_cbranch_execz .LBB243_20
; %bb.19:
	v_mul_f32_e32 v5, s19, v17
	v_mul_f32_e32 v6, s18, v17
	v_fma_f32 v5, v15, s18, -v5
	v_fmac_f32_e32 v6, s19, v15
	flat_store_dwordx2 v[3:4], v[5:6]
.LBB243_20:
	s_or_b32 exec_lo, exec_lo, s2
	s_and_b32 exec_lo, exec_lo, s1
	s_cbranch_execz .LBB243_22
; %bb.21:
	v_mul_f32_e32 v5, s19, v13
	v_mul_f32_e32 v6, s18, v13
	v_fma_f32 v5, v12, s18, -v5
	v_fmac_f32_e32 v6, s19, v12
	flat_store_dwordx2 v[3:4], v[5:6] offset:128
.LBB243_22:
	s_or_b32 exec_lo, exec_lo, s5
	s_mov_b32 s1, 0
.LBB243_23:
	s_andn2_b32 vcc_lo, exec_lo, s1
	s_cbranch_vccnz .LBB243_34
; %bb.24:
	s_and_saveexec_b32 s1, s0
	s_cbranch_execz .LBB243_34
; %bb.25:
	v_mul_lo_u32 v5, v2, s38
	v_mul_lo_u32 v6, v1, s39
	v_mad_u64_u32 v[3:4], null, v1, s38, 0
	v_mul_lo_u32 v9, v2, s28
	v_mul_lo_u32 v10, v1, s29
	v_mad_u64_u32 v[7:8], null, v1, s28, 0
	s_lshl_b64 s[0:1], s[40:41], 3
	v_add3_u32 v4, v4, v6, v5
	v_add_co_u32 v5, s2, s42, v0
	v_add_co_ci_u32_e64 v6, null, s43, 0, s2
	v_add3_u32 v8, v8, v10, v9
	v_lshlrev_b64 v[3:4], 3, v[3:4]
	s_add_u32 s0, s36, s0
	s_addc_u32 s1, s37, s1
	v_cmp_gt_i64_e32 vcc_lo, s[12:13], v[5:6]
	v_lshlrev_b64 v[8:9], 3, v[7:8]
	v_add_co_u32 v0, s0, s0, v3
	v_add_co_ci_u32_e64 v7, null, s1, v4, s0
	v_add_co_u32 v8, s0, s4, v8
	v_lshlrev_b64 v[3:4], 3, v[5:6]
	v_add_co_ci_u32_e64 v9, null, s3, v9, s0
	s_and_saveexec_b32 s1, vcc_lo
	s_cbranch_execz .LBB243_27
; %bb.26:
	v_add_co_u32 v10, s0, v0, v3
	v_add_co_ci_u32_e64 v11, null, v7, v4, s0
	v_mul_f32_e32 v14, s19, v21
	v_mul_f32_e32 v16, s18, v21
	flat_load_dwordx2 v[10:11], v[10:11]
	v_fma_f32 v14, v20, s18, -v14
	v_fmac_f32_e32 v16, s19, v20
	s_waitcnt vmcnt(0) lgkmcnt(0)
	v_mul_f32_e32 v21, s35, v11
	v_mul_f32_e32 v11, s34, v11
	v_fma_f32 v20, v10, s34, -v21
	v_fmac_f32_e32 v11, s35, v10
	v_add_f32_e32 v10, v14, v20
	v_add_co_u32 v20, s0, v8, v3
	v_add_f32_e32 v11, v16, v11
	v_add_co_ci_u32_e64 v21, null, v9, v4, s0
	flat_store_dwordx2 v[20:21], v[10:11]
.LBB243_27:
	s_or_b32 exec_lo, exec_lo, s1
	v_add_co_u32 v5, s0, v5, 16
	v_add_co_ci_u32_e64 v6, null, 0, v6, s0
	v_cmp_gt_i64_e64 s0, s[12:13], v[5:6]
	s_and_saveexec_b32 s2, s0
	s_cbranch_execz .LBB243_29
; %bb.28:
	v_add_co_u32 v5, s1, v0, v3
	v_add_co_ci_u32_e64 v6, null, v7, v4, s1
	v_mul_f32_e32 v10, s19, v19
	v_mul_f32_e32 v11, s18, v19
	flat_load_dwordx2 v[5:6], v[5:6] offset:128
	v_fma_f32 v10, v18, s18, -v10
	v_fmac_f32_e32 v11, s19, v18
	s_waitcnt vmcnt(0) lgkmcnt(0)
	v_mul_f32_e32 v14, s35, v6
	v_mul_f32_e32 v6, s34, v6
	v_fma_f32 v14, v5, s34, -v14
	v_fmac_f32_e32 v6, s35, v5
	v_add_f32_e32 v5, v10, v14
	v_add_co_u32 v10, s1, v8, v3
	v_add_f32_e32 v6, v11, v6
	v_add_co_ci_u32_e64 v11, null, v9, v4, s1
	flat_store_dwordx2 v[10:11], v[5:6] offset:128
.LBB243_29:
	s_or_b32 exec_lo, exec_lo, s2
	v_add_co_u32 v1, s1, v1, 16
	v_add_co_ci_u32_e64 v2, null, 0, v2, s1
	v_cmp_gt_i64_e64 s1, s[14:15], v[1:2]
	s_and_b32 exec_lo, exec_lo, s1
	s_cbranch_execz .LBB243_34
; %bb.30:
	s_lshl_b64 s[2:3], s[38:39], 7
	v_add_co_u32 v0, s1, v0, s2
	v_add_co_ci_u32_e64 v1, null, s3, v7, s1
	s_lshl_b64 s[2:3], s[28:29], 7
	v_add_co_u32 v2, s1, v8, s2
	v_add_co_ci_u32_e64 v7, null, s3, v9, s1
	v_add_co_u32 v5, s1, v0, v3
	v_add_co_ci_u32_e64 v6, null, v1, v4, s1
	;; [unrolled: 2-line block ×3, first 2 shown]
	s_and_saveexec_b32 s1, vcc_lo
	s_cbranch_execz .LBB243_32
; %bb.31:
	flat_load_dwordx2 v[2:3], v[5:6]
	v_mul_f32_e32 v4, s19, v17
	v_mul_f32_e32 v7, s18, v17
	v_fma_f32 v4, v15, s18, -v4
	v_fmac_f32_e32 v7, s19, v15
	s_waitcnt vmcnt(0) lgkmcnt(0)
	v_mul_f32_e32 v8, s35, v3
	v_mul_f32_e32 v3, s34, v3
	v_fma_f32 v8, v2, s34, -v8
	v_fmac_f32_e32 v3, s35, v2
	v_add_f32_e32 v2, v4, v8
	v_add_f32_e32 v3, v7, v3
	flat_store_dwordx2 v[0:1], v[2:3]
.LBB243_32:
	s_or_b32 exec_lo, exec_lo, s1
	s_and_b32 exec_lo, exec_lo, s0
	s_cbranch_execz .LBB243_34
; %bb.33:
	flat_load_dwordx2 v[2:3], v[5:6] offset:128
	v_mul_f32_e32 v4, s19, v13
	v_mul_f32_e32 v5, s18, v13
	v_fma_f32 v4, v12, s18, -v4
	v_fmac_f32_e32 v5, s19, v12
	s_waitcnt vmcnt(0) lgkmcnt(0)
	v_mul_f32_e32 v6, s35, v3
	v_mul_f32_e32 v3, s34, v3
	v_fma_f32 v6, v2, s34, -v6
	v_fmac_f32_e32 v3, s35, v2
	v_add_f32_e32 v2, v4, v6
	v_add_f32_e32 v3, v5, v3
	flat_store_dwordx2 v[0:1], v[2:3] offset:128
.LBB243_34:
	s_endpgm
	.section	.rodata,"a",@progbits
	.p2align	6, 0x0
	.amdhsa_kernel _ZN12_GLOBAL__N_135rocblas_gemm_batched_general_kernelI19rocblas_complex_numIfELi16ELi16ELi32ELi32ELi8ELi32ELi8ELi8ELi32ELc78ELc84EKPKS2_S5_KPS2_EEvlllT_PT11_llSA_llS8_PT12_llPT13_lli
		.amdhsa_group_segment_fixed_size 4096
		.amdhsa_private_segment_fixed_size 0
		.amdhsa_kernarg_size 140
		.amdhsa_user_sgpr_count 6
		.amdhsa_user_sgpr_private_segment_buffer 1
		.amdhsa_user_sgpr_dispatch_ptr 0
		.amdhsa_user_sgpr_queue_ptr 0
		.amdhsa_user_sgpr_kernarg_segment_ptr 1
		.amdhsa_user_sgpr_dispatch_id 0
		.amdhsa_user_sgpr_flat_scratch_init 0
		.amdhsa_user_sgpr_private_segment_size 0
		.amdhsa_wavefront_size32 1
		.amdhsa_uses_dynamic_stack 0
		.amdhsa_system_sgpr_private_segment_wavefront_offset 0
		.amdhsa_system_sgpr_workgroup_id_x 1
		.amdhsa_system_sgpr_workgroup_id_y 1
		.amdhsa_system_sgpr_workgroup_id_z 1
		.amdhsa_system_sgpr_workgroup_info 0
		.amdhsa_system_vgpr_workitem_id 1
		.amdhsa_next_free_vgpr 59
		.amdhsa_next_free_sgpr 48
		.amdhsa_reserve_vcc 1
		.amdhsa_reserve_flat_scratch 0
		.amdhsa_float_round_mode_32 0
		.amdhsa_float_round_mode_16_64 0
		.amdhsa_float_denorm_mode_32 3
		.amdhsa_float_denorm_mode_16_64 3
		.amdhsa_dx10_clamp 1
		.amdhsa_ieee_mode 1
		.amdhsa_fp16_overflow 0
		.amdhsa_workgroup_processor_mode 1
		.amdhsa_memory_ordered 1
		.amdhsa_forward_progress 1
		.amdhsa_shared_vgpr_count 0
		.amdhsa_exception_fp_ieee_invalid_op 0
		.amdhsa_exception_fp_denorm_src 0
		.amdhsa_exception_fp_ieee_div_zero 0
		.amdhsa_exception_fp_ieee_overflow 0
		.amdhsa_exception_fp_ieee_underflow 0
		.amdhsa_exception_fp_ieee_inexact 0
		.amdhsa_exception_int_div_zero 0
	.end_amdhsa_kernel
	.section	.text._ZN12_GLOBAL__N_135rocblas_gemm_batched_general_kernelI19rocblas_complex_numIfELi16ELi16ELi32ELi32ELi8ELi32ELi8ELi8ELi32ELc78ELc84EKPKS2_S5_KPS2_EEvlllT_PT11_llSA_llS8_PT12_llPT13_lli,"axG",@progbits,_ZN12_GLOBAL__N_135rocblas_gemm_batched_general_kernelI19rocblas_complex_numIfELi16ELi16ELi32ELi32ELi8ELi32ELi8ELi8ELi32ELc78ELc84EKPKS2_S5_KPS2_EEvlllT_PT11_llSA_llS8_PT12_llPT13_lli,comdat
.Lfunc_end243:
	.size	_ZN12_GLOBAL__N_135rocblas_gemm_batched_general_kernelI19rocblas_complex_numIfELi16ELi16ELi32ELi32ELi8ELi32ELi8ELi8ELi32ELc78ELc84EKPKS2_S5_KPS2_EEvlllT_PT11_llSA_llS8_PT12_llPT13_lli, .Lfunc_end243-_ZN12_GLOBAL__N_135rocblas_gemm_batched_general_kernelI19rocblas_complex_numIfELi16ELi16ELi32ELi32ELi8ELi32ELi8ELi8ELi32ELc78ELc84EKPKS2_S5_KPS2_EEvlllT_PT11_llSA_llS8_PT12_llPT13_lli
                                        ; -- End function
	.set _ZN12_GLOBAL__N_135rocblas_gemm_batched_general_kernelI19rocblas_complex_numIfELi16ELi16ELi32ELi32ELi8ELi32ELi8ELi8ELi32ELc78ELc84EKPKS2_S5_KPS2_EEvlllT_PT11_llSA_llS8_PT12_llPT13_lli.num_vgpr, 59
	.set _ZN12_GLOBAL__N_135rocblas_gemm_batched_general_kernelI19rocblas_complex_numIfELi16ELi16ELi32ELi32ELi8ELi32ELi8ELi8ELi32ELc78ELc84EKPKS2_S5_KPS2_EEvlllT_PT11_llSA_llS8_PT12_llPT13_lli.num_agpr, 0
	.set _ZN12_GLOBAL__N_135rocblas_gemm_batched_general_kernelI19rocblas_complex_numIfELi16ELi16ELi32ELi32ELi8ELi32ELi8ELi8ELi32ELc78ELc84EKPKS2_S5_KPS2_EEvlllT_PT11_llSA_llS8_PT12_llPT13_lli.numbered_sgpr, 48
	.set _ZN12_GLOBAL__N_135rocblas_gemm_batched_general_kernelI19rocblas_complex_numIfELi16ELi16ELi32ELi32ELi8ELi32ELi8ELi8ELi32ELc78ELc84EKPKS2_S5_KPS2_EEvlllT_PT11_llSA_llS8_PT12_llPT13_lli.num_named_barrier, 0
	.set _ZN12_GLOBAL__N_135rocblas_gemm_batched_general_kernelI19rocblas_complex_numIfELi16ELi16ELi32ELi32ELi8ELi32ELi8ELi8ELi32ELc78ELc84EKPKS2_S5_KPS2_EEvlllT_PT11_llSA_llS8_PT12_llPT13_lli.private_seg_size, 0
	.set _ZN12_GLOBAL__N_135rocblas_gemm_batched_general_kernelI19rocblas_complex_numIfELi16ELi16ELi32ELi32ELi8ELi32ELi8ELi8ELi32ELc78ELc84EKPKS2_S5_KPS2_EEvlllT_PT11_llSA_llS8_PT12_llPT13_lli.uses_vcc, 1
	.set _ZN12_GLOBAL__N_135rocblas_gemm_batched_general_kernelI19rocblas_complex_numIfELi16ELi16ELi32ELi32ELi8ELi32ELi8ELi8ELi32ELc78ELc84EKPKS2_S5_KPS2_EEvlllT_PT11_llSA_llS8_PT12_llPT13_lli.uses_flat_scratch, 0
	.set _ZN12_GLOBAL__N_135rocblas_gemm_batched_general_kernelI19rocblas_complex_numIfELi16ELi16ELi32ELi32ELi8ELi32ELi8ELi8ELi32ELc78ELc84EKPKS2_S5_KPS2_EEvlllT_PT11_llSA_llS8_PT12_llPT13_lli.has_dyn_sized_stack, 0
	.set _ZN12_GLOBAL__N_135rocblas_gemm_batched_general_kernelI19rocblas_complex_numIfELi16ELi16ELi32ELi32ELi8ELi32ELi8ELi8ELi32ELc78ELc84EKPKS2_S5_KPS2_EEvlllT_PT11_llSA_llS8_PT12_llPT13_lli.has_recursion, 0
	.set _ZN12_GLOBAL__N_135rocblas_gemm_batched_general_kernelI19rocblas_complex_numIfELi16ELi16ELi32ELi32ELi8ELi32ELi8ELi8ELi32ELc78ELc84EKPKS2_S5_KPS2_EEvlllT_PT11_llSA_llS8_PT12_llPT13_lli.has_indirect_call, 0
	.section	.AMDGPU.csdata,"",@progbits
; Kernel info:
; codeLenInByte = 2988
; TotalNumSgprs: 50
; NumVgprs: 59
; ScratchSize: 0
; MemoryBound: 1
; FloatMode: 240
; IeeeMode: 1
; LDSByteSize: 4096 bytes/workgroup (compile time only)
; SGPRBlocks: 0
; VGPRBlocks: 7
; NumSGPRsForWavesPerEU: 50
; NumVGPRsForWavesPerEU: 59
; Occupancy: 16
; WaveLimiterHint : 1
; COMPUTE_PGM_RSRC2:SCRATCH_EN: 0
; COMPUTE_PGM_RSRC2:USER_SGPR: 6
; COMPUTE_PGM_RSRC2:TRAP_HANDLER: 0
; COMPUTE_PGM_RSRC2:TGID_X_EN: 1
; COMPUTE_PGM_RSRC2:TGID_Y_EN: 1
; COMPUTE_PGM_RSRC2:TGID_Z_EN: 1
; COMPUTE_PGM_RSRC2:TIDIG_COMP_CNT: 1
	.section	.text._ZN12_GLOBAL__N_135rocblas_gemm_batched_general_kernelI19rocblas_complex_numIfELi16ELi16ELi32ELi32ELi8ELi32ELi8ELi8ELi32ELc84ELc84EKPKS2_S5_KPS2_EEvlllT_PT11_llSA_llS8_PT12_llPT13_lli,"axG",@progbits,_ZN12_GLOBAL__N_135rocblas_gemm_batched_general_kernelI19rocblas_complex_numIfELi16ELi16ELi32ELi32ELi8ELi32ELi8ELi8ELi32ELc84ELc84EKPKS2_S5_KPS2_EEvlllT_PT11_llSA_llS8_PT12_llPT13_lli,comdat
	.globl	_ZN12_GLOBAL__N_135rocblas_gemm_batched_general_kernelI19rocblas_complex_numIfELi16ELi16ELi32ELi32ELi8ELi32ELi8ELi8ELi32ELc84ELc84EKPKS2_S5_KPS2_EEvlllT_PT11_llSA_llS8_PT12_llPT13_lli ; -- Begin function _ZN12_GLOBAL__N_135rocblas_gemm_batched_general_kernelI19rocblas_complex_numIfELi16ELi16ELi32ELi32ELi8ELi32ELi8ELi8ELi32ELc84ELc84EKPKS2_S5_KPS2_EEvlllT_PT11_llSA_llS8_PT12_llPT13_lli
	.p2align	8
	.type	_ZN12_GLOBAL__N_135rocblas_gemm_batched_general_kernelI19rocblas_complex_numIfELi16ELi16ELi32ELi32ELi8ELi32ELi8ELi8ELi32ELc84ELc84EKPKS2_S5_KPS2_EEvlllT_PT11_llSA_llS8_PT12_llPT13_lli,@function
_ZN12_GLOBAL__N_135rocblas_gemm_batched_general_kernelI19rocblas_complex_numIfELi16ELi16ELi32ELi32ELi8ELi32ELi8ELi8ELi32ELc84ELc84EKPKS2_S5_KPS2_EEvlllT_PT11_llSA_llS8_PT12_llPT13_lli: ; @_ZN12_GLOBAL__N_135rocblas_gemm_batched_general_kernelI19rocblas_complex_numIfELi16ELi16ELi32ELi32ELi8ELi32ELi8ELi8ELi32ELc84ELc84EKPKS2_S5_KPS2_EEvlllT_PT11_llSA_llS8_PT12_llPT13_lli
; %bb.0:
	s_clause 0x1
	s_load_dwordx8 s[36:43], s[4:5], 0x58
	s_load_dwordx16 s[12:27], s[4:5], 0x0
	s_mov_b32 s9, 0
	s_load_dwordx4 s[28:31], s[4:5], 0x78
	s_lshl_b64 s[44:45], s[8:9], 3
	s_load_dwordx2 s[8:9], s[4:5], 0x50
	s_mov_b32 s0, s7
	v_mov_b32_e32 v20, 0
	v_mov_b32_e32 v21, 0
	;; [unrolled: 1-line block ×8, first 2 shown]
	s_waitcnt lgkmcnt(0)
	s_add_u32 s2, s36, s44
	s_addc_u32 s3, s37, s45
	s_add_u32 s34, s42, s44
	s_addc_u32 s35, s43, s45
	s_load_dwordx2 s[10:11], s[2:3], 0x0
	s_load_dwordx2 s[2:3], s[34:35], 0x0
	v_cmp_lt_i64_e64 s33, s[16:17], 1
	s_ashr_i32 s7, s6, 31
	s_ashr_i32 s1, s0, 31
	s_lshl_b64 s[34:35], s[6:7], 5
	s_lshl_b64 s[36:37], s[0:1], 5
	s_and_b32 vcc_lo, exec_lo, s33
	s_cbranch_vccnz .LBB244_11
; %bb.1:
	s_load_dwordx4 s[4:7], s[4:5], 0x40
	v_and_b32_e32 v8, 7, v0
	v_lshl_add_u32 v3, v1, 4, v0
	s_add_u32 s26, s26, s44
	s_addc_u32 s27, s27, s45
	s_add_u32 s20, s20, s44
	s_addc_u32 s21, s21, s45
	v_lshrrev_b32_e32 v14, 3, v3
	v_and_b32_e32 v15, 31, v3
	s_lshl_b64 s[42:43], s[0:1], 8
	v_mov_b32_e32 v4, s35
	v_lshrrev_b32_e32 v13, 5, v3
	v_add_co_u32 v11, s0, v14, s36
	v_add_co_ci_u32_e64 v12, null, 0, s37, s0
	v_and_b32_e32 v17, 0x1ff8, v3
	v_or_b32_e32 v3, s34, v15
	s_load_dwordx2 s[26:27], s[26:27], 0x0
	s_load_dwordx2 s[20:21], s[20:21], 0x0
	s_waitcnt lgkmcnt(0)
	v_mad_u64_u32 v[5:6], null, s4, v8, 0
	v_cmp_gt_i64_e32 vcc_lo, s[12:13], v[3:4]
	s_lshl_b64 s[6:7], s[6:7], 3
	v_lshlrev_b32_e32 v16, 3, v8
	s_add_u32 s1, s6, s42
	s_addc_u32 s6, s7, s43
	v_mov_b32_e32 v2, 0
	v_mad_u64_u32 v[6:7], null, s5, v8, v[6:7]
	v_add_co_u32 v7, s0, s34, v15
	v_add_co_ci_u32_e64 v18, null, s35, 0, s0
	v_cmp_gt_i64_e64 s0, s[14:15], v[11:12]
	v_mul_lo_u32 v19, s23, v7
	v_mad_u64_u32 v[3:4], null, s22, v7, 0
	v_mul_lo_u32 v18, s22, v18
	v_lshlrev_b64 v[5:6], 3, v[5:6]
	v_lshlrev_b32_e32 v11, 3, v13
	v_lshlrev_b32_e32 v15, 3, v15
	v_lshl_or_b32 v14, v14, 6, v16
	v_lshlrev_b32_e32 v9, 3, v0
	v_lshl_add_u32 v10, v1, 6, 0x800
	v_add_co_u32 v5, s1, s1, v5
	v_add3_u32 v4, v4, v18, v19
	v_add_co_ci_u32_e64 v6, null, s6, v6, s1
	v_add_co_u32 v5, s1, v5, v17
	v_lshlrev_b64 v[3:4], 3, v[3:4]
	s_lshl_b64 s[6:7], s[24:25], 3
	v_add_co_ci_u32_e64 v6, null, 0, v6, s1
	v_lshl_or_b32 v15, v13, 8, v15
	v_add_nc_u32_e32 v16, 0x800, v14
	v_add_co_u32 v3, s1, v3, s6
	v_add_co_ci_u32_e64 v7, null, s7, v4, s1
	v_add_co_u32 v4, s1, s26, v5
	v_add_co_ci_u32_e64 v5, null, s27, v6, s1
	;; [unrolled: 2-line block ×3, first 2 shown]
	v_mov_b32_e32 v12, 0
	v_add_co_u32 v6, s1, s20, v3
	v_add_co_ci_u32_e64 v7, null, s21, v7, s1
	v_mov_b32_e32 v11, 0
	v_mov_b32_e32 v17, 0
	;; [unrolled: 1-line block ×7, first 2 shown]
	s_lshl_b64 s[4:5], s[4:5], 6
	s_mov_b64 s[6:7], 0
	s_xor_b32 s1, vcc_lo, -1
	s_xor_b32 s0, s0, -1
	s_branch .LBB244_3
.LBB244_2:                              ;   in Loop: Header=BB244_3 Depth=1
	s_or_b32 exec_lo, exec_lo, s20
	s_waitcnt lgkmcnt(0)
	s_barrier
	buffer_gl0_inv
	ds_read_b128 v[22:25], v10
	ds_read2_b64 v[26:29], v9 offset1:16
	ds_read_b128 v[30:33], v10 offset:1024
	ds_read_b128 v[34:37], v10 offset:16
	;; [unrolled: 1-line block ×4, first 2 shown]
	ds_read2_b64 v[46:49], v9 offset0:32 offset1:48
	ds_read_b128 v[50:53], v10 offset:1040
	s_add_u32 s6, s6, 8
	s_addc_u32 s7, s7, 0
	v_add_co_u32 v4, vcc_lo, v4, s4
	v_cmp_lt_i64_e64 s20, s[6:7], s[16:17]
	v_add_co_ci_u32_e64 v5, null, s5, v5, vcc_lo
	v_add_co_u32 v6, vcc_lo, v6, 64
	v_add_co_ci_u32_e64 v7, null, 0, v7, vcc_lo
	s_and_b32 vcc_lo, exec_lo, s20
	s_waitcnt lgkmcnt(6)
	v_mul_f32_e32 v3, v23, v27
	v_mul_f32_e32 v54, v22, v27
	;; [unrolled: 1-line block ×4, first 2 shown]
	s_waitcnt lgkmcnt(5)
	v_mul_f32_e32 v57, v31, v27
	v_mul_f32_e32 v27, v30, v27
	;; [unrolled: 1-line block ×3, first 2 shown]
	v_fma_f32 v3, v22, v26, -v3
	v_fmac_f32_e32 v54, v23, v26
	v_fma_f32 v22, v22, v28, -v55
	v_fmac_f32_e32 v56, v23, v28
	;; [unrolled: 2-line block ×3, first 2 shown]
	v_mul_f32_e32 v29, v30, v29
	v_fma_f32 v26, v30, v28, -v58
	v_add_f32_e32 v3, v20, v3
	v_add_f32_e32 v22, v18, v22
	;; [unrolled: 1-line block ×5, first 2 shown]
	s_waitcnt lgkmcnt(1)
	v_mul_f32_e32 v27, v25, v47
	ds_read2_b64 v[17:20], v9 offset0:64 offset1:80
	v_fmac_f32_e32 v29, v31, v28
	v_mul_f32_e32 v28, v25, v49
	v_add_f32_e32 v11, v11, v26
	v_fma_f32 v27, v24, v46, -v27
	v_mul_f32_e32 v26, v24, v47
	v_add_f32_e32 v12, v12, v29
	v_mul_f32_e32 v29, v24, v49
	v_fma_f32 v24, v24, v48, -v28
	v_add_f32_e32 v3, v3, v27
	v_mul_f32_e32 v27, v33, v47
	v_add_f32_e32 v21, v21, v54
	v_fmac_f32_e32 v26, v25, v46
	v_fmac_f32_e32 v29, v25, v48
	v_add_f32_e32 v25, v22, v24
	v_fma_f32 v22, v32, v46, -v27
	v_mul_f32_e32 v24, v33, v49
	v_add_f32_e32 v26, v21, v26
	v_mul_f32_e32 v21, v32, v47
	v_add_f32_e32 v27, v30, v29
	v_add_f32_e32 v14, v14, v22
	v_fma_f32 v22, v32, v48, -v24
	s_waitcnt lgkmcnt(0)
	v_mul_f32_e32 v24, v35, v18
	v_fmac_f32_e32 v21, v33, v46
	v_mul_f32_e32 v28, v32, v49
	v_mul_f32_e32 v30, v34, v18
	;; [unrolled: 1-line block ×3, first 2 shown]
	v_fma_f32 v31, v34, v17, -v24
	v_add_f32_e32 v29, v23, v21
	v_add_f32_e32 v11, v11, v22
	ds_read2_b64 v[21:24], v9 offset0:96 offset1:112
	v_fmac_f32_e32 v30, v35, v17
	v_add_f32_e32 v3, v3, v31
	v_fma_f32 v31, v34, v19, -v32
	v_fmac_f32_e32 v28, v33, v48
	v_mul_f32_e32 v32, v50, v20
	v_add_f32_e32 v26, v26, v30
	v_mul_f32_e32 v30, v51, v18
	v_mul_f32_e32 v18, v50, v18
	v_add_f32_e32 v25, v25, v31
	v_mul_f32_e32 v31, v51, v20
	v_add_f32_e32 v12, v12, v28
	v_mul_f32_e32 v28, v34, v20
	v_fma_f32 v30, v50, v17, -v30
	v_fmac_f32_e32 v18, v51, v17
	v_fma_f32 v17, v50, v19, -v31
	v_fmac_f32_e32 v32, v51, v19
	v_fmac_f32_e32 v28, v35, v19
	v_add_f32_e32 v14, v14, v30
	v_add_f32_e32 v29, v29, v18
	;; [unrolled: 1-line block ×3, first 2 shown]
	ds_read2_b64 v[17:20], v9 offset0:128 offset1:144
	v_add_f32_e32 v33, v27, v28
	s_waitcnt lgkmcnt(1)
	v_mul_f32_e32 v27, v37, v22
	v_mul_f32_e32 v28, v36, v22
	;; [unrolled: 1-line block ×4, first 2 shown]
	v_add_f32_e32 v12, v12, v32
	v_fma_f32 v27, v36, v21, -v27
	v_fmac_f32_e32 v28, v37, v21
	v_fma_f32 v30, v36, v23, -v30
	v_fmac_f32_e32 v31, v37, v23
	v_mul_f32_e32 v32, v53, v24
	v_add_f32_e32 v3, v3, v27
	v_mul_f32_e32 v27, v53, v22
	v_mul_f32_e32 v22, v52, v22
	v_add_f32_e32 v34, v26, v28
	v_add_f32_e32 v35, v25, v30
	;; [unrolled: 1-line block ×3, first 2 shown]
	v_fma_f32 v30, v52, v21, -v27
	ds_read_b128 v[25:28], v10 offset:1056
	v_fmac_f32_e32 v22, v53, v21
	v_mul_f32_e32 v31, v52, v24
	v_fma_f32 v21, v52, v23, -v32
	s_waitcnt lgkmcnt(1)
	v_mul_f32_e32 v24, v39, v18
	v_add_f32_e32 v14, v14, v30
	v_add_f32_e32 v36, v29, v22
	v_fmac_f32_e32 v31, v53, v23
	v_add_f32_e32 v11, v11, v21
	v_fma_f32 v29, v38, v17, -v24
	ds_read2_b64 v[21:24], v9 offset0:160 offset1:176
	v_mul_f32_e32 v37, v38, v18
	v_mul_f32_e32 v30, v39, v20
	v_add_f32_e32 v12, v12, v31
	v_add_f32_e32 v3, v3, v29
	v_mul_f32_e32 v46, v38, v20
	v_fmac_f32_e32 v37, v39, v17
	v_fma_f32 v38, v38, v19, -v30
	ds_read_b128 v[29:32], v10 offset:1072
	s_waitcnt lgkmcnt(2)
	v_mul_f32_e32 v47, v26, v18
	v_mul_f32_e32 v18, v25, v18
	v_add_f32_e32 v34, v34, v37
	v_fmac_f32_e32 v46, v39, v19
	v_add_f32_e32 v35, v35, v38
	v_fma_f32 v37, v25, v17, -v47
	v_mul_f32_e32 v38, v26, v20
	v_fmac_f32_e32 v18, v26, v17
	v_mul_f32_e32 v39, v25, v20
	v_add_f32_e32 v33, v33, v46
	s_waitcnt lgkmcnt(1)
	v_mul_f32_e32 v20, v41, v22
	v_add_f32_e32 v14, v14, v37
	v_fma_f32 v17, v25, v19, -v38
	v_add_f32_e32 v25, v36, v18
	v_fmac_f32_e32 v39, v26, v19
	v_mul_f32_e32 v26, v40, v22
	v_fma_f32 v36, v40, v21, -v20
	v_mul_f32_e32 v37, v41, v24
	v_add_f32_e32 v11, v11, v17
	ds_read2_b64 v[17:20], v9 offset0:192 offset1:208
	v_fmac_f32_e32 v26, v41, v21
	v_add_f32_e32 v3, v3, v36
	v_mul_f32_e32 v36, v40, v24
	v_fma_f32 v37, v40, v23, -v37
	v_add_f32_e32 v12, v12, v39
	v_add_f32_e32 v26, v34, v26
	v_mul_f32_e32 v34, v28, v22
	v_mul_f32_e32 v22, v27, v22
	v_fmac_f32_e32 v36, v41, v23
	v_add_f32_e32 v35, v35, v37
	v_mul_f32_e32 v37, v28, v24
	v_fma_f32 v34, v27, v21, -v34
	v_fmac_f32_e32 v22, v28, v21
	v_add_f32_e32 v21, v33, v36
	v_mul_f32_e32 v33, v27, v24
	v_fma_f32 v24, v27, v23, -v37
	v_add_f32_e32 v14, v14, v34
	v_add_f32_e32 v27, v25, v22
	v_fmac_f32_e32 v33, v28, v23
	v_add_f32_e32 v11, v11, v24
	ds_read2_b64 v[22:25], v9 offset0:224 offset1:240
	s_waitcnt lgkmcnt(1)
	v_mul_f32_e32 v34, v43, v18
	v_mul_f32_e32 v28, v42, v18
	v_add_f32_e32 v12, v12, v33
	v_mul_f32_e32 v33, v43, v20
	v_mul_f32_e32 v36, v42, v20
	v_fma_f32 v34, v42, v17, -v34
	v_fmac_f32_e32 v28, v43, v17
	s_waitcnt lgkmcnt(0)
	v_fma_f32 v33, v42, v19, -v33
	v_fmac_f32_e32 v36, v43, v19
	v_add_f32_e32 v3, v3, v34
	v_mul_f32_e32 v34, v30, v18
	v_mul_f32_e32 v18, v29, v18
	v_add_f32_e32 v26, v26, v28
	v_add_f32_e32 v33, v35, v33
	;; [unrolled: 1-line block ×3, first 2 shown]
	v_fma_f32 v28, v29, v17, -v34
	v_mul_f32_e32 v34, v30, v20
	v_fmac_f32_e32 v18, v30, v17
	v_mul_f32_e32 v17, v29, v20
	v_mul_f32_e32 v21, v45, v23
	v_add_f32_e32 v14, v14, v28
	v_fma_f32 v20, v29, v19, -v34
	v_add_f32_e32 v27, v27, v18
	v_fmac_f32_e32 v17, v30, v19
	v_fma_f32 v18, v44, v22, -v21
	v_mul_f32_e32 v19, v45, v25
	v_mul_f32_e32 v28, v44, v23
	v_add_f32_e32 v11, v11, v20
	v_mul_f32_e32 v29, v44, v25
	v_add_f32_e32 v12, v12, v17
	v_add_f32_e32 v20, v3, v18
	v_fma_f32 v3, v44, v24, -v19
	v_mul_f32_e32 v17, v32, v23
	v_mul_f32_e32 v23, v31, v23
	;; [unrolled: 1-line block ×4, first 2 shown]
	v_fmac_f32_e32 v28, v45, v22
	v_fmac_f32_e32 v29, v45, v24
	v_add_f32_e32 v18, v33, v3
	v_fma_f32 v3, v31, v22, -v17
	v_fmac_f32_e32 v23, v32, v22
	v_fma_f32 v22, v31, v24, -v19
	v_fmac_f32_e32 v25, v32, v24
	v_add_f32_e32 v21, v26, v28
	v_add_f32_e32 v19, v35, v29
	;; [unrolled: 1-line block ×6, first 2 shown]
	s_barrier
	buffer_gl0_inv
	s_cbranch_vccz .LBB244_11
.LBB244_3:                              ; =>This Inner Loop Header: Depth=1
	v_add_co_u32 v22, s20, v13, s6
	v_add_co_ci_u32_e64 v23, null, 0, s7, s20
	v_cmp_le_i64_e32 vcc_lo, s[16:17], v[22:23]
	s_or_b32 s20, s1, vcc_lo
	s_and_saveexec_b32 s21, s20
	s_xor_b32 s20, exec_lo, s21
; %bb.4:                                ;   in Loop: Header=BB244_3 Depth=1
	v_mov_b32_e32 v3, v2
	ds_write_b64 v15, v[2:3]
; %bb.5:                                ;   in Loop: Header=BB244_3 Depth=1
	s_andn2_saveexec_b32 s20, s20
	s_cbranch_execz .LBB244_7
; %bb.6:                                ;   in Loop: Header=BB244_3 Depth=1
	flat_load_dwordx2 v[22:23], v[6:7]
	s_waitcnt vmcnt(0) lgkmcnt(0)
	ds_write_b64 v15, v[22:23]
.LBB244_7:                              ;   in Loop: Header=BB244_3 Depth=1
	s_or_b32 exec_lo, exec_lo, s20
	v_add_co_u32 v22, s20, v8, s6
	v_add_co_ci_u32_e64 v23, null, 0, s7, s20
	v_cmp_le_i64_e32 vcc_lo, s[16:17], v[22:23]
	s_or_b32 s20, vcc_lo, s0
	s_and_saveexec_b32 s21, s20
	s_xor_b32 s20, exec_lo, s21
; %bb.8:                                ;   in Loop: Header=BB244_3 Depth=1
	v_mov_b32_e32 v3, v2
	ds_write_b64 v16, v[2:3]
; %bb.9:                                ;   in Loop: Header=BB244_3 Depth=1
	s_andn2_saveexec_b32 s20, s20
	s_cbranch_execz .LBB244_2
; %bb.10:                               ;   in Loop: Header=BB244_3 Depth=1
	flat_load_dwordx2 v[22:23], v[4:5]
	s_waitcnt vmcnt(0) lgkmcnt(0)
	ds_write_b64 v16, v[22:23]
	s_branch .LBB244_2
.LBB244_11:
	v_add_co_u32 v1, s4, s36, v1
	v_add_co_ci_u32_e64 v2, null, s37, 0, s4
	s_lshl_b64 s[0:1], s[30:31], 3
	s_waitcnt lgkmcnt(0)
	s_add_u32 s4, s2, s0
	s_addc_u32 s3, s3, s1
	s_or_b32 s1, s8, s9
	v_cmp_gt_i64_e64 s0, s[14:15], v[1:2]
	s_bitset0_b32 s1, 31
	s_cmp_lg_u32 s1, 0
	s_mov_b32 s1, -1
	s_cbranch_scc1 .LBB244_23
; %bb.12:
	s_and_saveexec_b32 s5, s0
	s_cbranch_execz .LBB244_22
; %bb.13:
	v_mul_lo_u32 v5, v2, s28
	v_mul_lo_u32 v6, v1, s29
	v_mad_u64_u32 v[3:4], null, v1, s28, 0
	v_add3_u32 v4, v4, v6, v5
	v_add_co_u32 v5, s1, s34, v0
	v_add_co_ci_u32_e64 v6, null, s35, 0, s1
	v_lshlrev_b64 v[7:8], 3, v[3:4]
	v_cmp_gt_i64_e32 vcc_lo, s[12:13], v[5:6]
	v_lshlrev_b64 v[3:4], 3, v[5:6]
	v_add_co_u32 v7, s1, s4, v7
	v_add_co_ci_u32_e64 v8, null, s3, v8, s1
	s_and_saveexec_b32 s2, vcc_lo
	s_cbranch_execz .LBB244_15
; %bb.14:
	v_mul_f32_e32 v9, s19, v21
	v_mul_f32_e32 v10, s18, v21
	v_add_co_u32 v15, s1, v7, v3
	v_add_co_ci_u32_e64 v16, null, v8, v4, s1
	v_fma_f32 v9, v20, s18, -v9
	v_fmac_f32_e32 v10, s19, v20
	flat_store_dwordx2 v[15:16], v[9:10]
.LBB244_15:
	s_or_b32 exec_lo, exec_lo, s2
	v_add_co_u32 v5, s1, v5, 16
	v_add_co_ci_u32_e64 v6, null, 0, v6, s1
	v_cmp_gt_i64_e64 s1, s[12:13], v[5:6]
	s_and_saveexec_b32 s6, s1
	s_cbranch_execz .LBB244_17
; %bb.16:
	v_mul_f32_e32 v5, s19, v19
	v_mul_f32_e32 v6, s18, v19
	v_add_co_u32 v9, s2, v7, v3
	v_add_co_ci_u32_e64 v10, null, v8, v4, s2
	v_fma_f32 v5, v18, s18, -v5
	v_fmac_f32_e32 v6, s19, v18
	flat_store_dwordx2 v[9:10], v[5:6] offset:128
.LBB244_17:
	s_or_b32 exec_lo, exec_lo, s6
	v_add_co_u32 v5, s2, v1, 16
	v_add_co_ci_u32_e64 v6, null, 0, v2, s2
	v_cmp_gt_i64_e64 s2, s[14:15], v[5:6]
	s_and_b32 exec_lo, exec_lo, s2
	s_cbranch_execz .LBB244_22
; %bb.18:
	s_lshl_b64 s[6:7], s[28:29], 7
	v_add_co_u32 v5, s2, v7, s6
	v_add_co_ci_u32_e64 v6, null, s7, v8, s2
	v_add_co_u32 v3, s2, v5, v3
	v_add_co_ci_u32_e64 v4, null, v6, v4, s2
	s_and_saveexec_b32 s2, vcc_lo
	s_cbranch_execz .LBB244_20
; %bb.19:
	v_mul_f32_e32 v5, s19, v17
	v_mul_f32_e32 v6, s18, v17
	v_fma_f32 v5, v14, s18, -v5
	v_fmac_f32_e32 v6, s19, v14
	flat_store_dwordx2 v[3:4], v[5:6]
.LBB244_20:
	s_or_b32 exec_lo, exec_lo, s2
	s_and_b32 exec_lo, exec_lo, s1
	s_cbranch_execz .LBB244_22
; %bb.21:
	v_mul_f32_e32 v5, s19, v12
	v_mul_f32_e32 v6, s18, v12
	v_fma_f32 v5, v11, s18, -v5
	v_fmac_f32_e32 v6, s19, v11
	flat_store_dwordx2 v[3:4], v[5:6] offset:128
.LBB244_22:
	s_or_b32 exec_lo, exec_lo, s5
	s_mov_b32 s1, 0
.LBB244_23:
	s_andn2_b32 vcc_lo, exec_lo, s1
	s_cbranch_vccnz .LBB244_34
; %bb.24:
	s_and_saveexec_b32 s1, s0
	s_cbranch_execz .LBB244_34
; %bb.25:
	v_mul_lo_u32 v5, v2, s38
	v_mul_lo_u32 v6, v1, s39
	v_mad_u64_u32 v[3:4], null, v1, s38, 0
	v_mul_lo_u32 v9, v2, s28
	v_mul_lo_u32 v10, v1, s29
	v_mad_u64_u32 v[7:8], null, v1, s28, 0
	s_lshl_b64 s[0:1], s[40:41], 3
	v_add3_u32 v4, v4, v6, v5
	v_add_co_u32 v5, s2, s34, v0
	v_add_co_ci_u32_e64 v6, null, s35, 0, s2
	v_add3_u32 v8, v8, v10, v9
	v_lshlrev_b64 v[3:4], 3, v[3:4]
	s_add_u32 s0, s10, s0
	s_addc_u32 s1, s11, s1
	v_cmp_gt_i64_e32 vcc_lo, s[12:13], v[5:6]
	v_lshlrev_b64 v[8:9], 3, v[7:8]
	v_add_co_u32 v0, s0, s0, v3
	v_add_co_ci_u32_e64 v7, null, s1, v4, s0
	v_add_co_u32 v8, s0, s4, v8
	v_lshlrev_b64 v[3:4], 3, v[5:6]
	v_add_co_ci_u32_e64 v9, null, s3, v9, s0
	s_and_saveexec_b32 s1, vcc_lo
	s_cbranch_execz .LBB244_27
; %bb.26:
	v_add_co_u32 v15, s0, v0, v3
	v_add_co_ci_u32_e64 v16, null, v7, v4, s0
	v_mul_f32_e32 v10, s19, v21
	v_mul_f32_e32 v13, s18, v21
	flat_load_dwordx2 v[15:16], v[15:16]
	v_fma_f32 v10, v20, s18, -v10
	v_fmac_f32_e32 v13, s19, v20
	s_waitcnt vmcnt(0) lgkmcnt(0)
	v_mul_f32_e32 v21, s9, v16
	v_mul_f32_e32 v16, s8, v16
	v_fma_f32 v20, v15, s8, -v21
	v_fmac_f32_e32 v16, s9, v15
	v_add_f32_e32 v15, v10, v20
	v_add_co_u32 v20, s0, v8, v3
	v_add_f32_e32 v16, v13, v16
	v_add_co_ci_u32_e64 v21, null, v9, v4, s0
	flat_store_dwordx2 v[20:21], v[15:16]
.LBB244_27:
	s_or_b32 exec_lo, exec_lo, s1
	v_add_co_u32 v5, s0, v5, 16
	v_add_co_ci_u32_e64 v6, null, 0, v6, s0
	v_cmp_gt_i64_e64 s0, s[12:13], v[5:6]
	s_and_saveexec_b32 s2, s0
	s_cbranch_execz .LBB244_29
; %bb.28:
	v_add_co_u32 v5, s1, v0, v3
	v_add_co_ci_u32_e64 v6, null, v7, v4, s1
	v_mul_f32_e32 v10, s19, v19
	v_mul_f32_e32 v13, s18, v19
	flat_load_dwordx2 v[5:6], v[5:6] offset:128
	v_fma_f32 v10, v18, s18, -v10
	v_fmac_f32_e32 v13, s19, v18
	s_waitcnt vmcnt(0) lgkmcnt(0)
	v_mul_f32_e32 v15, s9, v6
	v_mul_f32_e32 v6, s8, v6
	v_fma_f32 v15, v5, s8, -v15
	v_fmac_f32_e32 v6, s9, v5
	v_add_f32_e32 v5, v10, v15
	v_add_co_u32 v15, s1, v8, v3
	v_add_f32_e32 v6, v13, v6
	v_add_co_ci_u32_e64 v16, null, v9, v4, s1
	flat_store_dwordx2 v[15:16], v[5:6] offset:128
.LBB244_29:
	s_or_b32 exec_lo, exec_lo, s2
	v_add_co_u32 v1, s1, v1, 16
	v_add_co_ci_u32_e64 v2, null, 0, v2, s1
	v_cmp_gt_i64_e64 s1, s[14:15], v[1:2]
	s_and_b32 exec_lo, exec_lo, s1
	s_cbranch_execz .LBB244_34
; %bb.30:
	s_lshl_b64 s[2:3], s[38:39], 7
	v_add_co_u32 v0, s1, v0, s2
	v_add_co_ci_u32_e64 v1, null, s3, v7, s1
	s_lshl_b64 s[2:3], s[28:29], 7
	v_add_co_u32 v2, s1, v8, s2
	v_add_co_ci_u32_e64 v7, null, s3, v9, s1
	v_add_co_u32 v5, s1, v0, v3
	v_add_co_ci_u32_e64 v6, null, v1, v4, s1
	v_add_co_u32 v0, s1, v2, v3
	v_add_co_ci_u32_e64 v1, null, v7, v4, s1
	s_and_saveexec_b32 s1, vcc_lo
	s_cbranch_execz .LBB244_32
; %bb.31:
	flat_load_dwordx2 v[2:3], v[5:6]
	v_mul_f32_e32 v4, s19, v17
	v_mul_f32_e32 v7, s18, v17
	v_fma_f32 v4, v14, s18, -v4
	v_fmac_f32_e32 v7, s19, v14
	s_waitcnt vmcnt(0) lgkmcnt(0)
	v_mul_f32_e32 v8, s9, v3
	v_mul_f32_e32 v3, s8, v3
	v_fma_f32 v8, v2, s8, -v8
	v_fmac_f32_e32 v3, s9, v2
	v_add_f32_e32 v2, v4, v8
	v_add_f32_e32 v3, v7, v3
	flat_store_dwordx2 v[0:1], v[2:3]
.LBB244_32:
	s_or_b32 exec_lo, exec_lo, s1
	s_and_b32 exec_lo, exec_lo, s0
	s_cbranch_execz .LBB244_34
; %bb.33:
	flat_load_dwordx2 v[2:3], v[5:6] offset:128
	v_mul_f32_e32 v4, s19, v12
	v_mul_f32_e32 v5, s18, v12
	v_fma_f32 v4, v11, s18, -v4
	v_fmac_f32_e32 v5, s19, v11
	s_waitcnt vmcnt(0) lgkmcnt(0)
	v_mul_f32_e32 v6, s9, v3
	v_mul_f32_e32 v3, s8, v3
	v_fma_f32 v6, v2, s8, -v6
	v_fmac_f32_e32 v3, s9, v2
	v_add_f32_e32 v2, v4, v6
	v_add_f32_e32 v3, v5, v3
	flat_store_dwordx2 v[0:1], v[2:3] offset:128
.LBB244_34:
	s_endpgm
	.section	.rodata,"a",@progbits
	.p2align	6, 0x0
	.amdhsa_kernel _ZN12_GLOBAL__N_135rocblas_gemm_batched_general_kernelI19rocblas_complex_numIfELi16ELi16ELi32ELi32ELi8ELi32ELi8ELi8ELi32ELc84ELc84EKPKS2_S5_KPS2_EEvlllT_PT11_llSA_llS8_PT12_llPT13_lli
		.amdhsa_group_segment_fixed_size 4096
		.amdhsa_private_segment_fixed_size 0
		.amdhsa_kernarg_size 140
		.amdhsa_user_sgpr_count 6
		.amdhsa_user_sgpr_private_segment_buffer 1
		.amdhsa_user_sgpr_dispatch_ptr 0
		.amdhsa_user_sgpr_queue_ptr 0
		.amdhsa_user_sgpr_kernarg_segment_ptr 1
		.amdhsa_user_sgpr_dispatch_id 0
		.amdhsa_user_sgpr_flat_scratch_init 0
		.amdhsa_user_sgpr_private_segment_size 0
		.amdhsa_wavefront_size32 1
		.amdhsa_uses_dynamic_stack 0
		.amdhsa_system_sgpr_private_segment_wavefront_offset 0
		.amdhsa_system_sgpr_workgroup_id_x 1
		.amdhsa_system_sgpr_workgroup_id_y 1
		.amdhsa_system_sgpr_workgroup_id_z 1
		.amdhsa_system_sgpr_workgroup_info 0
		.amdhsa_system_vgpr_workitem_id 1
		.amdhsa_next_free_vgpr 59
		.amdhsa_next_free_sgpr 46
		.amdhsa_reserve_vcc 1
		.amdhsa_reserve_flat_scratch 0
		.amdhsa_float_round_mode_32 0
		.amdhsa_float_round_mode_16_64 0
		.amdhsa_float_denorm_mode_32 3
		.amdhsa_float_denorm_mode_16_64 3
		.amdhsa_dx10_clamp 1
		.amdhsa_ieee_mode 1
		.amdhsa_fp16_overflow 0
		.amdhsa_workgroup_processor_mode 1
		.amdhsa_memory_ordered 1
		.amdhsa_forward_progress 1
		.amdhsa_shared_vgpr_count 0
		.amdhsa_exception_fp_ieee_invalid_op 0
		.amdhsa_exception_fp_denorm_src 0
		.amdhsa_exception_fp_ieee_div_zero 0
		.amdhsa_exception_fp_ieee_overflow 0
		.amdhsa_exception_fp_ieee_underflow 0
		.amdhsa_exception_fp_ieee_inexact 0
		.amdhsa_exception_int_div_zero 0
	.end_amdhsa_kernel
	.section	.text._ZN12_GLOBAL__N_135rocblas_gemm_batched_general_kernelI19rocblas_complex_numIfELi16ELi16ELi32ELi32ELi8ELi32ELi8ELi8ELi32ELc84ELc84EKPKS2_S5_KPS2_EEvlllT_PT11_llSA_llS8_PT12_llPT13_lli,"axG",@progbits,_ZN12_GLOBAL__N_135rocblas_gemm_batched_general_kernelI19rocblas_complex_numIfELi16ELi16ELi32ELi32ELi8ELi32ELi8ELi8ELi32ELc84ELc84EKPKS2_S5_KPS2_EEvlllT_PT11_llSA_llS8_PT12_llPT13_lli,comdat
.Lfunc_end244:
	.size	_ZN12_GLOBAL__N_135rocblas_gemm_batched_general_kernelI19rocblas_complex_numIfELi16ELi16ELi32ELi32ELi8ELi32ELi8ELi8ELi32ELc84ELc84EKPKS2_S5_KPS2_EEvlllT_PT11_llSA_llS8_PT12_llPT13_lli, .Lfunc_end244-_ZN12_GLOBAL__N_135rocblas_gemm_batched_general_kernelI19rocblas_complex_numIfELi16ELi16ELi32ELi32ELi8ELi32ELi8ELi8ELi32ELc84ELc84EKPKS2_S5_KPS2_EEvlllT_PT11_llSA_llS8_PT12_llPT13_lli
                                        ; -- End function
	.set _ZN12_GLOBAL__N_135rocblas_gemm_batched_general_kernelI19rocblas_complex_numIfELi16ELi16ELi32ELi32ELi8ELi32ELi8ELi8ELi32ELc84ELc84EKPKS2_S5_KPS2_EEvlllT_PT11_llSA_llS8_PT12_llPT13_lli.num_vgpr, 59
	.set _ZN12_GLOBAL__N_135rocblas_gemm_batched_general_kernelI19rocblas_complex_numIfELi16ELi16ELi32ELi32ELi8ELi32ELi8ELi8ELi32ELc84ELc84EKPKS2_S5_KPS2_EEvlllT_PT11_llSA_llS8_PT12_llPT13_lli.num_agpr, 0
	.set _ZN12_GLOBAL__N_135rocblas_gemm_batched_general_kernelI19rocblas_complex_numIfELi16ELi16ELi32ELi32ELi8ELi32ELi8ELi8ELi32ELc84ELc84EKPKS2_S5_KPS2_EEvlllT_PT11_llSA_llS8_PT12_llPT13_lli.numbered_sgpr, 46
	.set _ZN12_GLOBAL__N_135rocblas_gemm_batched_general_kernelI19rocblas_complex_numIfELi16ELi16ELi32ELi32ELi8ELi32ELi8ELi8ELi32ELc84ELc84EKPKS2_S5_KPS2_EEvlllT_PT11_llSA_llS8_PT12_llPT13_lli.num_named_barrier, 0
	.set _ZN12_GLOBAL__N_135rocblas_gemm_batched_general_kernelI19rocblas_complex_numIfELi16ELi16ELi32ELi32ELi8ELi32ELi8ELi8ELi32ELc84ELc84EKPKS2_S5_KPS2_EEvlllT_PT11_llSA_llS8_PT12_llPT13_lli.private_seg_size, 0
	.set _ZN12_GLOBAL__N_135rocblas_gemm_batched_general_kernelI19rocblas_complex_numIfELi16ELi16ELi32ELi32ELi8ELi32ELi8ELi8ELi32ELc84ELc84EKPKS2_S5_KPS2_EEvlllT_PT11_llSA_llS8_PT12_llPT13_lli.uses_vcc, 1
	.set _ZN12_GLOBAL__N_135rocblas_gemm_batched_general_kernelI19rocblas_complex_numIfELi16ELi16ELi32ELi32ELi8ELi32ELi8ELi8ELi32ELc84ELc84EKPKS2_S5_KPS2_EEvlllT_PT11_llSA_llS8_PT12_llPT13_lli.uses_flat_scratch, 0
	.set _ZN12_GLOBAL__N_135rocblas_gemm_batched_general_kernelI19rocblas_complex_numIfELi16ELi16ELi32ELi32ELi8ELi32ELi8ELi8ELi32ELc84ELc84EKPKS2_S5_KPS2_EEvlllT_PT11_llSA_llS8_PT12_llPT13_lli.has_dyn_sized_stack, 0
	.set _ZN12_GLOBAL__N_135rocblas_gemm_batched_general_kernelI19rocblas_complex_numIfELi16ELi16ELi32ELi32ELi8ELi32ELi8ELi8ELi32ELc84ELc84EKPKS2_S5_KPS2_EEvlllT_PT11_llSA_llS8_PT12_llPT13_lli.has_recursion, 0
	.set _ZN12_GLOBAL__N_135rocblas_gemm_batched_general_kernelI19rocblas_complex_numIfELi16ELi16ELi32ELi32ELi8ELi32ELi8ELi8ELi32ELc84ELc84EKPKS2_S5_KPS2_EEvlllT_PT11_llSA_llS8_PT12_llPT13_lli.has_indirect_call, 0
	.section	.AMDGPU.csdata,"",@progbits
; Kernel info:
; codeLenInByte = 2988
; TotalNumSgprs: 48
; NumVgprs: 59
; ScratchSize: 0
; MemoryBound: 1
; FloatMode: 240
; IeeeMode: 1
; LDSByteSize: 4096 bytes/workgroup (compile time only)
; SGPRBlocks: 0
; VGPRBlocks: 7
; NumSGPRsForWavesPerEU: 48
; NumVGPRsForWavesPerEU: 59
; Occupancy: 16
; WaveLimiterHint : 1
; COMPUTE_PGM_RSRC2:SCRATCH_EN: 0
; COMPUTE_PGM_RSRC2:USER_SGPR: 6
; COMPUTE_PGM_RSRC2:TRAP_HANDLER: 0
; COMPUTE_PGM_RSRC2:TGID_X_EN: 1
; COMPUTE_PGM_RSRC2:TGID_Y_EN: 1
; COMPUTE_PGM_RSRC2:TGID_Z_EN: 1
; COMPUTE_PGM_RSRC2:TIDIG_COMP_CNT: 1
	.section	.text._ZN12_GLOBAL__N_135rocblas_gemm_batched_general_kernelI19rocblas_complex_numIfELi16ELi16ELi32ELi32ELi8ELi32ELi8ELi8ELi32ELc67ELc67EKPKS2_S5_KPS2_EEvlllT_PT11_llSA_llS8_PT12_llPT13_lli,"axG",@progbits,_ZN12_GLOBAL__N_135rocblas_gemm_batched_general_kernelI19rocblas_complex_numIfELi16ELi16ELi32ELi32ELi8ELi32ELi8ELi8ELi32ELc67ELc67EKPKS2_S5_KPS2_EEvlllT_PT11_llSA_llS8_PT12_llPT13_lli,comdat
	.globl	_ZN12_GLOBAL__N_135rocblas_gemm_batched_general_kernelI19rocblas_complex_numIfELi16ELi16ELi32ELi32ELi8ELi32ELi8ELi8ELi32ELc67ELc67EKPKS2_S5_KPS2_EEvlllT_PT11_llSA_llS8_PT12_llPT13_lli ; -- Begin function _ZN12_GLOBAL__N_135rocblas_gemm_batched_general_kernelI19rocblas_complex_numIfELi16ELi16ELi32ELi32ELi8ELi32ELi8ELi8ELi32ELc67ELc67EKPKS2_S5_KPS2_EEvlllT_PT11_llSA_llS8_PT12_llPT13_lli
	.p2align	8
	.type	_ZN12_GLOBAL__N_135rocblas_gemm_batched_general_kernelI19rocblas_complex_numIfELi16ELi16ELi32ELi32ELi8ELi32ELi8ELi8ELi32ELc67ELc67EKPKS2_S5_KPS2_EEvlllT_PT11_llSA_llS8_PT12_llPT13_lli,@function
_ZN12_GLOBAL__N_135rocblas_gemm_batched_general_kernelI19rocblas_complex_numIfELi16ELi16ELi32ELi32ELi8ELi32ELi8ELi8ELi32ELc67ELc67EKPKS2_S5_KPS2_EEvlllT_PT11_llSA_llS8_PT12_llPT13_lli: ; @_ZN12_GLOBAL__N_135rocblas_gemm_batched_general_kernelI19rocblas_complex_numIfELi16ELi16ELi32ELi32ELi8ELi32ELi8ELi8ELi32ELc67ELc67EKPKS2_S5_KPS2_EEvlllT_PT11_llSA_llS8_PT12_llPT13_lli
; %bb.0:
	s_clause 0x1
	s_load_dwordx8 s[36:43], s[4:5], 0x58
	s_load_dwordx16 s[12:27], s[4:5], 0x0
	s_mov_b32 s9, 0
	s_load_dwordx4 s[28:31], s[4:5], 0x78
	s_lshl_b64 s[44:45], s[8:9], 3
	s_load_dwordx2 s[8:9], s[4:5], 0x50
	s_mov_b32 s0, s7
	v_mov_b32_e32 v19, 0
	v_mov_b32_e32 v20, 0
	v_mov_b32_e32 v17, 0
	v_mov_b32_e32 v18, 0
	v_mov_b32_e32 v13, 0
	v_mov_b32_e32 v16, 0
	v_mov_b32_e32 v10, 0
	v_mov_b32_e32 v11, 0
	s_waitcnt lgkmcnt(0)
	s_add_u32 s2, s36, s44
	s_addc_u32 s3, s37, s45
	s_add_u32 s34, s42, s44
	s_addc_u32 s35, s43, s45
	s_load_dwordx2 s[10:11], s[2:3], 0x0
	s_load_dwordx2 s[2:3], s[34:35], 0x0
	v_cmp_lt_i64_e64 s33, s[16:17], 1
	s_ashr_i32 s7, s6, 31
	s_ashr_i32 s1, s0, 31
	s_lshl_b64 s[34:35], s[6:7], 5
	s_lshl_b64 s[36:37], s[0:1], 5
	s_and_b32 vcc_lo, exec_lo, s33
	s_cbranch_vccnz .LBB245_11
; %bb.1:
	s_load_dwordx4 s[4:7], s[4:5], 0x40
	v_and_b32_e32 v7, 7, v0
	v_lshl_add_u32 v2, v1, 4, v0
	v_mov_b32_e32 v6, 0
	s_add_u32 s26, s26, s44
	s_addc_u32 s27, s27, s45
	s_add_u32 s20, s20, s44
	v_lshrrev_b32_e32 v15, 3, v2
	v_and_b32_e32 v16, 31, v2
	s_addc_u32 s21, s21, s45
	s_lshl_b64 s[42:43], s[0:1], 8
	v_mov_b32_e32 v3, s35
	v_add_co_u32 v10, s0, v15, s36
	v_add_co_ci_u32_e64 v11, null, 0, s37, s0
	v_lshrrev_b32_e32 v12, 5, v2
	v_lshlrev_b32_e32 v17, 3, v7
	v_and_b32_e32 v18, 0x1ff8, v2
	v_or_b32_e32 v2, s34, v16
	s_waitcnt lgkmcnt(0)
	v_mad_u64_u32 v[4:5], null, s4, v7, 0
	v_lshl_or_b32 v15, v15, 6, v17
	s_load_dwordx2 s[26:27], s[26:27], 0x0
	v_cmp_gt_i64_e32 vcc_lo, s[12:13], v[2:3]
	s_lshl_b64 s[6:7], s[6:7], 3
	s_load_dwordx2 s[20:21], s[20:21], 0x0
	s_add_u32 s1, s6, s42
	v_mad_u64_u32 v[13:14], null, s5, v7, v[5:6]
	v_add_co_u32 v14, s0, s34, v16
	v_add_co_ci_u32_e64 v5, null, s35, 0, s0
	s_addc_u32 s6, s7, s43
	v_mul_lo_u32 v17, s23, v14
	v_mad_u64_u32 v[2:3], null, s22, v14, 0
	v_mul_lo_u32 v19, s22, v5
	v_mov_b32_e32 v5, v13
	v_cmp_gt_i64_e64 s0, s[14:15], v[10:11]
	v_lshlrev_b32_e32 v13, 3, v12
	v_lshlrev_b32_e32 v16, 3, v16
	;; [unrolled: 1-line block ×3, first 2 shown]
	v_lshlrev_b64 v[4:5], 3, v[4:5]
	v_lshl_add_u32 v9, v1, 6, 0x800
	v_add3_u32 v3, v3, v19, v17
	v_lshl_or_b32 v14, v12, 8, v16
	v_add_nc_u32_e32 v15, 0x800, v15
	v_mov_b32_e32 v16, 0
	v_add_co_u32 v4, s1, s1, v4
	v_lshlrev_b64 v[2:3], 3, v[2:3]
	v_add_co_ci_u32_e64 v5, null, s6, v5, s1
	v_add_co_u32 v4, s1, v4, v18
	s_lshl_b64 s[6:7], s[24:25], 3
	v_add_co_ci_u32_e64 v5, null, 0, v5, s1
	v_add_co_u32 v10, s1, v2, s6
	v_add_co_ci_u32_e64 v11, null, s7, v3, s1
	s_waitcnt lgkmcnt(0)
	v_add_co_u32 v2, s1, s26, v4
	v_add_co_ci_u32_e64 v3, null, s27, v5, s1
	v_add_co_u32 v4, s1, v10, v13
	v_add_co_ci_u32_e64 v5, null, 0, v11, s1
	v_mov_b32_e32 v11, 0
	v_add_co_u32 v4, s1, s20, v4
	v_add_co_ci_u32_e64 v5, null, s21, v5, s1
	v_mov_b32_e32 v10, 0
	v_mov_b32_e32 v13, 0
	;; [unrolled: 1-line block ×6, first 2 shown]
	s_lshl_b64 s[4:5], s[4:5], 6
	s_mov_b64 s[6:7], 0
	s_xor_b32 s1, vcc_lo, -1
	s_xor_b32 s0, s0, -1
	s_branch .LBB245_3
.LBB245_2:                              ;   in Loop: Header=BB245_3 Depth=1
	s_or_b32 exec_lo, exec_lo, s20
	ds_write_b32 v15, v21 offset:4
	s_waitcnt lgkmcnt(0)
	s_barrier
	buffer_gl0_inv
	ds_read_b128 v[21:24], v9
	ds_read2_b64 v[25:28], v8 offset1:16
	ds_read_b128 v[29:32], v9 offset:1024
	ds_read_b128 v[33:36], v9 offset:16
	;; [unrolled: 1-line block ×4, first 2 shown]
	ds_read2_b64 v[45:48], v8 offset0:32 offset1:48
	ds_read_b128 v[49:52], v9 offset:1040
	s_add_u32 s6, s6, 8
	s_addc_u32 s7, s7, 0
	v_add_co_u32 v2, vcc_lo, v2, s4
	v_cmp_lt_i64_e64 s20, s[6:7], s[16:17]
	v_add_co_ci_u32_e64 v3, null, s5, v3, vcc_lo
	v_add_co_u32 v4, vcc_lo, v4, 64
	v_add_co_ci_u32_e64 v5, null, 0, v5, vcc_lo
	s_and_b32 vcc_lo, exec_lo, s20
	s_waitcnt lgkmcnt(6)
	v_mul_f32_e32 v53, v22, v26
	v_mul_f32_e32 v54, v21, v26
	;; [unrolled: 1-line block ×4, first 2 shown]
	s_waitcnt lgkmcnt(5)
	v_mul_f32_e32 v57, v30, v26
	v_mul_f32_e32 v26, v29, v26
	;; [unrolled: 1-line block ×3, first 2 shown]
	v_fma_f32 v53, v21, v25, -v53
	v_fmac_f32_e32 v54, v22, v25
	v_fma_f32 v21, v21, v27, -v55
	v_fmac_f32_e32 v56, v22, v27
	;; [unrolled: 2-line block ×3, first 2 shown]
	v_mul_f32_e32 v28, v29, v28
	v_fma_f32 v25, v29, v27, -v58
	v_add_f32_e32 v29, v19, v53
	v_add_f32_e32 v21, v17, v21
	;; [unrolled: 1-line block ×5, first 2 shown]
	ds_read2_b64 v[16:19], v8 offset0:64 offset1:80
	s_waitcnt lgkmcnt(2)
	v_mul_f32_e32 v26, v24, v46
	v_fmac_f32_e32 v28, v30, v27
	v_mul_f32_e32 v27, v24, v48
	v_add_f32_e32 v10, v10, v25
	v_mul_f32_e32 v25, v23, v46
	v_fma_f32 v26, v23, v45, -v26
	v_add_f32_e32 v11, v11, v28
	v_mul_f32_e32 v28, v23, v48
	v_fma_f32 v23, v23, v47, -v27
	v_mul_f32_e32 v27, v32, v46
	v_add_f32_e32 v20, v20, v54
	v_fmac_f32_e32 v25, v24, v45
	v_fmac_f32_e32 v28, v24, v47
	v_add_f32_e32 v24, v21, v23
	v_fma_f32 v21, v31, v45, -v27
	v_mul_f32_e32 v23, v32, v48
	v_add_f32_e32 v25, v20, v25
	v_mul_f32_e32 v20, v31, v46
	v_add_f32_e32 v27, v53, v28
	;; [unrolled: 2-line block ×3, first 2 shown]
	v_fma_f32 v21, v31, v47, -v23
	s_waitcnt lgkmcnt(0)
	v_mul_f32_e32 v23, v34, v17
	v_add_f32_e32 v26, v29, v26
	v_fmac_f32_e32 v20, v32, v45
	v_fmac_f32_e32 v28, v32, v47
	v_mul_f32_e32 v30, v33, v17
	v_fma_f32 v31, v33, v16, -v23
	v_mul_f32_e32 v32, v34, v19
	v_add_f32_e32 v29, v22, v20
	v_add_f32_e32 v10, v10, v21
	ds_read2_b64 v[20:23], v8 offset0:96 offset1:112
	v_fmac_f32_e32 v30, v34, v16
	v_add_f32_e32 v26, v26, v31
	v_fma_f32 v31, v33, v18, -v32
	v_add_f32_e32 v11, v11, v28
	v_mul_f32_e32 v28, v33, v19
	v_add_f32_e32 v25, v25, v30
	v_mul_f32_e32 v30, v50, v17
	v_mul_f32_e32 v17, v49, v17
	v_add_f32_e32 v24, v24, v31
	v_mul_f32_e32 v31, v50, v19
	v_mul_f32_e32 v32, v49, v19
	v_fma_f32 v30, v49, v16, -v30
	v_fmac_f32_e32 v17, v50, v16
	v_fmac_f32_e32 v28, v34, v18
	v_fma_f32 v16, v49, v18, -v31
	v_fmac_f32_e32 v32, v50, v18
	v_add_f32_e32 v13, v13, v30
	v_add_f32_e32 v29, v29, v17
	;; [unrolled: 1-line block ×4, first 2 shown]
	ds_read2_b64 v[16:19], v8 offset0:128 offset1:144
	s_waitcnt lgkmcnt(1)
	v_mul_f32_e32 v27, v36, v21
	v_mul_f32_e32 v31, v36, v23
	;; [unrolled: 1-line block ×3, first 2 shown]
	v_add_f32_e32 v11, v11, v32
	v_mul_f32_e32 v32, v35, v23
	v_fma_f32 v27, v35, v20, -v27
	v_fma_f32 v31, v35, v22, -v31
	v_fmac_f32_e32 v30, v36, v20
	v_fmac_f32_e32 v32, v36, v22
	v_add_f32_e32 v33, v26, v27
	v_mul_f32_e32 v26, v52, v21
	v_add_f32_e32 v35, v24, v31
	v_mul_f32_e32 v21, v51, v21
	v_mul_f32_e32 v31, v52, v23
	v_add_f32_e32 v34, v25, v30
	v_fma_f32 v30, v51, v20, -v26
	ds_read_b128 v[24:27], v9 offset:1056
	v_add_f32_e32 v32, v28, v32
	v_fmac_f32_e32 v21, v52, v20
	v_mul_f32_e32 v28, v51, v23
	v_fma_f32 v20, v51, v22, -v31
	s_waitcnt lgkmcnt(1)
	v_mul_f32_e32 v23, v38, v17
	v_add_f32_e32 v13, v13, v30
	v_add_f32_e32 v36, v29, v21
	v_fmac_f32_e32 v28, v52, v22
	v_add_f32_e32 v10, v10, v20
	v_fma_f32 v29, v37, v16, -v23
	ds_read2_b64 v[20:23], v8 offset0:160 offset1:176
	v_mul_f32_e32 v45, v37, v17
	v_mul_f32_e32 v30, v38, v19
	;; [unrolled: 1-line block ×3, first 2 shown]
	v_add_f32_e32 v11, v11, v28
	v_add_f32_e32 v33, v33, v29
	v_fmac_f32_e32 v45, v38, v16
	v_fma_f32 v37, v37, v18, -v30
	ds_read_b128 v[28:31], v9 offset:1072
	s_waitcnt lgkmcnt(2)
	v_mul_f32_e32 v47, v25, v17
	v_fmac_f32_e32 v46, v38, v18
	v_mul_f32_e32 v17, v24, v17
	v_mul_f32_e32 v38, v25, v19
	v_add_f32_e32 v34, v34, v45
	v_add_f32_e32 v35, v35, v37
	v_fma_f32 v37, v24, v16, -v47
	v_fmac_f32_e32 v17, v25, v16
	v_mul_f32_e32 v45, v24, v19
	v_fma_f32 v16, v24, v18, -v38
	v_add_f32_e32 v32, v32, v46
	s_waitcnt lgkmcnt(1)
	v_mul_f32_e32 v19, v40, v21
	v_add_f32_e32 v13, v13, v37
	v_add_f32_e32 v24, v36, v17
	v_fmac_f32_e32 v45, v25, v18
	v_mul_f32_e32 v25, v39, v21
	v_add_f32_e32 v10, v10, v16
	v_fma_f32 v36, v39, v20, -v19
	ds_read2_b64 v[16:19], v8 offset0:192 offset1:208
	v_mul_f32_e32 v37, v40, v23
	v_fmac_f32_e32 v25, v40, v20
	v_add_f32_e32 v11, v11, v45
	v_add_f32_e32 v33, v33, v36
	v_mul_f32_e32 v36, v39, v23
	v_fma_f32 v37, v39, v22, -v37
	v_add_f32_e32 v25, v34, v25
	v_mul_f32_e32 v34, v27, v21
	v_mul_f32_e32 v21, v26, v21
	v_fmac_f32_e32 v36, v40, v22
	v_add_f32_e32 v35, v35, v37
	v_mul_f32_e32 v37, v27, v23
	v_fma_f32 v34, v26, v20, -v34
	v_fmac_f32_e32 v21, v27, v20
	v_add_f32_e32 v20, v32, v36
	v_mul_f32_e32 v32, v26, v23
	v_fma_f32 v23, v26, v22, -v37
	v_add_f32_e32 v13, v13, v34
	v_add_f32_e32 v26, v24, v21
	s_waitcnt lgkmcnt(0)
	v_mul_f32_e32 v34, v42, v17
	v_fmac_f32_e32 v32, v27, v22
	v_add_f32_e32 v10, v10, v23
	ds_read2_b64 v[21:24], v8 offset0:224 offset1:240
	v_mul_f32_e32 v27, v41, v17
	v_fma_f32 v34, v41, v16, -v34
	v_add_f32_e32 v11, v11, v32
	v_mul_f32_e32 v32, v42, v19
	v_mul_f32_e32 v36, v41, v19
	v_fmac_f32_e32 v27, v42, v16
	v_add_f32_e32 v33, v33, v34
	v_mul_f32_e32 v34, v29, v17
	v_mul_f32_e32 v17, v28, v17
	v_fma_f32 v32, v41, v18, -v32
	v_add_f32_e32 v25, v25, v27
	v_fmac_f32_e32 v36, v42, v18
	v_fma_f32 v27, v28, v16, -v34
	v_mul_f32_e32 v34, v29, v19
	v_fmac_f32_e32 v17, v29, v16
	v_mul_f32_e32 v16, v28, v19
	v_add_f32_e32 v32, v35, v32
	v_add_f32_e32 v13, v13, v27
	;; [unrolled: 1-line block ×3, first 2 shown]
	s_waitcnt lgkmcnt(0)
	v_mul_f32_e32 v27, v43, v22
	v_fma_f32 v19, v28, v18, -v34
	v_mul_f32_e32 v20, v44, v22
	v_fmac_f32_e32 v16, v29, v18
	v_mul_f32_e32 v18, v44, v24
	v_fmac_f32_e32 v27, v44, v21
	v_add_f32_e32 v26, v26, v17
	v_fma_f32 v17, v43, v21, -v20
	v_mul_f32_e32 v28, v43, v24
	v_add_f32_e32 v11, v11, v16
	v_add_f32_e32 v20, v25, v27
	v_fma_f32 v16, v43, v23, -v18
	v_mul_f32_e32 v18, v31, v22
	v_mul_f32_e32 v22, v30, v22
	;; [unrolled: 1-line block ×4, first 2 shown]
	v_add_f32_e32 v10, v10, v19
	v_add_f32_e32 v19, v33, v17
	v_fmac_f32_e32 v28, v44, v23
	v_add_f32_e32 v17, v32, v16
	v_fma_f32 v16, v30, v21, -v18
	v_fmac_f32_e32 v22, v31, v21
	v_fma_f32 v21, v30, v23, -v25
	v_fmac_f32_e32 v24, v31, v23
	v_add_f32_e32 v18, v35, v28
	v_add_f32_e32 v13, v13, v16
	;; [unrolled: 1-line block ×5, first 2 shown]
	s_barrier
	buffer_gl0_inv
	s_cbranch_vccz .LBB245_11
.LBB245_3:                              ; =>This Inner Loop Header: Depth=1
	v_add_co_u32 v21, s20, v12, s6
	v_add_co_ci_u32_e64 v22, null, 0, s7, s20
	v_cmp_le_i64_e32 vcc_lo, s[16:17], v[21:22]
	s_or_b32 s20, s1, vcc_lo
	s_and_saveexec_b32 s21, s20
	s_xor_b32 s20, exec_lo, s21
; %bb.4:                                ;   in Loop: Header=BB245_3 Depth=1
	ds_write_b32 v14, v6
; %bb.5:                                ;   in Loop: Header=BB245_3 Depth=1
	s_or_saveexec_b32 s20, s20
	v_mov_b32_e32 v21, 0
	s_xor_b32 exec_lo, exec_lo, s20
	s_cbranch_execz .LBB245_7
; %bb.6:                                ;   in Loop: Header=BB245_3 Depth=1
	flat_load_dwordx2 v[22:23], v[4:5]
	s_waitcnt vmcnt(0) lgkmcnt(0)
	v_xor_b32_e32 v21, 0x80000000, v23
	ds_write_b32 v14, v22
.LBB245_7:                              ;   in Loop: Header=BB245_3 Depth=1
	s_or_b32 exec_lo, exec_lo, s20
	v_add_co_u32 v22, s20, v7, s6
	v_add_co_ci_u32_e64 v23, null, 0, s7, s20
	ds_write_b32 v14, v21 offset:4
	v_cmp_le_i64_e32 vcc_lo, s[16:17], v[22:23]
	s_or_b32 s20, vcc_lo, s0
	s_and_saveexec_b32 s21, s20
	s_xor_b32 s20, exec_lo, s21
; %bb.8:                                ;   in Loop: Header=BB245_3 Depth=1
	ds_write_b32 v15, v6
; %bb.9:                                ;   in Loop: Header=BB245_3 Depth=1
	s_or_saveexec_b32 s20, s20
	v_mov_b32_e32 v21, 0
	s_xor_b32 exec_lo, exec_lo, s20
	s_cbranch_execz .LBB245_2
; %bb.10:                               ;   in Loop: Header=BB245_3 Depth=1
	flat_load_dwordx2 v[22:23], v[2:3]
	s_waitcnt vmcnt(0) lgkmcnt(0)
	v_xor_b32_e32 v21, 0x80000000, v23
	ds_write_b32 v15, v22
	s_branch .LBB245_2
.LBB245_11:
	v_add_co_u32 v1, s4, s36, v1
	v_add_co_ci_u32_e64 v2, null, s37, 0, s4
	s_lshl_b64 s[0:1], s[30:31], 3
	s_waitcnt lgkmcnt(0)
	s_add_u32 s4, s2, s0
	s_addc_u32 s3, s3, s1
	s_or_b32 s1, s8, s9
	v_cmp_gt_i64_e64 s0, s[14:15], v[1:2]
	s_bitset0_b32 s1, 31
	s_cmp_lg_u32 s1, 0
	s_mov_b32 s1, -1
	s_cbranch_scc1 .LBB245_23
; %bb.12:
	s_and_saveexec_b32 s5, s0
	s_cbranch_execz .LBB245_22
; %bb.13:
	v_mul_lo_u32 v5, v2, s28
	v_mul_lo_u32 v6, v1, s29
	v_mad_u64_u32 v[3:4], null, v1, s28, 0
	v_add3_u32 v4, v4, v6, v5
	v_add_co_u32 v5, s1, s34, v0
	v_add_co_ci_u32_e64 v6, null, s35, 0, s1
	v_lshlrev_b64 v[7:8], 3, v[3:4]
	v_cmp_gt_i64_e32 vcc_lo, s[12:13], v[5:6]
	v_lshlrev_b64 v[3:4], 3, v[5:6]
	v_add_co_u32 v7, s1, s4, v7
	v_add_co_ci_u32_e64 v8, null, s3, v8, s1
	s_and_saveexec_b32 s2, vcc_lo
	s_cbranch_execz .LBB245_15
; %bb.14:
	v_mul_f32_e32 v9, s19, v20
	v_mul_f32_e32 v15, s18, v20
	v_add_co_u32 v21, s1, v7, v3
	v_add_co_ci_u32_e64 v22, null, v8, v4, s1
	v_fma_f32 v14, v19, s18, -v9
	v_fmac_f32_e32 v15, s19, v19
	flat_store_dwordx2 v[21:22], v[14:15]
.LBB245_15:
	s_or_b32 exec_lo, exec_lo, s2
	v_add_co_u32 v5, s1, v5, 16
	v_add_co_ci_u32_e64 v6, null, 0, v6, s1
	v_cmp_gt_i64_e64 s1, s[12:13], v[5:6]
	s_and_saveexec_b32 s6, s1
	s_cbranch_execz .LBB245_17
; %bb.16:
	v_mul_f32_e32 v5, s19, v18
	v_mul_f32_e32 v6, s18, v18
	v_add_co_u32 v14, s2, v7, v3
	v_add_co_ci_u32_e64 v15, null, v8, v4, s2
	v_fma_f32 v5, v17, s18, -v5
	v_fmac_f32_e32 v6, s19, v17
	flat_store_dwordx2 v[14:15], v[5:6] offset:128
.LBB245_17:
	s_or_b32 exec_lo, exec_lo, s6
	v_add_co_u32 v5, s2, v1, 16
	v_add_co_ci_u32_e64 v6, null, 0, v2, s2
	v_cmp_gt_i64_e64 s2, s[14:15], v[5:6]
	s_and_b32 exec_lo, exec_lo, s2
	s_cbranch_execz .LBB245_22
; %bb.18:
	s_lshl_b64 s[6:7], s[28:29], 7
	v_add_co_u32 v5, s2, v7, s6
	v_add_co_ci_u32_e64 v6, null, s7, v8, s2
	v_add_co_u32 v3, s2, v5, v3
	v_add_co_ci_u32_e64 v4, null, v6, v4, s2
	s_and_saveexec_b32 s2, vcc_lo
	s_cbranch_execz .LBB245_20
; %bb.19:
	v_mul_f32_e32 v5, s19, v16
	v_mul_f32_e32 v6, s18, v16
	v_fma_f32 v5, v13, s18, -v5
	v_fmac_f32_e32 v6, s19, v13
	flat_store_dwordx2 v[3:4], v[5:6]
.LBB245_20:
	s_or_b32 exec_lo, exec_lo, s2
	s_and_b32 exec_lo, exec_lo, s1
	s_cbranch_execz .LBB245_22
; %bb.21:
	v_mul_f32_e32 v5, s19, v11
	v_mul_f32_e32 v6, s18, v11
	v_fma_f32 v5, v10, s18, -v5
	v_fmac_f32_e32 v6, s19, v10
	flat_store_dwordx2 v[3:4], v[5:6] offset:128
.LBB245_22:
	s_or_b32 exec_lo, exec_lo, s5
	s_mov_b32 s1, 0
.LBB245_23:
	s_andn2_b32 vcc_lo, exec_lo, s1
	s_cbranch_vccnz .LBB245_34
; %bb.24:
	s_and_saveexec_b32 s1, s0
	s_cbranch_execz .LBB245_34
; %bb.25:
	v_mul_lo_u32 v5, v2, s38
	v_mul_lo_u32 v6, v1, s39
	v_mad_u64_u32 v[3:4], null, v1, s38, 0
	v_mul_lo_u32 v9, v2, s28
	v_mul_lo_u32 v12, v1, s29
	v_mad_u64_u32 v[7:8], null, v1, s28, 0
	s_lshl_b64 s[0:1], s[40:41], 3
	v_add3_u32 v4, v4, v6, v5
	v_add_co_u32 v5, s2, s34, v0
	v_add_co_ci_u32_e64 v6, null, s35, 0, s2
	v_add3_u32 v8, v8, v12, v9
	v_lshlrev_b64 v[3:4], 3, v[3:4]
	s_add_u32 s0, s10, s0
	s_addc_u32 s1, s11, s1
	v_cmp_gt_i64_e32 vcc_lo, s[12:13], v[5:6]
	v_lshlrev_b64 v[8:9], 3, v[7:8]
	v_add_co_u32 v0, s0, s0, v3
	v_add_co_ci_u32_e64 v7, null, s1, v4, s0
	v_add_co_u32 v8, s0, s4, v8
	v_lshlrev_b64 v[3:4], 3, v[5:6]
	v_add_co_ci_u32_e64 v9, null, s3, v9, s0
	s_and_saveexec_b32 s1, vcc_lo
	s_cbranch_execz .LBB245_27
; %bb.26:
	v_add_co_u32 v14, s0, v0, v3
	v_add_co_ci_u32_e64 v15, null, v7, v4, s0
	v_mul_f32_e32 v12, s19, v20
	v_mul_f32_e32 v20, s18, v20
	flat_load_dwordx2 v[14:15], v[14:15]
	v_fma_f32 v12, v19, s18, -v12
	v_fmac_f32_e32 v20, s19, v19
	s_waitcnt vmcnt(0) lgkmcnt(0)
	v_mul_f32_e32 v21, s9, v15
	v_mul_f32_e32 v15, s8, v15
	v_fma_f32 v19, v14, s8, -v21
	v_fmac_f32_e32 v15, s9, v14
	v_add_f32_e32 v14, v12, v19
	v_add_co_u32 v19, s0, v8, v3
	v_add_f32_e32 v15, v20, v15
	v_add_co_ci_u32_e64 v20, null, v9, v4, s0
	flat_store_dwordx2 v[19:20], v[14:15]
.LBB245_27:
	s_or_b32 exec_lo, exec_lo, s1
	v_add_co_u32 v5, s0, v5, 16
	v_add_co_ci_u32_e64 v6, null, 0, v6, s0
	v_cmp_gt_i64_e64 s0, s[12:13], v[5:6]
	s_and_saveexec_b32 s2, s0
	s_cbranch_execz .LBB245_29
; %bb.28:
	v_add_co_u32 v5, s1, v0, v3
	v_add_co_ci_u32_e64 v6, null, v7, v4, s1
	v_mul_f32_e32 v14, s18, v18
	v_mul_f32_e32 v12, s19, v18
	flat_load_dwordx2 v[5:6], v[5:6] offset:128
	v_fmac_f32_e32 v14, s19, v17
	v_fma_f32 v12, v17, s18, -v12
	s_waitcnt vmcnt(0) lgkmcnt(0)
	v_mul_f32_e32 v15, s9, v6
	v_mul_f32_e32 v6, s8, v6
	v_fma_f32 v15, v5, s8, -v15
	v_fmac_f32_e32 v6, s9, v5
	v_add_f32_e32 v5, v12, v15
	v_add_f32_e32 v6, v14, v6
	v_add_co_u32 v14, s1, v8, v3
	v_add_co_ci_u32_e64 v15, null, v9, v4, s1
	flat_store_dwordx2 v[14:15], v[5:6] offset:128
.LBB245_29:
	s_or_b32 exec_lo, exec_lo, s2
	v_add_co_u32 v1, s1, v1, 16
	v_add_co_ci_u32_e64 v2, null, 0, v2, s1
	v_cmp_gt_i64_e64 s1, s[14:15], v[1:2]
	s_and_b32 exec_lo, exec_lo, s1
	s_cbranch_execz .LBB245_34
; %bb.30:
	s_lshl_b64 s[2:3], s[38:39], 7
	v_add_co_u32 v0, s1, v0, s2
	v_add_co_ci_u32_e64 v1, null, s3, v7, s1
	s_lshl_b64 s[2:3], s[28:29], 7
	v_add_co_u32 v2, s1, v8, s2
	v_add_co_ci_u32_e64 v7, null, s3, v9, s1
	v_add_co_u32 v5, s1, v0, v3
	v_add_co_ci_u32_e64 v6, null, v1, v4, s1
	;; [unrolled: 2-line block ×3, first 2 shown]
	s_and_saveexec_b32 s1, vcc_lo
	s_cbranch_execz .LBB245_32
; %bb.31:
	flat_load_dwordx2 v[2:3], v[5:6]
	v_mul_f32_e32 v4, s19, v16
	v_mul_f32_e32 v7, s18, v16
	v_fma_f32 v4, v13, s18, -v4
	v_fmac_f32_e32 v7, s19, v13
	s_waitcnt vmcnt(0) lgkmcnt(0)
	v_mul_f32_e32 v8, s9, v3
	v_mul_f32_e32 v3, s8, v3
	v_fma_f32 v8, v2, s8, -v8
	v_fmac_f32_e32 v3, s9, v2
	v_add_f32_e32 v2, v4, v8
	v_add_f32_e32 v3, v7, v3
	flat_store_dwordx2 v[0:1], v[2:3]
.LBB245_32:
	s_or_b32 exec_lo, exec_lo, s1
	s_and_b32 exec_lo, exec_lo, s0
	s_cbranch_execz .LBB245_34
; %bb.33:
	flat_load_dwordx2 v[2:3], v[5:6] offset:128
	v_mul_f32_e32 v4, s19, v11
	v_mul_f32_e32 v5, s18, v11
	v_fma_f32 v4, v10, s18, -v4
	v_fmac_f32_e32 v5, s19, v10
	s_waitcnt vmcnt(0) lgkmcnt(0)
	v_mul_f32_e32 v6, s9, v3
	v_mul_f32_e32 v3, s8, v3
	v_fma_f32 v6, v2, s8, -v6
	v_fmac_f32_e32 v3, s9, v2
	v_add_f32_e32 v2, v4, v6
	v_add_f32_e32 v3, v5, v3
	flat_store_dwordx2 v[0:1], v[2:3] offset:128
.LBB245_34:
	s_endpgm
	.section	.rodata,"a",@progbits
	.p2align	6, 0x0
	.amdhsa_kernel _ZN12_GLOBAL__N_135rocblas_gemm_batched_general_kernelI19rocblas_complex_numIfELi16ELi16ELi32ELi32ELi8ELi32ELi8ELi8ELi32ELc67ELc67EKPKS2_S5_KPS2_EEvlllT_PT11_llSA_llS8_PT12_llPT13_lli
		.amdhsa_group_segment_fixed_size 4096
		.amdhsa_private_segment_fixed_size 0
		.amdhsa_kernarg_size 140
		.amdhsa_user_sgpr_count 6
		.amdhsa_user_sgpr_private_segment_buffer 1
		.amdhsa_user_sgpr_dispatch_ptr 0
		.amdhsa_user_sgpr_queue_ptr 0
		.amdhsa_user_sgpr_kernarg_segment_ptr 1
		.amdhsa_user_sgpr_dispatch_id 0
		.amdhsa_user_sgpr_flat_scratch_init 0
		.amdhsa_user_sgpr_private_segment_size 0
		.amdhsa_wavefront_size32 1
		.amdhsa_uses_dynamic_stack 0
		.amdhsa_system_sgpr_private_segment_wavefront_offset 0
		.amdhsa_system_sgpr_workgroup_id_x 1
		.amdhsa_system_sgpr_workgroup_id_y 1
		.amdhsa_system_sgpr_workgroup_id_z 1
		.amdhsa_system_sgpr_workgroup_info 0
		.amdhsa_system_vgpr_workitem_id 1
		.amdhsa_next_free_vgpr 59
		.amdhsa_next_free_sgpr 46
		.amdhsa_reserve_vcc 1
		.amdhsa_reserve_flat_scratch 0
		.amdhsa_float_round_mode_32 0
		.amdhsa_float_round_mode_16_64 0
		.amdhsa_float_denorm_mode_32 3
		.amdhsa_float_denorm_mode_16_64 3
		.amdhsa_dx10_clamp 1
		.amdhsa_ieee_mode 1
		.amdhsa_fp16_overflow 0
		.amdhsa_workgroup_processor_mode 1
		.amdhsa_memory_ordered 1
		.amdhsa_forward_progress 1
		.amdhsa_shared_vgpr_count 0
		.amdhsa_exception_fp_ieee_invalid_op 0
		.amdhsa_exception_fp_denorm_src 0
		.amdhsa_exception_fp_ieee_div_zero 0
		.amdhsa_exception_fp_ieee_overflow 0
		.amdhsa_exception_fp_ieee_underflow 0
		.amdhsa_exception_fp_ieee_inexact 0
		.amdhsa_exception_int_div_zero 0
	.end_amdhsa_kernel
	.section	.text._ZN12_GLOBAL__N_135rocblas_gemm_batched_general_kernelI19rocblas_complex_numIfELi16ELi16ELi32ELi32ELi8ELi32ELi8ELi8ELi32ELc67ELc67EKPKS2_S5_KPS2_EEvlllT_PT11_llSA_llS8_PT12_llPT13_lli,"axG",@progbits,_ZN12_GLOBAL__N_135rocblas_gemm_batched_general_kernelI19rocblas_complex_numIfELi16ELi16ELi32ELi32ELi8ELi32ELi8ELi8ELi32ELc67ELc67EKPKS2_S5_KPS2_EEvlllT_PT11_llSA_llS8_PT12_llPT13_lli,comdat
.Lfunc_end245:
	.size	_ZN12_GLOBAL__N_135rocblas_gemm_batched_general_kernelI19rocblas_complex_numIfELi16ELi16ELi32ELi32ELi8ELi32ELi8ELi8ELi32ELc67ELc67EKPKS2_S5_KPS2_EEvlllT_PT11_llSA_llS8_PT12_llPT13_lli, .Lfunc_end245-_ZN12_GLOBAL__N_135rocblas_gemm_batched_general_kernelI19rocblas_complex_numIfELi16ELi16ELi32ELi32ELi8ELi32ELi8ELi8ELi32ELc67ELc67EKPKS2_S5_KPS2_EEvlllT_PT11_llSA_llS8_PT12_llPT13_lli
                                        ; -- End function
	.set _ZN12_GLOBAL__N_135rocblas_gemm_batched_general_kernelI19rocblas_complex_numIfELi16ELi16ELi32ELi32ELi8ELi32ELi8ELi8ELi32ELc67ELc67EKPKS2_S5_KPS2_EEvlllT_PT11_llSA_llS8_PT12_llPT13_lli.num_vgpr, 59
	.set _ZN12_GLOBAL__N_135rocblas_gemm_batched_general_kernelI19rocblas_complex_numIfELi16ELi16ELi32ELi32ELi8ELi32ELi8ELi8ELi32ELc67ELc67EKPKS2_S5_KPS2_EEvlllT_PT11_llSA_llS8_PT12_llPT13_lli.num_agpr, 0
	.set _ZN12_GLOBAL__N_135rocblas_gemm_batched_general_kernelI19rocblas_complex_numIfELi16ELi16ELi32ELi32ELi8ELi32ELi8ELi8ELi32ELc67ELc67EKPKS2_S5_KPS2_EEvlllT_PT11_llSA_llS8_PT12_llPT13_lli.numbered_sgpr, 46
	.set _ZN12_GLOBAL__N_135rocblas_gemm_batched_general_kernelI19rocblas_complex_numIfELi16ELi16ELi32ELi32ELi8ELi32ELi8ELi8ELi32ELc67ELc67EKPKS2_S5_KPS2_EEvlllT_PT11_llSA_llS8_PT12_llPT13_lli.num_named_barrier, 0
	.set _ZN12_GLOBAL__N_135rocblas_gemm_batched_general_kernelI19rocblas_complex_numIfELi16ELi16ELi32ELi32ELi8ELi32ELi8ELi8ELi32ELc67ELc67EKPKS2_S5_KPS2_EEvlllT_PT11_llSA_llS8_PT12_llPT13_lli.private_seg_size, 0
	.set _ZN12_GLOBAL__N_135rocblas_gemm_batched_general_kernelI19rocblas_complex_numIfELi16ELi16ELi32ELi32ELi8ELi32ELi8ELi8ELi32ELc67ELc67EKPKS2_S5_KPS2_EEvlllT_PT11_llSA_llS8_PT12_llPT13_lli.uses_vcc, 1
	.set _ZN12_GLOBAL__N_135rocblas_gemm_batched_general_kernelI19rocblas_complex_numIfELi16ELi16ELi32ELi32ELi8ELi32ELi8ELi8ELi32ELc67ELc67EKPKS2_S5_KPS2_EEvlllT_PT11_llSA_llS8_PT12_llPT13_lli.uses_flat_scratch, 0
	.set _ZN12_GLOBAL__N_135rocblas_gemm_batched_general_kernelI19rocblas_complex_numIfELi16ELi16ELi32ELi32ELi8ELi32ELi8ELi8ELi32ELc67ELc67EKPKS2_S5_KPS2_EEvlllT_PT11_llSA_llS8_PT12_llPT13_lli.has_dyn_sized_stack, 0
	.set _ZN12_GLOBAL__N_135rocblas_gemm_batched_general_kernelI19rocblas_complex_numIfELi16ELi16ELi32ELi32ELi8ELi32ELi8ELi8ELi32ELc67ELc67EKPKS2_S5_KPS2_EEvlllT_PT11_llSA_llS8_PT12_llPT13_lli.has_recursion, 0
	.set _ZN12_GLOBAL__N_135rocblas_gemm_batched_general_kernelI19rocblas_complex_numIfELi16ELi16ELi32ELi32ELi8ELi32ELi8ELi8ELi32ELc67ELc67EKPKS2_S5_KPS2_EEvlllT_PT11_llSA_llS8_PT12_llPT13_lli.has_indirect_call, 0
	.section	.AMDGPU.csdata,"",@progbits
; Kernel info:
; codeLenInByte = 3036
; TotalNumSgprs: 48
; NumVgprs: 59
; ScratchSize: 0
; MemoryBound: 0
; FloatMode: 240
; IeeeMode: 1
; LDSByteSize: 4096 bytes/workgroup (compile time only)
; SGPRBlocks: 0
; VGPRBlocks: 7
; NumSGPRsForWavesPerEU: 48
; NumVGPRsForWavesPerEU: 59
; Occupancy: 16
; WaveLimiterHint : 1
; COMPUTE_PGM_RSRC2:SCRATCH_EN: 0
; COMPUTE_PGM_RSRC2:USER_SGPR: 6
; COMPUTE_PGM_RSRC2:TRAP_HANDLER: 0
; COMPUTE_PGM_RSRC2:TGID_X_EN: 1
; COMPUTE_PGM_RSRC2:TGID_Y_EN: 1
; COMPUTE_PGM_RSRC2:TGID_Z_EN: 1
; COMPUTE_PGM_RSRC2:TIDIG_COMP_CNT: 1
	.section	.text._ZN12_GLOBAL__N_135rocblas_gemm_batched_general_kernelI19rocblas_complex_numIfELi16ELi16ELi32ELi32ELi8ELi32ELi8ELi8ELi32ELc67ELc78EKPKS2_S5_KPS2_EEvlllT_PT11_llSA_llS8_PT12_llPT13_lli,"axG",@progbits,_ZN12_GLOBAL__N_135rocblas_gemm_batched_general_kernelI19rocblas_complex_numIfELi16ELi16ELi32ELi32ELi8ELi32ELi8ELi8ELi32ELc67ELc78EKPKS2_S5_KPS2_EEvlllT_PT11_llSA_llS8_PT12_llPT13_lli,comdat
	.globl	_ZN12_GLOBAL__N_135rocblas_gemm_batched_general_kernelI19rocblas_complex_numIfELi16ELi16ELi32ELi32ELi8ELi32ELi8ELi8ELi32ELc67ELc78EKPKS2_S5_KPS2_EEvlllT_PT11_llSA_llS8_PT12_llPT13_lli ; -- Begin function _ZN12_GLOBAL__N_135rocblas_gemm_batched_general_kernelI19rocblas_complex_numIfELi16ELi16ELi32ELi32ELi8ELi32ELi8ELi8ELi32ELc67ELc78EKPKS2_S5_KPS2_EEvlllT_PT11_llSA_llS8_PT12_llPT13_lli
	.p2align	8
	.type	_ZN12_GLOBAL__N_135rocblas_gemm_batched_general_kernelI19rocblas_complex_numIfELi16ELi16ELi32ELi32ELi8ELi32ELi8ELi8ELi32ELc67ELc78EKPKS2_S5_KPS2_EEvlllT_PT11_llSA_llS8_PT12_llPT13_lli,@function
_ZN12_GLOBAL__N_135rocblas_gemm_batched_general_kernelI19rocblas_complex_numIfELi16ELi16ELi32ELi32ELi8ELi32ELi8ELi8ELi32ELc67ELc78EKPKS2_S5_KPS2_EEvlllT_PT11_llSA_llS8_PT12_llPT13_lli: ; @_ZN12_GLOBAL__N_135rocblas_gemm_batched_general_kernelI19rocblas_complex_numIfELi16ELi16ELi32ELi32ELi8ELi32ELi8ELi8ELi32ELc67ELc78EKPKS2_S5_KPS2_EEvlllT_PT11_llSA_llS8_PT12_llPT13_lli
; %bb.0:
	s_clause 0x1
	s_load_dwordx8 s[36:43], s[4:5], 0x58
	s_load_dwordx16 s[12:27], s[4:5], 0x0
	s_mov_b32 s9, 0
	s_load_dwordx4 s[28:31], s[4:5], 0x78
	s_lshl_b64 s[44:45], s[8:9], 3
	s_load_dwordx2 s[8:9], s[4:5], 0x50
	s_mov_b32 s0, s7
	v_mov_b32_e32 v20, 0
	v_mov_b32_e32 v21, 0
	;; [unrolled: 1-line block ×8, first 2 shown]
	s_waitcnt lgkmcnt(0)
	s_add_u32 s2, s36, s44
	s_addc_u32 s3, s37, s45
	s_add_u32 s34, s42, s44
	s_addc_u32 s35, s43, s45
	s_load_dwordx2 s[10:11], s[2:3], 0x0
	s_load_dwordx2 s[34:35], s[34:35], 0x0
	v_cmp_lt_i64_e64 s2, s[16:17], 1
	s_ashr_i32 s7, s6, 31
	s_ashr_i32 s1, s0, 31
	s_lshl_b64 s[6:7], s[6:7], 5
	s_lshl_b64 s[36:37], s[0:1], 5
	s_and_b32 vcc_lo, exec_lo, s2
	s_cbranch_vccnz .LBB246_11
; %bb.1:
	s_load_dwordx4 s[0:3], s[4:5], 0x40
	v_lshl_add_u32 v3, v1, 4, v0
	s_add_u32 s4, s26, s44
	v_and_b32_e32 v8, 7, v0
	v_mov_b32_e32 v4, s7
	s_addc_u32 s5, s27, s45
	v_lshrrev_b32_e32 v7, 3, v3
	v_and_b32_e32 v10, 31, v3
	v_lshrrev_b32_e32 v9, 5, v3
	s_add_u32 s20, s20, s44
	s_load_dwordx2 s[4:5], s[4:5], 0x0
	v_add_co_u32 v5, s26, v7, s36
	v_add_co_ci_u32_e64 v6, null, 0, s37, s26
	v_or_b32_e32 v3, s6, v10
	v_lshlrev_b32_e32 v13, 3, v10
	s_addc_u32 s21, s21, s45
	v_lshlrev_b32_e32 v12, 3, v8
	s_load_dwordx2 s[20:21], s[20:21], 0x0
	s_waitcnt lgkmcnt(0)
	v_mul_lo_u32 v14, s1, v5
	v_add_co_u32 v15, s1, s6, v10
	v_add_co_ci_u32_e64 v16, null, s7, 0, s1
	v_mul_lo_u32 v17, s0, v6
	v_mad_u64_u32 v[10:11], null, s0, v5, 0
	v_mul_lo_u32 v20, s23, v15
	v_mul_lo_u32 v16, s22, v16
	v_mad_u64_u32 v[18:19], null, s22, v15, 0
	v_cmp_gt_i64_e32 vcc_lo, s[12:13], v[3:4]
	v_cmp_gt_i64_e64 s0, s[14:15], v[5:6]
	v_add3_u32 v11, v11, v17, v14
	s_lshl_b64 s[2:3], s[2:3], 3
	v_lshl_or_b32 v7, v7, 6, v12
	v_mov_b32_e32 v2, 0
	v_add3_u32 v19, v19, v16, v20
	v_lshlrev_b64 v[3:4], 3, v[10:11]
	v_lshl_or_b32 v13, v9, 8, v13
	v_add_nc_u32_e32 v14, 0x800, v7
	v_lshlrev_b32_e32 v7, 3, v9
	v_lshlrev_b64 v[5:6], 3, v[18:19]
	v_lshlrev_b32_e32 v16, 3, v0
	v_add_co_u32 v3, s1, v3, s2
	v_add_co_ci_u32_e64 v4, null, s3, v4, s1
	s_lshl_b64 s[2:3], s[24:25], 3
	v_lshl_add_u32 v17, v1, 6, 0x800
	v_add_co_u32 v5, s1, v5, s2
	v_add_co_ci_u32_e64 v6, null, s3, v6, s1
	v_add_co_u32 v3, s1, v3, v12
	v_add_co_ci_u32_e64 v10, null, 0, v4, s1
	;; [unrolled: 2-line block ×5, first 2 shown]
	v_mov_b32_e32 v11, 0
	v_mov_b32_e32 v10, 0
	;; [unrolled: 1-line block ×8, first 2 shown]
	s_mov_b64 s[2:3], 0
	s_xor_b32 s1, vcc_lo, -1
	s_xor_b32 s0, s0, -1
	s_branch .LBB246_3
.LBB246_2:                              ;   in Loop: Header=BB246_3 Depth=1
	s_or_b32 exec_lo, exec_lo, s4
	s_waitcnt lgkmcnt(0)
	s_barrier
	buffer_gl0_inv
	ds_read_b128 v[22:25], v17
	ds_read2_b64 v[26:29], v16 offset1:16
	ds_read_b128 v[30:33], v17 offset:1024
	ds_read_b128 v[34:37], v17 offset:16
	;; [unrolled: 1-line block ×4, first 2 shown]
	ds_read2_b64 v[46:49], v16 offset0:32 offset1:48
	ds_read_b128 v[50:53], v17 offset:1040
	s_add_u32 s2, s2, 8
	s_addc_u32 s3, s3, 0
	v_add_co_u32 v4, vcc_lo, v4, 64
	v_cmp_lt_i64_e64 s4, s[2:3], s[16:17]
	v_add_co_ci_u32_e64 v5, null, 0, v5, vcc_lo
	v_add_co_u32 v6, vcc_lo, v6, 64
	v_add_co_ci_u32_e64 v7, null, 0, v7, vcc_lo
	s_and_b32 vcc_lo, exec_lo, s4
	s_waitcnt lgkmcnt(6)
	v_mul_f32_e32 v3, v23, v27
	v_mul_f32_e32 v54, v22, v27
	;; [unrolled: 1-line block ×4, first 2 shown]
	s_waitcnt lgkmcnt(5)
	v_mul_f32_e32 v57, v31, v27
	v_mul_f32_e32 v27, v30, v27
	;; [unrolled: 1-line block ×3, first 2 shown]
	v_fma_f32 v3, v22, v26, -v3
	v_fmac_f32_e32 v54, v23, v26
	v_fma_f32 v22, v22, v28, -v55
	v_fmac_f32_e32 v56, v23, v28
	v_fma_f32 v23, v30, v26, -v57
	v_mul_f32_e32 v29, v30, v29
	v_fmac_f32_e32 v27, v31, v26
	v_fma_f32 v26, v30, v28, -v58
	v_add_f32_e32 v3, v20, v3
	v_add_f32_e32 v30, v21, v54
	;; [unrolled: 1-line block ×5, first 2 shown]
	s_waitcnt lgkmcnt(1)
	v_mul_f32_e32 v23, v25, v47
	ds_read2_b64 v[18:21], v16 offset0:64 offset1:80
	v_add_f32_e32 v15, v15, v27
	v_mul_f32_e32 v27, v25, v49
	v_fmac_f32_e32 v29, v31, v28
	v_fma_f32 v23, v24, v46, -v23
	v_add_f32_e32 v10, v10, v26
	v_mul_f32_e32 v26, v24, v47
	v_mul_f32_e32 v28, v24, v49
	v_add_f32_e32 v11, v11, v29
	v_add_f32_e32 v3, v3, v23
	v_fma_f32 v23, v24, v48, -v27
	v_mul_f32_e32 v24, v33, v47
	v_fmac_f32_e32 v26, v25, v46
	v_fmac_f32_e32 v28, v25, v48
	v_mul_f32_e32 v25, v32, v47
	v_add_f32_e32 v27, v22, v23
	v_fma_f32 v22, v32, v46, -v24
	v_mul_f32_e32 v23, v33, v49
	v_add_f32_e32 v26, v30, v26
	v_fmac_f32_e32 v25, v33, v46
	v_mul_f32_e32 v29, v32, v49
	v_add_f32_e32 v12, v12, v22
	v_fma_f32 v22, v32, v48, -v23
	s_waitcnt lgkmcnt(0)
	v_mul_f32_e32 v23, v35, v19
	v_mul_f32_e32 v30, v34, v19
	v_mul_f32_e32 v32, v35, v21
	v_add_f32_e32 v15, v15, v25
	v_add_f32_e32 v10, v10, v22
	v_fma_f32 v31, v34, v18, -v23
	ds_read2_b64 v[22:25], v16 offset0:96 offset1:112
	v_fmac_f32_e32 v30, v35, v18
	v_fmac_f32_e32 v29, v33, v48
	v_add_f32_e32 v28, v54, v28
	v_add_f32_e32 v3, v3, v31
	v_fma_f32 v31, v34, v20, -v32
	v_add_f32_e32 v26, v26, v30
	v_mul_f32_e32 v30, v51, v19
	v_mul_f32_e32 v19, v50, v19
	v_add_f32_e32 v11, v11, v29
	v_add_f32_e32 v27, v27, v31
	v_mul_f32_e32 v31, v51, v21
	v_mul_f32_e32 v29, v34, v21
	v_fma_f32 v30, v50, v18, -v30
	v_fmac_f32_e32 v19, v51, v18
	v_mul_f32_e32 v32, v50, v21
	v_fma_f32 v18, v50, v20, -v31
	v_fmac_f32_e32 v29, v35, v20
	v_add_f32_e32 v12, v12, v30
	v_add_f32_e32 v15, v15, v19
	v_fmac_f32_e32 v32, v51, v20
	v_add_f32_e32 v10, v10, v18
	ds_read2_b64 v[18:21], v16 offset0:128 offset1:144
	v_add_f32_e32 v33, v28, v29
	s_waitcnt lgkmcnt(1)
	v_mul_f32_e32 v28, v37, v23
	v_mul_f32_e32 v29, v36, v23
	;; [unrolled: 1-line block ×4, first 2 shown]
	v_add_f32_e32 v11, v11, v32
	v_fma_f32 v28, v36, v22, -v28
	v_fmac_f32_e32 v29, v37, v22
	v_fma_f32 v30, v36, v24, -v30
	v_fmac_f32_e32 v31, v37, v24
	v_mul_f32_e32 v32, v53, v25
	v_add_f32_e32 v3, v3, v28
	v_mul_f32_e32 v28, v53, v23
	v_mul_f32_e32 v23, v52, v23
	v_add_f32_e32 v34, v26, v29
	v_add_f32_e32 v35, v27, v30
	;; [unrolled: 1-line block ×3, first 2 shown]
	v_fma_f32 v30, v52, v22, -v28
	ds_read_b128 v[26:29], v17 offset:1056
	v_fmac_f32_e32 v23, v53, v22
	v_mul_f32_e32 v31, v52, v25
	v_fma_f32 v22, v52, v24, -v32
	s_waitcnt lgkmcnt(1)
	v_mul_f32_e32 v25, v39, v19
	v_add_f32_e32 v12, v12, v30
	v_add_f32_e32 v15, v15, v23
	v_fmac_f32_e32 v31, v53, v24
	v_add_f32_e32 v10, v10, v22
	v_fma_f32 v30, v38, v18, -v25
	ds_read2_b64 v[22:25], v16 offset0:160 offset1:176
	v_mul_f32_e32 v32, v39, v21
	v_mul_f32_e32 v37, v38, v19
	v_mul_f32_e32 v46, v38, v21
	v_add_f32_e32 v11, v11, v31
	v_add_f32_e32 v3, v3, v30
	v_fma_f32 v38, v38, v20, -v32
	v_fmac_f32_e32 v37, v39, v18
	ds_read_b128 v[30:33], v17 offset:1072
	v_fmac_f32_e32 v46, v39, v20
	s_waitcnt lgkmcnt(2)
	v_mul_f32_e32 v47, v27, v19
	v_mul_f32_e32 v19, v26, v19
	v_add_f32_e32 v35, v35, v38
	v_mul_f32_e32 v38, v27, v21
	v_add_f32_e32 v34, v34, v37
	v_fma_f32 v37, v26, v18, -v47
	v_fmac_f32_e32 v19, v27, v18
	v_mul_f32_e32 v39, v26, v21
	v_fma_f32 v18, v26, v20, -v38
	v_add_f32_e32 v36, v36, v46
	s_waitcnt lgkmcnt(1)
	v_mul_f32_e32 v21, v41, v23
	v_add_f32_e32 v12, v12, v37
	v_add_f32_e32 v15, v15, v19
	v_fmac_f32_e32 v39, v27, v20
	v_mul_f32_e32 v26, v40, v23
	v_add_f32_e32 v10, v10, v18
	v_fma_f32 v27, v40, v22, -v21
	ds_read2_b64 v[18:21], v16 offset0:192 offset1:208
	v_mul_f32_e32 v37, v41, v25
	v_fmac_f32_e32 v26, v41, v22
	v_add_f32_e32 v11, v11, v39
	v_add_f32_e32 v3, v3, v27
	v_mul_f32_e32 v27, v40, v25
	v_fma_f32 v37, v40, v24, -v37
	v_add_f32_e32 v26, v34, v26
	v_mul_f32_e32 v34, v29, v23
	v_mul_f32_e32 v23, v28, v23
	v_fmac_f32_e32 v27, v41, v24
	v_add_f32_e32 v35, v35, v37
	v_mul_f32_e32 v37, v29, v25
	v_fma_f32 v34, v28, v22, -v34
	v_fmac_f32_e32 v23, v29, v22
	v_add_f32_e32 v27, v36, v27
	v_mul_f32_e32 v36, v28, v25
	v_fma_f32 v22, v28, v24, -v37
	v_add_f32_e32 v12, v12, v34
	v_add_f32_e32 v15, v15, v23
	s_waitcnt lgkmcnt(0)
	v_mul_f32_e32 v28, v43, v19
	v_fmac_f32_e32 v36, v29, v24
	v_add_f32_e32 v10, v10, v22
	ds_read2_b64 v[22:25], v16 offset0:224 offset1:240
	v_mul_f32_e32 v29, v42, v19
	v_fma_f32 v28, v42, v18, -v28
	v_mul_f32_e32 v34, v43, v21
	v_add_f32_e32 v11, v11, v36
	v_mul_f32_e32 v36, v42, v21
	v_fmac_f32_e32 v29, v43, v18
	v_add_f32_e32 v3, v3, v28
	v_mul_f32_e32 v28, v31, v19
	v_fma_f32 v34, v42, v20, -v34
	v_mul_f32_e32 v19, v30, v19
	v_add_f32_e32 v26, v26, v29
	v_fmac_f32_e32 v36, v43, v20
	v_fma_f32 v28, v30, v18, -v28
	v_add_f32_e32 v29, v35, v34
	v_mul_f32_e32 v34, v31, v21
	v_fmac_f32_e32 v19, v31, v18
	v_mul_f32_e32 v18, v30, v21
	v_add_f32_e32 v12, v12, v28
	v_add_f32_e32 v27, v27, v36
	v_fma_f32 v21, v30, v20, -v34
	s_waitcnt lgkmcnt(0)
	v_mul_f32_e32 v28, v45, v23
	v_mul_f32_e32 v30, v44, v23
	v_add_f32_e32 v15, v15, v19
	v_fmac_f32_e32 v18, v31, v20
	v_add_f32_e32 v10, v10, v21
	v_fma_f32 v19, v44, v22, -v28
	v_fmac_f32_e32 v30, v45, v22
	v_mul_f32_e32 v28, v45, v25
	v_mul_f32_e32 v31, v44, v25
	v_add_f32_e32 v11, v11, v18
	v_add_f32_e32 v20, v3, v19
	;; [unrolled: 1-line block ×3, first 2 shown]
	v_fma_f32 v3, v44, v24, -v28
	v_mul_f32_e32 v19, v33, v23
	v_mul_f32_e32 v23, v32, v23
	v_mul_f32_e32 v26, v33, v25
	v_mul_f32_e32 v25, v32, v25
	v_fmac_f32_e32 v31, v45, v24
	v_add_f32_e32 v18, v29, v3
	v_fma_f32 v3, v32, v22, -v19
	v_fmac_f32_e32 v23, v33, v22
	v_fma_f32 v22, v32, v24, -v26
	v_fmac_f32_e32 v25, v33, v24
	v_add_f32_e32 v19, v27, v31
	v_add_f32_e32 v12, v12, v3
	;; [unrolled: 1-line block ×5, first 2 shown]
	s_barrier
	buffer_gl0_inv
	s_cbranch_vccz .LBB246_11
.LBB246_3:                              ; =>This Inner Loop Header: Depth=1
	v_add_co_u32 v22, s4, v9, s2
	v_add_co_ci_u32_e64 v23, null, 0, s3, s4
	v_cmp_le_i64_e32 vcc_lo, s[16:17], v[22:23]
	s_or_b32 s4, s1, vcc_lo
	s_and_saveexec_b32 s5, s4
	s_xor_b32 s4, exec_lo, s5
; %bb.4:                                ;   in Loop: Header=BB246_3 Depth=1
	ds_write_b32 v13, v2
; %bb.5:                                ;   in Loop: Header=BB246_3 Depth=1
	s_or_saveexec_b32 s4, s4
	v_mov_b32_e32 v3, 0
	s_xor_b32 exec_lo, exec_lo, s4
	s_cbranch_execz .LBB246_7
; %bb.6:                                ;   in Loop: Header=BB246_3 Depth=1
	flat_load_dwordx2 v[22:23], v[6:7]
	s_waitcnt vmcnt(0) lgkmcnt(0)
	v_xor_b32_e32 v3, 0x80000000, v23
	ds_write_b32 v13, v22
.LBB246_7:                              ;   in Loop: Header=BB246_3 Depth=1
	s_or_b32 exec_lo, exec_lo, s4
	v_add_co_u32 v22, s4, v8, s2
	v_add_co_ci_u32_e64 v23, null, 0, s3, s4
	ds_write_b32 v13, v3 offset:4
	v_cmp_le_i64_e32 vcc_lo, s[16:17], v[22:23]
	s_or_b32 s4, vcc_lo, s0
	s_and_saveexec_b32 s5, s4
	s_xor_b32 s4, exec_lo, s5
; %bb.8:                                ;   in Loop: Header=BB246_3 Depth=1
	v_mov_b32_e32 v3, v2
	ds_write_b64 v14, v[2:3]
; %bb.9:                                ;   in Loop: Header=BB246_3 Depth=1
	s_andn2_saveexec_b32 s4, s4
	s_cbranch_execz .LBB246_2
; %bb.10:                               ;   in Loop: Header=BB246_3 Depth=1
	flat_load_dwordx2 v[22:23], v[4:5]
	s_waitcnt vmcnt(0) lgkmcnt(0)
	ds_write_b64 v14, v[22:23]
	s_branch .LBB246_2
.LBB246_11:
	v_add_co_u32 v1, s2, s36, v1
	v_add_co_ci_u32_e64 v2, null, s37, 0, s2
	s_lshl_b64 s[0:1], s[30:31], 3
	s_waitcnt lgkmcnt(0)
	s_add_u32 s3, s34, s0
	s_addc_u32 s4, s35, s1
	s_or_b32 s1, s8, s9
	v_cmp_gt_i64_e64 s0, s[14:15], v[1:2]
	s_bitset0_b32 s1, 31
	s_cmp_lg_u32 s1, 0
	s_mov_b32 s1, -1
	s_cbranch_scc1 .LBB246_23
; %bb.12:
	s_and_saveexec_b32 s5, s0
	s_cbranch_execz .LBB246_22
; %bb.13:
	v_mul_lo_u32 v5, v2, s28
	v_mul_lo_u32 v6, v1, s29
	v_mad_u64_u32 v[3:4], null, v1, s28, 0
	v_add3_u32 v4, v4, v6, v5
	v_add_co_u32 v5, s1, s6, v0
	v_add_co_ci_u32_e64 v6, null, s7, 0, s1
	v_lshlrev_b64 v[7:8], 3, v[3:4]
	v_cmp_gt_i64_e32 vcc_lo, s[12:13], v[5:6]
	v_lshlrev_b64 v[3:4], 3, v[5:6]
	v_add_co_u32 v7, s1, s3, v7
	v_add_co_ci_u32_e64 v8, null, s4, v8, s1
	s_and_saveexec_b32 s2, vcc_lo
	s_cbranch_execz .LBB246_15
; %bb.14:
	v_mul_f32_e32 v9, s19, v21
	v_mul_f32_e32 v14, s18, v21
	v_add_co_u32 v16, s1, v7, v3
	v_add_co_ci_u32_e64 v17, null, v8, v4, s1
	v_fma_f32 v13, v20, s18, -v9
	v_fmac_f32_e32 v14, s19, v20
	flat_store_dwordx2 v[16:17], v[13:14]
.LBB246_15:
	s_or_b32 exec_lo, exec_lo, s2
	v_add_co_u32 v5, s1, v5, 16
	v_add_co_ci_u32_e64 v6, null, 0, v6, s1
	v_cmp_gt_i64_e64 s1, s[12:13], v[5:6]
	s_and_saveexec_b32 s16, s1
	s_cbranch_execz .LBB246_17
; %bb.16:
	v_mul_f32_e32 v5, s19, v19
	v_mul_f32_e32 v6, s18, v19
	v_add_co_u32 v13, s2, v7, v3
	v_add_co_ci_u32_e64 v14, null, v8, v4, s2
	v_fma_f32 v5, v18, s18, -v5
	v_fmac_f32_e32 v6, s19, v18
	flat_store_dwordx2 v[13:14], v[5:6] offset:128
.LBB246_17:
	s_or_b32 exec_lo, exec_lo, s16
	v_add_co_u32 v5, s2, v1, 16
	v_add_co_ci_u32_e64 v6, null, 0, v2, s2
	v_cmp_gt_i64_e64 s2, s[14:15], v[5:6]
	s_and_b32 exec_lo, exec_lo, s2
	s_cbranch_execz .LBB246_22
; %bb.18:
	s_lshl_b64 s[16:17], s[28:29], 7
	v_add_co_u32 v5, s2, v7, s16
	v_add_co_ci_u32_e64 v6, null, s17, v8, s2
	v_add_co_u32 v3, s2, v5, v3
	v_add_co_ci_u32_e64 v4, null, v6, v4, s2
	s_and_saveexec_b32 s2, vcc_lo
	s_cbranch_execz .LBB246_20
; %bb.19:
	v_mul_f32_e32 v5, s19, v15
	v_mul_f32_e32 v6, s18, v15
	v_fma_f32 v5, v12, s18, -v5
	v_fmac_f32_e32 v6, s19, v12
	flat_store_dwordx2 v[3:4], v[5:6]
.LBB246_20:
	s_or_b32 exec_lo, exec_lo, s2
	s_and_b32 exec_lo, exec_lo, s1
	s_cbranch_execz .LBB246_22
; %bb.21:
	v_mul_f32_e32 v5, s19, v11
	v_mul_f32_e32 v6, s18, v11
	v_fma_f32 v5, v10, s18, -v5
	v_fmac_f32_e32 v6, s19, v10
	flat_store_dwordx2 v[3:4], v[5:6] offset:128
.LBB246_22:
	s_or_b32 exec_lo, exec_lo, s5
	s_mov_b32 s1, 0
.LBB246_23:
	s_andn2_b32 vcc_lo, exec_lo, s1
	s_cbranch_vccnz .LBB246_34
; %bb.24:
	s_and_saveexec_b32 s1, s0
	s_cbranch_execz .LBB246_34
; %bb.25:
	v_mul_lo_u32 v5, v2, s38
	v_mul_lo_u32 v6, v1, s39
	v_mad_u64_u32 v[3:4], null, v1, s38, 0
	v_mul_lo_u32 v9, v2, s28
	v_mul_lo_u32 v13, v1, s29
	v_mad_u64_u32 v[7:8], null, v1, s28, 0
	s_lshl_b64 s[0:1], s[40:41], 3
	v_add3_u32 v4, v4, v6, v5
	v_add_co_u32 v5, s2, s6, v0
	v_add_co_ci_u32_e64 v6, null, s7, 0, s2
	v_add3_u32 v8, v8, v13, v9
	v_lshlrev_b64 v[3:4], 3, v[3:4]
	s_add_u32 s0, s10, s0
	s_addc_u32 s1, s11, s1
	v_cmp_gt_i64_e32 vcc_lo, s[12:13], v[5:6]
	v_lshlrev_b64 v[8:9], 3, v[7:8]
	v_add_co_u32 v0, s0, s0, v3
	v_add_co_ci_u32_e64 v7, null, s1, v4, s0
	v_add_co_u32 v8, s0, s3, v8
	v_lshlrev_b64 v[3:4], 3, v[5:6]
	v_add_co_ci_u32_e64 v9, null, s4, v9, s0
	s_and_saveexec_b32 s1, vcc_lo
	s_cbranch_execz .LBB246_27
; %bb.26:
	v_add_co_u32 v13, s0, v0, v3
	v_add_co_ci_u32_e64 v14, null, v7, v4, s0
	v_mul_f32_e32 v16, s19, v21
	v_mul_f32_e32 v17, s18, v21
	flat_load_dwordx2 v[13:14], v[13:14]
	v_fma_f32 v16, v20, s18, -v16
	v_fmac_f32_e32 v17, s19, v20
	s_waitcnt vmcnt(0) lgkmcnt(0)
	v_mul_f32_e32 v21, s9, v14
	v_mul_f32_e32 v14, s8, v14
	v_fma_f32 v20, v13, s8, -v21
	v_fmac_f32_e32 v14, s9, v13
	v_add_f32_e32 v13, v16, v20
	v_add_co_u32 v16, s0, v8, v3
	v_add_f32_e32 v14, v17, v14
	v_add_co_ci_u32_e64 v17, null, v9, v4, s0
	flat_store_dwordx2 v[16:17], v[13:14]
.LBB246_27:
	s_or_b32 exec_lo, exec_lo, s1
	v_add_co_u32 v5, s0, v5, 16
	v_add_co_ci_u32_e64 v6, null, 0, v6, s0
	v_cmp_gt_i64_e64 s0, s[12:13], v[5:6]
	s_and_saveexec_b32 s2, s0
	s_cbranch_execz .LBB246_29
; %bb.28:
	v_add_co_u32 v5, s1, v0, v3
	v_add_co_ci_u32_e64 v6, null, v7, v4, s1
	v_mul_f32_e32 v13, s19, v19
	v_mul_f32_e32 v14, s18, v19
	flat_load_dwordx2 v[5:6], v[5:6] offset:128
	v_fma_f32 v13, v18, s18, -v13
	v_fmac_f32_e32 v14, s19, v18
	s_waitcnt vmcnt(0) lgkmcnt(0)
	v_mul_f32_e32 v16, s9, v6
	v_mul_f32_e32 v6, s8, v6
	v_fma_f32 v16, v5, s8, -v16
	v_fmac_f32_e32 v6, s9, v5
	v_add_f32_e32 v5, v13, v16
	v_add_co_u32 v13, s1, v8, v3
	v_add_f32_e32 v6, v14, v6
	v_add_co_ci_u32_e64 v14, null, v9, v4, s1
	flat_store_dwordx2 v[13:14], v[5:6] offset:128
.LBB246_29:
	s_or_b32 exec_lo, exec_lo, s2
	v_add_co_u32 v1, s1, v1, 16
	v_add_co_ci_u32_e64 v2, null, 0, v2, s1
	v_cmp_gt_i64_e64 s1, s[14:15], v[1:2]
	s_and_b32 exec_lo, exec_lo, s1
	s_cbranch_execz .LBB246_34
; %bb.30:
	s_lshl_b64 s[2:3], s[38:39], 7
	v_add_co_u32 v0, s1, v0, s2
	v_add_co_ci_u32_e64 v1, null, s3, v7, s1
	s_lshl_b64 s[2:3], s[28:29], 7
	v_add_co_u32 v2, s1, v8, s2
	v_add_co_ci_u32_e64 v7, null, s3, v9, s1
	v_add_co_u32 v5, s1, v0, v3
	v_add_co_ci_u32_e64 v6, null, v1, v4, s1
	;; [unrolled: 2-line block ×3, first 2 shown]
	s_and_saveexec_b32 s1, vcc_lo
	s_cbranch_execz .LBB246_32
; %bb.31:
	flat_load_dwordx2 v[2:3], v[5:6]
	v_mul_f32_e32 v4, s19, v15
	v_mul_f32_e32 v7, s18, v15
	v_fma_f32 v4, v12, s18, -v4
	v_fmac_f32_e32 v7, s19, v12
	s_waitcnt vmcnt(0) lgkmcnt(0)
	v_mul_f32_e32 v8, s9, v3
	v_mul_f32_e32 v3, s8, v3
	v_fma_f32 v8, v2, s8, -v8
	v_fmac_f32_e32 v3, s9, v2
	v_add_f32_e32 v2, v4, v8
	v_add_f32_e32 v3, v7, v3
	flat_store_dwordx2 v[0:1], v[2:3]
.LBB246_32:
	s_or_b32 exec_lo, exec_lo, s1
	s_and_b32 exec_lo, exec_lo, s0
	s_cbranch_execz .LBB246_34
; %bb.33:
	flat_load_dwordx2 v[2:3], v[5:6] offset:128
	v_mul_f32_e32 v4, s19, v11
	v_mul_f32_e32 v5, s18, v11
	v_fma_f32 v4, v10, s18, -v4
	v_fmac_f32_e32 v5, s19, v10
	s_waitcnt vmcnt(0) lgkmcnt(0)
	v_mul_f32_e32 v6, s9, v3
	v_mul_f32_e32 v3, s8, v3
	v_fma_f32 v6, v2, s8, -v6
	v_fmac_f32_e32 v3, s9, v2
	v_add_f32_e32 v2, v4, v6
	v_add_f32_e32 v3, v5, v3
	flat_store_dwordx2 v[0:1], v[2:3] offset:128
.LBB246_34:
	s_endpgm
	.section	.rodata,"a",@progbits
	.p2align	6, 0x0
	.amdhsa_kernel _ZN12_GLOBAL__N_135rocblas_gemm_batched_general_kernelI19rocblas_complex_numIfELi16ELi16ELi32ELi32ELi8ELi32ELi8ELi8ELi32ELc67ELc78EKPKS2_S5_KPS2_EEvlllT_PT11_llSA_llS8_PT12_llPT13_lli
		.amdhsa_group_segment_fixed_size 4096
		.amdhsa_private_segment_fixed_size 0
		.amdhsa_kernarg_size 140
		.amdhsa_user_sgpr_count 6
		.amdhsa_user_sgpr_private_segment_buffer 1
		.amdhsa_user_sgpr_dispatch_ptr 0
		.amdhsa_user_sgpr_queue_ptr 0
		.amdhsa_user_sgpr_kernarg_segment_ptr 1
		.amdhsa_user_sgpr_dispatch_id 0
		.amdhsa_user_sgpr_flat_scratch_init 0
		.amdhsa_user_sgpr_private_segment_size 0
		.amdhsa_wavefront_size32 1
		.amdhsa_uses_dynamic_stack 0
		.amdhsa_system_sgpr_private_segment_wavefront_offset 0
		.amdhsa_system_sgpr_workgroup_id_x 1
		.amdhsa_system_sgpr_workgroup_id_y 1
		.amdhsa_system_sgpr_workgroup_id_z 1
		.amdhsa_system_sgpr_workgroup_info 0
		.amdhsa_system_vgpr_workitem_id 1
		.amdhsa_next_free_vgpr 59
		.amdhsa_next_free_sgpr 46
		.amdhsa_reserve_vcc 1
		.amdhsa_reserve_flat_scratch 0
		.amdhsa_float_round_mode_32 0
		.amdhsa_float_round_mode_16_64 0
		.amdhsa_float_denorm_mode_32 3
		.amdhsa_float_denorm_mode_16_64 3
		.amdhsa_dx10_clamp 1
		.amdhsa_ieee_mode 1
		.amdhsa_fp16_overflow 0
		.amdhsa_workgroup_processor_mode 1
		.amdhsa_memory_ordered 1
		.amdhsa_forward_progress 1
		.amdhsa_shared_vgpr_count 0
		.amdhsa_exception_fp_ieee_invalid_op 0
		.amdhsa_exception_fp_denorm_src 0
		.amdhsa_exception_fp_ieee_div_zero 0
		.amdhsa_exception_fp_ieee_overflow 0
		.amdhsa_exception_fp_ieee_underflow 0
		.amdhsa_exception_fp_ieee_inexact 0
		.amdhsa_exception_int_div_zero 0
	.end_amdhsa_kernel
	.section	.text._ZN12_GLOBAL__N_135rocblas_gemm_batched_general_kernelI19rocblas_complex_numIfELi16ELi16ELi32ELi32ELi8ELi32ELi8ELi8ELi32ELc67ELc78EKPKS2_S5_KPS2_EEvlllT_PT11_llSA_llS8_PT12_llPT13_lli,"axG",@progbits,_ZN12_GLOBAL__N_135rocblas_gemm_batched_general_kernelI19rocblas_complex_numIfELi16ELi16ELi32ELi32ELi8ELi32ELi8ELi8ELi32ELc67ELc78EKPKS2_S5_KPS2_EEvlllT_PT11_llSA_llS8_PT12_llPT13_lli,comdat
.Lfunc_end246:
	.size	_ZN12_GLOBAL__N_135rocblas_gemm_batched_general_kernelI19rocblas_complex_numIfELi16ELi16ELi32ELi32ELi8ELi32ELi8ELi8ELi32ELc67ELc78EKPKS2_S5_KPS2_EEvlllT_PT11_llSA_llS8_PT12_llPT13_lli, .Lfunc_end246-_ZN12_GLOBAL__N_135rocblas_gemm_batched_general_kernelI19rocblas_complex_numIfELi16ELi16ELi32ELi32ELi8ELi32ELi8ELi8ELi32ELc67ELc78EKPKS2_S5_KPS2_EEvlllT_PT11_llSA_llS8_PT12_llPT13_lli
                                        ; -- End function
	.set _ZN12_GLOBAL__N_135rocblas_gemm_batched_general_kernelI19rocblas_complex_numIfELi16ELi16ELi32ELi32ELi8ELi32ELi8ELi8ELi32ELc67ELc78EKPKS2_S5_KPS2_EEvlllT_PT11_llSA_llS8_PT12_llPT13_lli.num_vgpr, 59
	.set _ZN12_GLOBAL__N_135rocblas_gemm_batched_general_kernelI19rocblas_complex_numIfELi16ELi16ELi32ELi32ELi8ELi32ELi8ELi8ELi32ELc67ELc78EKPKS2_S5_KPS2_EEvlllT_PT11_llSA_llS8_PT12_llPT13_lli.num_agpr, 0
	.set _ZN12_GLOBAL__N_135rocblas_gemm_batched_general_kernelI19rocblas_complex_numIfELi16ELi16ELi32ELi32ELi8ELi32ELi8ELi8ELi32ELc67ELc78EKPKS2_S5_KPS2_EEvlllT_PT11_llSA_llS8_PT12_llPT13_lli.numbered_sgpr, 46
	.set _ZN12_GLOBAL__N_135rocblas_gemm_batched_general_kernelI19rocblas_complex_numIfELi16ELi16ELi32ELi32ELi8ELi32ELi8ELi8ELi32ELc67ELc78EKPKS2_S5_KPS2_EEvlllT_PT11_llSA_llS8_PT12_llPT13_lli.num_named_barrier, 0
	.set _ZN12_GLOBAL__N_135rocblas_gemm_batched_general_kernelI19rocblas_complex_numIfELi16ELi16ELi32ELi32ELi8ELi32ELi8ELi8ELi32ELc67ELc78EKPKS2_S5_KPS2_EEvlllT_PT11_llSA_llS8_PT12_llPT13_lli.private_seg_size, 0
	.set _ZN12_GLOBAL__N_135rocblas_gemm_batched_general_kernelI19rocblas_complex_numIfELi16ELi16ELi32ELi32ELi8ELi32ELi8ELi8ELi32ELc67ELc78EKPKS2_S5_KPS2_EEvlllT_PT11_llSA_llS8_PT12_llPT13_lli.uses_vcc, 1
	.set _ZN12_GLOBAL__N_135rocblas_gemm_batched_general_kernelI19rocblas_complex_numIfELi16ELi16ELi32ELi32ELi8ELi32ELi8ELi8ELi32ELc67ELc78EKPKS2_S5_KPS2_EEvlllT_PT11_llSA_llS8_PT12_llPT13_lli.uses_flat_scratch, 0
	.set _ZN12_GLOBAL__N_135rocblas_gemm_batched_general_kernelI19rocblas_complex_numIfELi16ELi16ELi32ELi32ELi8ELi32ELi8ELi8ELi32ELc67ELc78EKPKS2_S5_KPS2_EEvlllT_PT11_llSA_llS8_PT12_llPT13_lli.has_dyn_sized_stack, 0
	.set _ZN12_GLOBAL__N_135rocblas_gemm_batched_general_kernelI19rocblas_complex_numIfELi16ELi16ELi32ELi32ELi8ELi32ELi8ELi8ELi32ELc67ELc78EKPKS2_S5_KPS2_EEvlllT_PT11_llSA_llS8_PT12_llPT13_lli.has_recursion, 0
	.set _ZN12_GLOBAL__N_135rocblas_gemm_batched_general_kernelI19rocblas_complex_numIfELi16ELi16ELi32ELi32ELi8ELi32ELi8ELi8ELi32ELc67ELc78EKPKS2_S5_KPS2_EEvlllT_PT11_llSA_llS8_PT12_llPT13_lli.has_indirect_call, 0
	.section	.AMDGPU.csdata,"",@progbits
; Kernel info:
; codeLenInByte = 3000
; TotalNumSgprs: 48
; NumVgprs: 59
; ScratchSize: 0
; MemoryBound: 1
; FloatMode: 240
; IeeeMode: 1
; LDSByteSize: 4096 bytes/workgroup (compile time only)
; SGPRBlocks: 0
; VGPRBlocks: 7
; NumSGPRsForWavesPerEU: 48
; NumVGPRsForWavesPerEU: 59
; Occupancy: 16
; WaveLimiterHint : 1
; COMPUTE_PGM_RSRC2:SCRATCH_EN: 0
; COMPUTE_PGM_RSRC2:USER_SGPR: 6
; COMPUTE_PGM_RSRC2:TRAP_HANDLER: 0
; COMPUTE_PGM_RSRC2:TGID_X_EN: 1
; COMPUTE_PGM_RSRC2:TGID_Y_EN: 1
; COMPUTE_PGM_RSRC2:TGID_Z_EN: 1
; COMPUTE_PGM_RSRC2:TIDIG_COMP_CNT: 1
	.section	.text._ZN12_GLOBAL__N_135rocblas_gemm_batched_general_kernelI19rocblas_complex_numIfELi16ELi16ELi32ELi32ELi8ELi32ELi8ELi8ELi32ELc67ELc84EKPKS2_S5_KPS2_EEvlllT_PT11_llSA_llS8_PT12_llPT13_lli,"axG",@progbits,_ZN12_GLOBAL__N_135rocblas_gemm_batched_general_kernelI19rocblas_complex_numIfELi16ELi16ELi32ELi32ELi8ELi32ELi8ELi8ELi32ELc67ELc84EKPKS2_S5_KPS2_EEvlllT_PT11_llSA_llS8_PT12_llPT13_lli,comdat
	.globl	_ZN12_GLOBAL__N_135rocblas_gemm_batched_general_kernelI19rocblas_complex_numIfELi16ELi16ELi32ELi32ELi8ELi32ELi8ELi8ELi32ELc67ELc84EKPKS2_S5_KPS2_EEvlllT_PT11_llSA_llS8_PT12_llPT13_lli ; -- Begin function _ZN12_GLOBAL__N_135rocblas_gemm_batched_general_kernelI19rocblas_complex_numIfELi16ELi16ELi32ELi32ELi8ELi32ELi8ELi8ELi32ELc67ELc84EKPKS2_S5_KPS2_EEvlllT_PT11_llSA_llS8_PT12_llPT13_lli
	.p2align	8
	.type	_ZN12_GLOBAL__N_135rocblas_gemm_batched_general_kernelI19rocblas_complex_numIfELi16ELi16ELi32ELi32ELi8ELi32ELi8ELi8ELi32ELc67ELc84EKPKS2_S5_KPS2_EEvlllT_PT11_llSA_llS8_PT12_llPT13_lli,@function
_ZN12_GLOBAL__N_135rocblas_gemm_batched_general_kernelI19rocblas_complex_numIfELi16ELi16ELi32ELi32ELi8ELi32ELi8ELi8ELi32ELc67ELc84EKPKS2_S5_KPS2_EEvlllT_PT11_llSA_llS8_PT12_llPT13_lli: ; @_ZN12_GLOBAL__N_135rocblas_gemm_batched_general_kernelI19rocblas_complex_numIfELi16ELi16ELi32ELi32ELi8ELi32ELi8ELi8ELi32ELc67ELc84EKPKS2_S5_KPS2_EEvlllT_PT11_llSA_llS8_PT12_llPT13_lli
; %bb.0:
	s_clause 0x1
	s_load_dwordx8 s[36:43], s[4:5], 0x58
	s_load_dwordx16 s[12:27], s[4:5], 0x0
	s_mov_b32 s9, 0
	s_load_dwordx4 s[28:31], s[4:5], 0x78
	s_lshl_b64 s[44:45], s[8:9], 3
	s_load_dwordx2 s[8:9], s[4:5], 0x50
	s_mov_b32 s0, s7
	v_mov_b32_e32 v20, 0
	v_mov_b32_e32 v21, 0
	;; [unrolled: 1-line block ×8, first 2 shown]
	s_waitcnt lgkmcnt(0)
	s_add_u32 s2, s36, s44
	s_addc_u32 s3, s37, s45
	s_add_u32 s34, s42, s44
	s_addc_u32 s35, s43, s45
	s_load_dwordx2 s[10:11], s[2:3], 0x0
	s_load_dwordx2 s[2:3], s[34:35], 0x0
	v_cmp_lt_i64_e64 s33, s[16:17], 1
	s_ashr_i32 s7, s6, 31
	s_ashr_i32 s1, s0, 31
	s_lshl_b64 s[34:35], s[6:7], 5
	s_lshl_b64 s[36:37], s[0:1], 5
	s_and_b32 vcc_lo, exec_lo, s33
	s_cbranch_vccnz .LBB247_11
; %bb.1:
	s_load_dwordx4 s[4:7], s[4:5], 0x40
	v_and_b32_e32 v8, 7, v0
	v_lshl_add_u32 v3, v1, 4, v0
	s_add_u32 s26, s26, s44
	s_addc_u32 s27, s27, s45
	s_add_u32 s20, s20, s44
	s_addc_u32 s21, s21, s45
	v_lshrrev_b32_e32 v14, 3, v3
	v_and_b32_e32 v15, 31, v3
	s_lshl_b64 s[42:43], s[0:1], 8
	v_mov_b32_e32 v4, s35
	v_lshrrev_b32_e32 v13, 5, v3
	v_add_co_u32 v11, s0, v14, s36
	v_add_co_ci_u32_e64 v12, null, 0, s37, s0
	v_and_b32_e32 v17, 0x1ff8, v3
	v_or_b32_e32 v3, s34, v15
	s_load_dwordx2 s[26:27], s[26:27], 0x0
	s_load_dwordx2 s[20:21], s[20:21], 0x0
	s_waitcnt lgkmcnt(0)
	v_mad_u64_u32 v[5:6], null, s4, v8, 0
	v_cmp_gt_i64_e32 vcc_lo, s[12:13], v[3:4]
	s_lshl_b64 s[6:7], s[6:7], 3
	v_lshlrev_b32_e32 v16, 3, v8
	s_add_u32 s1, s6, s42
	s_addc_u32 s6, s7, s43
	v_mov_b32_e32 v2, 0
	v_mad_u64_u32 v[6:7], null, s5, v8, v[6:7]
	v_add_co_u32 v7, s0, s34, v15
	v_add_co_ci_u32_e64 v18, null, s35, 0, s0
	v_cmp_gt_i64_e64 s0, s[14:15], v[11:12]
	v_mul_lo_u32 v19, s23, v7
	v_mad_u64_u32 v[3:4], null, s22, v7, 0
	v_mul_lo_u32 v18, s22, v18
	v_lshlrev_b64 v[5:6], 3, v[5:6]
	v_lshlrev_b32_e32 v11, 3, v13
	v_lshlrev_b32_e32 v15, 3, v15
	v_lshl_or_b32 v14, v14, 6, v16
	v_lshlrev_b32_e32 v9, 3, v0
	v_lshl_add_u32 v10, v1, 6, 0x800
	v_add_co_u32 v5, s1, s1, v5
	v_add3_u32 v4, v4, v18, v19
	v_add_co_ci_u32_e64 v6, null, s6, v6, s1
	v_add_co_u32 v5, s1, v5, v17
	v_lshlrev_b64 v[3:4], 3, v[3:4]
	s_lshl_b64 s[6:7], s[24:25], 3
	v_add_co_ci_u32_e64 v6, null, 0, v6, s1
	v_lshl_or_b32 v15, v13, 8, v15
	v_add_nc_u32_e32 v16, 0x800, v14
	v_add_co_u32 v3, s1, v3, s6
	v_add_co_ci_u32_e64 v7, null, s7, v4, s1
	v_add_co_u32 v4, s1, s26, v5
	v_add_co_ci_u32_e64 v5, null, s27, v6, s1
	;; [unrolled: 2-line block ×3, first 2 shown]
	v_mov_b32_e32 v12, 0
	v_add_co_u32 v6, s1, s20, v3
	v_add_co_ci_u32_e64 v7, null, s21, v7, s1
	v_mov_b32_e32 v11, 0
	v_mov_b32_e32 v17, 0
	;; [unrolled: 1-line block ×7, first 2 shown]
	s_lshl_b64 s[4:5], s[4:5], 6
	s_mov_b64 s[6:7], 0
	s_xor_b32 s1, vcc_lo, -1
	s_xor_b32 s0, s0, -1
	s_branch .LBB247_3
.LBB247_2:                              ;   in Loop: Header=BB247_3 Depth=1
	s_or_b32 exec_lo, exec_lo, s20
	s_waitcnt lgkmcnt(0)
	s_barrier
	buffer_gl0_inv
	ds_read_b128 v[22:25], v10
	ds_read2_b64 v[26:29], v9 offset1:16
	ds_read_b128 v[30:33], v10 offset:1024
	ds_read_b128 v[34:37], v10 offset:16
	;; [unrolled: 1-line block ×4, first 2 shown]
	ds_read2_b64 v[46:49], v9 offset0:32 offset1:48
	ds_read_b128 v[50:53], v10 offset:1040
	s_add_u32 s6, s6, 8
	s_addc_u32 s7, s7, 0
	v_add_co_u32 v4, vcc_lo, v4, s4
	v_cmp_lt_i64_e64 s20, s[6:7], s[16:17]
	v_add_co_ci_u32_e64 v5, null, s5, v5, vcc_lo
	v_add_co_u32 v6, vcc_lo, v6, 64
	v_add_co_ci_u32_e64 v7, null, 0, v7, vcc_lo
	s_and_b32 vcc_lo, exec_lo, s20
	s_waitcnt lgkmcnt(6)
	v_mul_f32_e32 v3, v23, v27
	v_mul_f32_e32 v54, v22, v27
	;; [unrolled: 1-line block ×4, first 2 shown]
	s_waitcnt lgkmcnt(5)
	v_mul_f32_e32 v57, v31, v27
	v_mul_f32_e32 v27, v30, v27
	;; [unrolled: 1-line block ×3, first 2 shown]
	v_fma_f32 v3, v22, v26, -v3
	v_fmac_f32_e32 v54, v23, v26
	v_fma_f32 v22, v22, v28, -v55
	v_fmac_f32_e32 v56, v23, v28
	;; [unrolled: 2-line block ×3, first 2 shown]
	v_mul_f32_e32 v29, v30, v29
	v_fma_f32 v26, v30, v28, -v58
	v_add_f32_e32 v3, v20, v3
	v_add_f32_e32 v22, v18, v22
	;; [unrolled: 1-line block ×5, first 2 shown]
	s_waitcnt lgkmcnt(1)
	v_mul_f32_e32 v27, v25, v47
	ds_read2_b64 v[17:20], v9 offset0:64 offset1:80
	v_fmac_f32_e32 v29, v31, v28
	v_mul_f32_e32 v28, v25, v49
	v_add_f32_e32 v11, v11, v26
	v_fma_f32 v27, v24, v46, -v27
	v_mul_f32_e32 v26, v24, v47
	v_add_f32_e32 v12, v12, v29
	v_mul_f32_e32 v29, v24, v49
	v_fma_f32 v24, v24, v48, -v28
	v_add_f32_e32 v3, v3, v27
	v_mul_f32_e32 v27, v33, v47
	v_add_f32_e32 v21, v21, v54
	v_fmac_f32_e32 v26, v25, v46
	v_fmac_f32_e32 v29, v25, v48
	v_add_f32_e32 v25, v22, v24
	v_fma_f32 v22, v32, v46, -v27
	v_mul_f32_e32 v24, v33, v49
	v_add_f32_e32 v26, v21, v26
	v_mul_f32_e32 v21, v32, v47
	v_add_f32_e32 v27, v30, v29
	v_add_f32_e32 v14, v14, v22
	v_fma_f32 v22, v32, v48, -v24
	s_waitcnt lgkmcnt(0)
	v_mul_f32_e32 v24, v35, v18
	v_fmac_f32_e32 v21, v33, v46
	v_mul_f32_e32 v28, v32, v49
	v_mul_f32_e32 v30, v34, v18
	v_mul_f32_e32 v32, v35, v20
	v_fma_f32 v31, v34, v17, -v24
	v_add_f32_e32 v29, v23, v21
	v_add_f32_e32 v11, v11, v22
	ds_read2_b64 v[21:24], v9 offset0:96 offset1:112
	v_fmac_f32_e32 v30, v35, v17
	v_add_f32_e32 v3, v3, v31
	v_fma_f32 v31, v34, v19, -v32
	v_fmac_f32_e32 v28, v33, v48
	v_mul_f32_e32 v32, v50, v20
	v_add_f32_e32 v26, v26, v30
	v_mul_f32_e32 v30, v51, v18
	v_mul_f32_e32 v18, v50, v18
	v_add_f32_e32 v25, v25, v31
	v_mul_f32_e32 v31, v51, v20
	v_add_f32_e32 v12, v12, v28
	v_mul_f32_e32 v28, v34, v20
	v_fma_f32 v30, v50, v17, -v30
	v_fmac_f32_e32 v18, v51, v17
	v_fma_f32 v17, v50, v19, -v31
	v_fmac_f32_e32 v32, v51, v19
	v_fmac_f32_e32 v28, v35, v19
	v_add_f32_e32 v14, v14, v30
	v_add_f32_e32 v29, v29, v18
	;; [unrolled: 1-line block ×3, first 2 shown]
	ds_read2_b64 v[17:20], v9 offset0:128 offset1:144
	v_add_f32_e32 v33, v27, v28
	s_waitcnt lgkmcnt(1)
	v_mul_f32_e32 v27, v37, v22
	v_mul_f32_e32 v28, v36, v22
	;; [unrolled: 1-line block ×4, first 2 shown]
	v_add_f32_e32 v12, v12, v32
	v_fma_f32 v27, v36, v21, -v27
	v_fmac_f32_e32 v28, v37, v21
	v_fma_f32 v30, v36, v23, -v30
	v_fmac_f32_e32 v31, v37, v23
	v_mul_f32_e32 v32, v53, v24
	v_add_f32_e32 v3, v3, v27
	v_mul_f32_e32 v27, v53, v22
	v_mul_f32_e32 v22, v52, v22
	v_add_f32_e32 v34, v26, v28
	v_add_f32_e32 v35, v25, v30
	;; [unrolled: 1-line block ×3, first 2 shown]
	v_fma_f32 v30, v52, v21, -v27
	ds_read_b128 v[25:28], v10 offset:1056
	v_fmac_f32_e32 v22, v53, v21
	v_mul_f32_e32 v31, v52, v24
	v_fma_f32 v21, v52, v23, -v32
	s_waitcnt lgkmcnt(1)
	v_mul_f32_e32 v24, v39, v18
	v_add_f32_e32 v14, v14, v30
	v_add_f32_e32 v36, v29, v22
	v_fmac_f32_e32 v31, v53, v23
	v_add_f32_e32 v11, v11, v21
	v_fma_f32 v29, v38, v17, -v24
	ds_read2_b64 v[21:24], v9 offset0:160 offset1:176
	v_mul_f32_e32 v37, v38, v18
	v_mul_f32_e32 v30, v39, v20
	v_add_f32_e32 v12, v12, v31
	v_add_f32_e32 v3, v3, v29
	v_mul_f32_e32 v46, v38, v20
	v_fmac_f32_e32 v37, v39, v17
	v_fma_f32 v38, v38, v19, -v30
	ds_read_b128 v[29:32], v10 offset:1072
	s_waitcnt lgkmcnt(2)
	v_mul_f32_e32 v47, v26, v18
	v_mul_f32_e32 v18, v25, v18
	v_add_f32_e32 v34, v34, v37
	v_fmac_f32_e32 v46, v39, v19
	v_add_f32_e32 v35, v35, v38
	v_fma_f32 v37, v25, v17, -v47
	v_mul_f32_e32 v38, v26, v20
	v_fmac_f32_e32 v18, v26, v17
	v_mul_f32_e32 v39, v25, v20
	v_add_f32_e32 v33, v33, v46
	s_waitcnt lgkmcnt(1)
	v_mul_f32_e32 v20, v41, v22
	v_add_f32_e32 v14, v14, v37
	v_fma_f32 v17, v25, v19, -v38
	v_add_f32_e32 v25, v36, v18
	v_fmac_f32_e32 v39, v26, v19
	v_mul_f32_e32 v26, v40, v22
	v_fma_f32 v36, v40, v21, -v20
	v_mul_f32_e32 v37, v41, v24
	v_add_f32_e32 v11, v11, v17
	ds_read2_b64 v[17:20], v9 offset0:192 offset1:208
	v_fmac_f32_e32 v26, v41, v21
	v_add_f32_e32 v3, v3, v36
	v_mul_f32_e32 v36, v40, v24
	v_fma_f32 v37, v40, v23, -v37
	v_add_f32_e32 v12, v12, v39
	v_add_f32_e32 v26, v34, v26
	v_mul_f32_e32 v34, v28, v22
	v_mul_f32_e32 v22, v27, v22
	v_fmac_f32_e32 v36, v41, v23
	v_add_f32_e32 v35, v35, v37
	v_mul_f32_e32 v37, v28, v24
	v_fma_f32 v34, v27, v21, -v34
	v_fmac_f32_e32 v22, v28, v21
	v_add_f32_e32 v21, v33, v36
	v_mul_f32_e32 v33, v27, v24
	v_fma_f32 v24, v27, v23, -v37
	v_add_f32_e32 v14, v14, v34
	v_add_f32_e32 v27, v25, v22
	v_fmac_f32_e32 v33, v28, v23
	v_add_f32_e32 v11, v11, v24
	ds_read2_b64 v[22:25], v9 offset0:224 offset1:240
	s_waitcnt lgkmcnt(1)
	v_mul_f32_e32 v34, v43, v18
	v_mul_f32_e32 v28, v42, v18
	v_add_f32_e32 v12, v12, v33
	v_mul_f32_e32 v33, v43, v20
	v_mul_f32_e32 v36, v42, v20
	v_fma_f32 v34, v42, v17, -v34
	v_fmac_f32_e32 v28, v43, v17
	s_waitcnt lgkmcnt(0)
	v_fma_f32 v33, v42, v19, -v33
	v_fmac_f32_e32 v36, v43, v19
	v_add_f32_e32 v3, v3, v34
	v_mul_f32_e32 v34, v30, v18
	v_mul_f32_e32 v18, v29, v18
	v_add_f32_e32 v26, v26, v28
	v_add_f32_e32 v33, v35, v33
	;; [unrolled: 1-line block ×3, first 2 shown]
	v_fma_f32 v28, v29, v17, -v34
	v_mul_f32_e32 v34, v30, v20
	v_fmac_f32_e32 v18, v30, v17
	v_mul_f32_e32 v17, v29, v20
	v_mul_f32_e32 v21, v45, v23
	v_add_f32_e32 v14, v14, v28
	v_fma_f32 v20, v29, v19, -v34
	v_add_f32_e32 v27, v27, v18
	v_fmac_f32_e32 v17, v30, v19
	v_fma_f32 v18, v44, v22, -v21
	v_mul_f32_e32 v19, v45, v25
	v_mul_f32_e32 v28, v44, v23
	v_add_f32_e32 v11, v11, v20
	v_mul_f32_e32 v29, v44, v25
	v_add_f32_e32 v12, v12, v17
	v_add_f32_e32 v20, v3, v18
	v_fma_f32 v3, v44, v24, -v19
	v_mul_f32_e32 v17, v32, v23
	v_mul_f32_e32 v23, v31, v23
	;; [unrolled: 1-line block ×4, first 2 shown]
	v_fmac_f32_e32 v28, v45, v22
	v_fmac_f32_e32 v29, v45, v24
	v_add_f32_e32 v18, v33, v3
	v_fma_f32 v3, v31, v22, -v17
	v_fmac_f32_e32 v23, v32, v22
	v_fma_f32 v22, v31, v24, -v19
	v_fmac_f32_e32 v25, v32, v24
	v_add_f32_e32 v21, v26, v28
	v_add_f32_e32 v19, v35, v29
	;; [unrolled: 1-line block ×6, first 2 shown]
	s_barrier
	buffer_gl0_inv
	s_cbranch_vccz .LBB247_11
.LBB247_3:                              ; =>This Inner Loop Header: Depth=1
	v_add_co_u32 v22, s20, v13, s6
	v_add_co_ci_u32_e64 v23, null, 0, s7, s20
	v_cmp_le_i64_e32 vcc_lo, s[16:17], v[22:23]
	s_or_b32 s20, s1, vcc_lo
	s_and_saveexec_b32 s21, s20
	s_xor_b32 s20, exec_lo, s21
; %bb.4:                                ;   in Loop: Header=BB247_3 Depth=1
	ds_write_b32 v15, v2
; %bb.5:                                ;   in Loop: Header=BB247_3 Depth=1
	s_or_saveexec_b32 s20, s20
	v_mov_b32_e32 v3, 0
	s_xor_b32 exec_lo, exec_lo, s20
	s_cbranch_execz .LBB247_7
; %bb.6:                                ;   in Loop: Header=BB247_3 Depth=1
	flat_load_dwordx2 v[22:23], v[6:7]
	s_waitcnt vmcnt(0) lgkmcnt(0)
	v_xor_b32_e32 v3, 0x80000000, v23
	ds_write_b32 v15, v22
.LBB247_7:                              ;   in Loop: Header=BB247_3 Depth=1
	s_or_b32 exec_lo, exec_lo, s20
	v_add_co_u32 v22, s20, v8, s6
	v_add_co_ci_u32_e64 v23, null, 0, s7, s20
	ds_write_b32 v15, v3 offset:4
	v_cmp_le_i64_e32 vcc_lo, s[16:17], v[22:23]
	s_or_b32 s20, vcc_lo, s0
	s_and_saveexec_b32 s21, s20
	s_xor_b32 s20, exec_lo, s21
; %bb.8:                                ;   in Loop: Header=BB247_3 Depth=1
	v_mov_b32_e32 v3, v2
	ds_write_b64 v16, v[2:3]
; %bb.9:                                ;   in Loop: Header=BB247_3 Depth=1
	s_andn2_saveexec_b32 s20, s20
	s_cbranch_execz .LBB247_2
; %bb.10:                               ;   in Loop: Header=BB247_3 Depth=1
	flat_load_dwordx2 v[22:23], v[4:5]
	s_waitcnt vmcnt(0) lgkmcnt(0)
	ds_write_b64 v16, v[22:23]
	s_branch .LBB247_2
.LBB247_11:
	v_add_co_u32 v1, s4, s36, v1
	v_add_co_ci_u32_e64 v2, null, s37, 0, s4
	s_lshl_b64 s[0:1], s[30:31], 3
	s_waitcnt lgkmcnt(0)
	s_add_u32 s4, s2, s0
	s_addc_u32 s3, s3, s1
	s_or_b32 s1, s8, s9
	v_cmp_gt_i64_e64 s0, s[14:15], v[1:2]
	s_bitset0_b32 s1, 31
	s_cmp_lg_u32 s1, 0
	s_mov_b32 s1, -1
	s_cbranch_scc1 .LBB247_23
; %bb.12:
	s_and_saveexec_b32 s5, s0
	s_cbranch_execz .LBB247_22
; %bb.13:
	v_mul_lo_u32 v5, v2, s28
	v_mul_lo_u32 v6, v1, s29
	v_mad_u64_u32 v[3:4], null, v1, s28, 0
	v_add3_u32 v4, v4, v6, v5
	v_add_co_u32 v5, s1, s34, v0
	v_add_co_ci_u32_e64 v6, null, s35, 0, s1
	v_lshlrev_b64 v[7:8], 3, v[3:4]
	v_cmp_gt_i64_e32 vcc_lo, s[12:13], v[5:6]
	v_lshlrev_b64 v[3:4], 3, v[5:6]
	v_add_co_u32 v7, s1, s4, v7
	v_add_co_ci_u32_e64 v8, null, s3, v8, s1
	s_and_saveexec_b32 s2, vcc_lo
	s_cbranch_execz .LBB247_15
; %bb.14:
	v_mul_f32_e32 v9, s19, v21
	v_mul_f32_e32 v10, s18, v21
	v_add_co_u32 v15, s1, v7, v3
	v_add_co_ci_u32_e64 v16, null, v8, v4, s1
	v_fma_f32 v9, v20, s18, -v9
	v_fmac_f32_e32 v10, s19, v20
	flat_store_dwordx2 v[15:16], v[9:10]
.LBB247_15:
	s_or_b32 exec_lo, exec_lo, s2
	v_add_co_u32 v5, s1, v5, 16
	v_add_co_ci_u32_e64 v6, null, 0, v6, s1
	v_cmp_gt_i64_e64 s1, s[12:13], v[5:6]
	s_and_saveexec_b32 s6, s1
	s_cbranch_execz .LBB247_17
; %bb.16:
	v_mul_f32_e32 v5, s19, v19
	v_mul_f32_e32 v6, s18, v19
	v_add_co_u32 v9, s2, v7, v3
	v_add_co_ci_u32_e64 v10, null, v8, v4, s2
	v_fma_f32 v5, v18, s18, -v5
	v_fmac_f32_e32 v6, s19, v18
	flat_store_dwordx2 v[9:10], v[5:6] offset:128
.LBB247_17:
	s_or_b32 exec_lo, exec_lo, s6
	v_add_co_u32 v5, s2, v1, 16
	v_add_co_ci_u32_e64 v6, null, 0, v2, s2
	v_cmp_gt_i64_e64 s2, s[14:15], v[5:6]
	s_and_b32 exec_lo, exec_lo, s2
	s_cbranch_execz .LBB247_22
; %bb.18:
	s_lshl_b64 s[6:7], s[28:29], 7
	v_add_co_u32 v5, s2, v7, s6
	v_add_co_ci_u32_e64 v6, null, s7, v8, s2
	v_add_co_u32 v3, s2, v5, v3
	v_add_co_ci_u32_e64 v4, null, v6, v4, s2
	s_and_saveexec_b32 s2, vcc_lo
	s_cbranch_execz .LBB247_20
; %bb.19:
	v_mul_f32_e32 v5, s19, v17
	v_mul_f32_e32 v6, s18, v17
	v_fma_f32 v5, v14, s18, -v5
	v_fmac_f32_e32 v6, s19, v14
	flat_store_dwordx2 v[3:4], v[5:6]
.LBB247_20:
	s_or_b32 exec_lo, exec_lo, s2
	s_and_b32 exec_lo, exec_lo, s1
	s_cbranch_execz .LBB247_22
; %bb.21:
	v_mul_f32_e32 v5, s19, v12
	v_mul_f32_e32 v6, s18, v12
	v_fma_f32 v5, v11, s18, -v5
	v_fmac_f32_e32 v6, s19, v11
	flat_store_dwordx2 v[3:4], v[5:6] offset:128
.LBB247_22:
	s_or_b32 exec_lo, exec_lo, s5
	s_mov_b32 s1, 0
.LBB247_23:
	s_andn2_b32 vcc_lo, exec_lo, s1
	s_cbranch_vccnz .LBB247_34
; %bb.24:
	s_and_saveexec_b32 s1, s0
	s_cbranch_execz .LBB247_34
; %bb.25:
	v_mul_lo_u32 v5, v2, s38
	v_mul_lo_u32 v6, v1, s39
	v_mad_u64_u32 v[3:4], null, v1, s38, 0
	v_mul_lo_u32 v9, v2, s28
	v_mul_lo_u32 v10, v1, s29
	v_mad_u64_u32 v[7:8], null, v1, s28, 0
	s_lshl_b64 s[0:1], s[40:41], 3
	v_add3_u32 v4, v4, v6, v5
	v_add_co_u32 v5, s2, s34, v0
	v_add_co_ci_u32_e64 v6, null, s35, 0, s2
	v_add3_u32 v8, v8, v10, v9
	v_lshlrev_b64 v[3:4], 3, v[3:4]
	s_add_u32 s0, s10, s0
	s_addc_u32 s1, s11, s1
	v_cmp_gt_i64_e32 vcc_lo, s[12:13], v[5:6]
	v_lshlrev_b64 v[8:9], 3, v[7:8]
	v_add_co_u32 v0, s0, s0, v3
	v_add_co_ci_u32_e64 v7, null, s1, v4, s0
	v_add_co_u32 v8, s0, s4, v8
	v_lshlrev_b64 v[3:4], 3, v[5:6]
	v_add_co_ci_u32_e64 v9, null, s3, v9, s0
	s_and_saveexec_b32 s1, vcc_lo
	s_cbranch_execz .LBB247_27
; %bb.26:
	v_add_co_u32 v15, s0, v0, v3
	v_add_co_ci_u32_e64 v16, null, v7, v4, s0
	v_mul_f32_e32 v10, s19, v21
	v_mul_f32_e32 v13, s18, v21
	flat_load_dwordx2 v[15:16], v[15:16]
	v_fma_f32 v10, v20, s18, -v10
	v_fmac_f32_e32 v13, s19, v20
	s_waitcnt vmcnt(0) lgkmcnt(0)
	v_mul_f32_e32 v21, s9, v16
	v_mul_f32_e32 v16, s8, v16
	v_fma_f32 v20, v15, s8, -v21
	v_fmac_f32_e32 v16, s9, v15
	v_add_f32_e32 v15, v10, v20
	v_add_co_u32 v20, s0, v8, v3
	v_add_f32_e32 v16, v13, v16
	v_add_co_ci_u32_e64 v21, null, v9, v4, s0
	flat_store_dwordx2 v[20:21], v[15:16]
.LBB247_27:
	s_or_b32 exec_lo, exec_lo, s1
	v_add_co_u32 v5, s0, v5, 16
	v_add_co_ci_u32_e64 v6, null, 0, v6, s0
	v_cmp_gt_i64_e64 s0, s[12:13], v[5:6]
	s_and_saveexec_b32 s2, s0
	s_cbranch_execz .LBB247_29
; %bb.28:
	v_add_co_u32 v5, s1, v0, v3
	v_add_co_ci_u32_e64 v6, null, v7, v4, s1
	v_mul_f32_e32 v10, s19, v19
	v_mul_f32_e32 v13, s18, v19
	flat_load_dwordx2 v[5:6], v[5:6] offset:128
	v_fma_f32 v10, v18, s18, -v10
	v_fmac_f32_e32 v13, s19, v18
	s_waitcnt vmcnt(0) lgkmcnt(0)
	v_mul_f32_e32 v15, s9, v6
	v_mul_f32_e32 v6, s8, v6
	v_fma_f32 v15, v5, s8, -v15
	v_fmac_f32_e32 v6, s9, v5
	v_add_f32_e32 v5, v10, v15
	v_add_co_u32 v15, s1, v8, v3
	v_add_f32_e32 v6, v13, v6
	v_add_co_ci_u32_e64 v16, null, v9, v4, s1
	flat_store_dwordx2 v[15:16], v[5:6] offset:128
.LBB247_29:
	s_or_b32 exec_lo, exec_lo, s2
	v_add_co_u32 v1, s1, v1, 16
	v_add_co_ci_u32_e64 v2, null, 0, v2, s1
	v_cmp_gt_i64_e64 s1, s[14:15], v[1:2]
	s_and_b32 exec_lo, exec_lo, s1
	s_cbranch_execz .LBB247_34
; %bb.30:
	s_lshl_b64 s[2:3], s[38:39], 7
	v_add_co_u32 v0, s1, v0, s2
	v_add_co_ci_u32_e64 v1, null, s3, v7, s1
	s_lshl_b64 s[2:3], s[28:29], 7
	v_add_co_u32 v2, s1, v8, s2
	v_add_co_ci_u32_e64 v7, null, s3, v9, s1
	v_add_co_u32 v5, s1, v0, v3
	v_add_co_ci_u32_e64 v6, null, v1, v4, s1
	;; [unrolled: 2-line block ×3, first 2 shown]
	s_and_saveexec_b32 s1, vcc_lo
	s_cbranch_execz .LBB247_32
; %bb.31:
	flat_load_dwordx2 v[2:3], v[5:6]
	v_mul_f32_e32 v4, s19, v17
	v_mul_f32_e32 v7, s18, v17
	v_fma_f32 v4, v14, s18, -v4
	v_fmac_f32_e32 v7, s19, v14
	s_waitcnt vmcnt(0) lgkmcnt(0)
	v_mul_f32_e32 v8, s9, v3
	v_mul_f32_e32 v3, s8, v3
	v_fma_f32 v8, v2, s8, -v8
	v_fmac_f32_e32 v3, s9, v2
	v_add_f32_e32 v2, v4, v8
	v_add_f32_e32 v3, v7, v3
	flat_store_dwordx2 v[0:1], v[2:3]
.LBB247_32:
	s_or_b32 exec_lo, exec_lo, s1
	s_and_b32 exec_lo, exec_lo, s0
	s_cbranch_execz .LBB247_34
; %bb.33:
	flat_load_dwordx2 v[2:3], v[5:6] offset:128
	v_mul_f32_e32 v4, s19, v12
	v_mul_f32_e32 v5, s18, v12
	v_fma_f32 v4, v11, s18, -v4
	v_fmac_f32_e32 v5, s19, v11
	s_waitcnt vmcnt(0) lgkmcnt(0)
	v_mul_f32_e32 v6, s9, v3
	v_mul_f32_e32 v3, s8, v3
	v_fma_f32 v6, v2, s8, -v6
	v_fmac_f32_e32 v3, s9, v2
	v_add_f32_e32 v2, v4, v6
	v_add_f32_e32 v3, v5, v3
	flat_store_dwordx2 v[0:1], v[2:3] offset:128
.LBB247_34:
	s_endpgm
	.section	.rodata,"a",@progbits
	.p2align	6, 0x0
	.amdhsa_kernel _ZN12_GLOBAL__N_135rocblas_gemm_batched_general_kernelI19rocblas_complex_numIfELi16ELi16ELi32ELi32ELi8ELi32ELi8ELi8ELi32ELc67ELc84EKPKS2_S5_KPS2_EEvlllT_PT11_llSA_llS8_PT12_llPT13_lli
		.amdhsa_group_segment_fixed_size 4096
		.amdhsa_private_segment_fixed_size 0
		.amdhsa_kernarg_size 140
		.amdhsa_user_sgpr_count 6
		.amdhsa_user_sgpr_private_segment_buffer 1
		.amdhsa_user_sgpr_dispatch_ptr 0
		.amdhsa_user_sgpr_queue_ptr 0
		.amdhsa_user_sgpr_kernarg_segment_ptr 1
		.amdhsa_user_sgpr_dispatch_id 0
		.amdhsa_user_sgpr_flat_scratch_init 0
		.amdhsa_user_sgpr_private_segment_size 0
		.amdhsa_wavefront_size32 1
		.amdhsa_uses_dynamic_stack 0
		.amdhsa_system_sgpr_private_segment_wavefront_offset 0
		.amdhsa_system_sgpr_workgroup_id_x 1
		.amdhsa_system_sgpr_workgroup_id_y 1
		.amdhsa_system_sgpr_workgroup_id_z 1
		.amdhsa_system_sgpr_workgroup_info 0
		.amdhsa_system_vgpr_workitem_id 1
		.amdhsa_next_free_vgpr 59
		.amdhsa_next_free_sgpr 46
		.amdhsa_reserve_vcc 1
		.amdhsa_reserve_flat_scratch 0
		.amdhsa_float_round_mode_32 0
		.amdhsa_float_round_mode_16_64 0
		.amdhsa_float_denorm_mode_32 3
		.amdhsa_float_denorm_mode_16_64 3
		.amdhsa_dx10_clamp 1
		.amdhsa_ieee_mode 1
		.amdhsa_fp16_overflow 0
		.amdhsa_workgroup_processor_mode 1
		.amdhsa_memory_ordered 1
		.amdhsa_forward_progress 1
		.amdhsa_shared_vgpr_count 0
		.amdhsa_exception_fp_ieee_invalid_op 0
		.amdhsa_exception_fp_denorm_src 0
		.amdhsa_exception_fp_ieee_div_zero 0
		.amdhsa_exception_fp_ieee_overflow 0
		.amdhsa_exception_fp_ieee_underflow 0
		.amdhsa_exception_fp_ieee_inexact 0
		.amdhsa_exception_int_div_zero 0
	.end_amdhsa_kernel
	.section	.text._ZN12_GLOBAL__N_135rocblas_gemm_batched_general_kernelI19rocblas_complex_numIfELi16ELi16ELi32ELi32ELi8ELi32ELi8ELi8ELi32ELc67ELc84EKPKS2_S5_KPS2_EEvlllT_PT11_llSA_llS8_PT12_llPT13_lli,"axG",@progbits,_ZN12_GLOBAL__N_135rocblas_gemm_batched_general_kernelI19rocblas_complex_numIfELi16ELi16ELi32ELi32ELi8ELi32ELi8ELi8ELi32ELc67ELc84EKPKS2_S5_KPS2_EEvlllT_PT11_llSA_llS8_PT12_llPT13_lli,comdat
.Lfunc_end247:
	.size	_ZN12_GLOBAL__N_135rocblas_gemm_batched_general_kernelI19rocblas_complex_numIfELi16ELi16ELi32ELi32ELi8ELi32ELi8ELi8ELi32ELc67ELc84EKPKS2_S5_KPS2_EEvlllT_PT11_llSA_llS8_PT12_llPT13_lli, .Lfunc_end247-_ZN12_GLOBAL__N_135rocblas_gemm_batched_general_kernelI19rocblas_complex_numIfELi16ELi16ELi32ELi32ELi8ELi32ELi8ELi8ELi32ELc67ELc84EKPKS2_S5_KPS2_EEvlllT_PT11_llSA_llS8_PT12_llPT13_lli
                                        ; -- End function
	.set _ZN12_GLOBAL__N_135rocblas_gemm_batched_general_kernelI19rocblas_complex_numIfELi16ELi16ELi32ELi32ELi8ELi32ELi8ELi8ELi32ELc67ELc84EKPKS2_S5_KPS2_EEvlllT_PT11_llSA_llS8_PT12_llPT13_lli.num_vgpr, 59
	.set _ZN12_GLOBAL__N_135rocblas_gemm_batched_general_kernelI19rocblas_complex_numIfELi16ELi16ELi32ELi32ELi8ELi32ELi8ELi8ELi32ELc67ELc84EKPKS2_S5_KPS2_EEvlllT_PT11_llSA_llS8_PT12_llPT13_lli.num_agpr, 0
	.set _ZN12_GLOBAL__N_135rocblas_gemm_batched_general_kernelI19rocblas_complex_numIfELi16ELi16ELi32ELi32ELi8ELi32ELi8ELi8ELi32ELc67ELc84EKPKS2_S5_KPS2_EEvlllT_PT11_llSA_llS8_PT12_llPT13_lli.numbered_sgpr, 46
	.set _ZN12_GLOBAL__N_135rocblas_gemm_batched_general_kernelI19rocblas_complex_numIfELi16ELi16ELi32ELi32ELi8ELi32ELi8ELi8ELi32ELc67ELc84EKPKS2_S5_KPS2_EEvlllT_PT11_llSA_llS8_PT12_llPT13_lli.num_named_barrier, 0
	.set _ZN12_GLOBAL__N_135rocblas_gemm_batched_general_kernelI19rocblas_complex_numIfELi16ELi16ELi32ELi32ELi8ELi32ELi8ELi8ELi32ELc67ELc84EKPKS2_S5_KPS2_EEvlllT_PT11_llSA_llS8_PT12_llPT13_lli.private_seg_size, 0
	.set _ZN12_GLOBAL__N_135rocblas_gemm_batched_general_kernelI19rocblas_complex_numIfELi16ELi16ELi32ELi32ELi8ELi32ELi8ELi8ELi32ELc67ELc84EKPKS2_S5_KPS2_EEvlllT_PT11_llSA_llS8_PT12_llPT13_lli.uses_vcc, 1
	.set _ZN12_GLOBAL__N_135rocblas_gemm_batched_general_kernelI19rocblas_complex_numIfELi16ELi16ELi32ELi32ELi8ELi32ELi8ELi8ELi32ELc67ELc84EKPKS2_S5_KPS2_EEvlllT_PT11_llSA_llS8_PT12_llPT13_lli.uses_flat_scratch, 0
	.set _ZN12_GLOBAL__N_135rocblas_gemm_batched_general_kernelI19rocblas_complex_numIfELi16ELi16ELi32ELi32ELi8ELi32ELi8ELi8ELi32ELc67ELc84EKPKS2_S5_KPS2_EEvlllT_PT11_llSA_llS8_PT12_llPT13_lli.has_dyn_sized_stack, 0
	.set _ZN12_GLOBAL__N_135rocblas_gemm_batched_general_kernelI19rocblas_complex_numIfELi16ELi16ELi32ELi32ELi8ELi32ELi8ELi8ELi32ELc67ELc84EKPKS2_S5_KPS2_EEvlllT_PT11_llSA_llS8_PT12_llPT13_lli.has_recursion, 0
	.set _ZN12_GLOBAL__N_135rocblas_gemm_batched_general_kernelI19rocblas_complex_numIfELi16ELi16ELi32ELi32ELi8ELi32ELi8ELi8ELi32ELc67ELc84EKPKS2_S5_KPS2_EEvlllT_PT11_llSA_llS8_PT12_llPT13_lli.has_indirect_call, 0
	.section	.AMDGPU.csdata,"",@progbits
; Kernel info:
; codeLenInByte = 3008
; TotalNumSgprs: 48
; NumVgprs: 59
; ScratchSize: 0
; MemoryBound: 1
; FloatMode: 240
; IeeeMode: 1
; LDSByteSize: 4096 bytes/workgroup (compile time only)
; SGPRBlocks: 0
; VGPRBlocks: 7
; NumSGPRsForWavesPerEU: 48
; NumVGPRsForWavesPerEU: 59
; Occupancy: 16
; WaveLimiterHint : 1
; COMPUTE_PGM_RSRC2:SCRATCH_EN: 0
; COMPUTE_PGM_RSRC2:USER_SGPR: 6
; COMPUTE_PGM_RSRC2:TRAP_HANDLER: 0
; COMPUTE_PGM_RSRC2:TGID_X_EN: 1
; COMPUTE_PGM_RSRC2:TGID_Y_EN: 1
; COMPUTE_PGM_RSRC2:TGID_Z_EN: 1
; COMPUTE_PGM_RSRC2:TIDIG_COMP_CNT: 1
	.section	.text._ZN12_GLOBAL__N_135rocblas_gemm_batched_general_kernelI19rocblas_complex_numIfELi16ELi16ELi32ELi32ELi8ELi32ELi8ELi8ELi32ELc78ELc67EKPKS2_S5_KPS2_EEvlllT_PT11_llSA_llS8_PT12_llPT13_lli,"axG",@progbits,_ZN12_GLOBAL__N_135rocblas_gemm_batched_general_kernelI19rocblas_complex_numIfELi16ELi16ELi32ELi32ELi8ELi32ELi8ELi8ELi32ELc78ELc67EKPKS2_S5_KPS2_EEvlllT_PT11_llSA_llS8_PT12_llPT13_lli,comdat
	.globl	_ZN12_GLOBAL__N_135rocblas_gemm_batched_general_kernelI19rocblas_complex_numIfELi16ELi16ELi32ELi32ELi8ELi32ELi8ELi8ELi32ELc78ELc67EKPKS2_S5_KPS2_EEvlllT_PT11_llSA_llS8_PT12_llPT13_lli ; -- Begin function _ZN12_GLOBAL__N_135rocblas_gemm_batched_general_kernelI19rocblas_complex_numIfELi16ELi16ELi32ELi32ELi8ELi32ELi8ELi8ELi32ELc78ELc67EKPKS2_S5_KPS2_EEvlllT_PT11_llSA_llS8_PT12_llPT13_lli
	.p2align	8
	.type	_ZN12_GLOBAL__N_135rocblas_gemm_batched_general_kernelI19rocblas_complex_numIfELi16ELi16ELi32ELi32ELi8ELi32ELi8ELi8ELi32ELc78ELc67EKPKS2_S5_KPS2_EEvlllT_PT11_llSA_llS8_PT12_llPT13_lli,@function
_ZN12_GLOBAL__N_135rocblas_gemm_batched_general_kernelI19rocblas_complex_numIfELi16ELi16ELi32ELi32ELi8ELi32ELi8ELi8ELi32ELc78ELc67EKPKS2_S5_KPS2_EEvlllT_PT11_llSA_llS8_PT12_llPT13_lli: ; @_ZN12_GLOBAL__N_135rocblas_gemm_batched_general_kernelI19rocblas_complex_numIfELi16ELi16ELi32ELi32ELi8ELi32ELi8ELi8ELi32ELc78ELc67EKPKS2_S5_KPS2_EEvlllT_PT11_llSA_llS8_PT12_llPT13_lli
; %bb.0:
	s_clause 0x1
	s_load_dwordx8 s[36:43], s[4:5], 0x58
	s_load_dwordx16 s[12:27], s[4:5], 0x0
	s_mov_b32 s9, 0
	s_clause 0x1
	s_load_dwordx4 s[28:31], s[4:5], 0x78
	s_load_dwordx2 s[34:35], s[4:5], 0x50
	s_lshl_b64 s[46:47], s[8:9], 3
	s_mov_b32 s0, s7
	v_mov_b32_e32 v20, 0
	v_mov_b32_e32 v21, 0
	;; [unrolled: 1-line block ×8, first 2 shown]
	s_waitcnt lgkmcnt(0)
	s_add_u32 s2, s36, s46
	s_addc_u32 s3, s37, s47
	s_add_u32 s8, s42, s46
	s_addc_u32 s9, s43, s47
	s_load_dwordx2 s[36:37], s[2:3], 0x0
	s_load_dwordx2 s[2:3], s[8:9], 0x0
	v_cmp_lt_i64_e64 s8, s[16:17], 1
	s_ashr_i32 s7, s6, 31
	s_ashr_i32 s1, s0, 31
	s_lshl_b64 s[42:43], s[6:7], 5
	s_lshl_b64 s[44:45], s[0:1], 5
	s_and_b32 vcc_lo, exec_lo, s8
	s_cbranch_vccnz .LBB248_11
; %bb.1:
	s_load_dwordx4 s[8:11], s[4:5], 0x40
	v_lshl_add_u32 v3, v1, 4, v0
	v_and_b32_e32 v8, 7, v0
	s_add_u32 s4, s26, s46
	s_addc_u32 s5, s27, s47
	s_add_u32 s20, s20, s46
	v_lshrrev_b32_e32 v11, 5, v3
	v_lshrrev_b32_e32 v17, 3, v3
	v_and_b32_e32 v18, 31, v3
	v_lshlrev_b32_e32 v19, 3, v8
	s_load_dwordx2 s[26:27], s[4:5], 0x0
	v_mad_u64_u32 v[12:13], null, s22, v11, 0
	s_addc_u32 s21, s21, s47
	s_lshl_b64 s[4:5], s[0:1], 8
	v_and_b32_e32 v20, 0x1ff8, v3
	v_add_co_u32 v15, s0, v17, s44
	v_or_b32_e32 v3, s42, v18
	v_mov_b32_e32 v7, v13
	s_waitcnt lgkmcnt(0)
	v_mad_u64_u32 v[5:6], null, s8, v8, 0
	v_lshlrev_b32_e32 v21, 3, v18
	v_lshl_or_b32 v19, v17, 6, v19
	v_mad_u64_u32 v[17:18], null, s23, v11, v[7:8]
	v_mov_b32_e32 v4, s43
	s_load_dwordx2 s[20:21], s[20:21], 0x0
	v_mad_u64_u32 v[13:14], null, s9, v8, v[6:7]
	s_lshl_b64 s[10:11], s[10:11], 3
	v_cmp_gt_i64_e32 vcc_lo, s[12:13], v[3:4]
	s_add_u32 s1, s10, s4
	s_addc_u32 s4, s11, s5
	s_lshl_b64 s[6:7], s[6:7], 8
	s_lshl_b64 s[10:11], s[24:25], 3
	v_mov_b32_e32 v6, v13
	v_mov_b32_e32 v13, v17
	v_add_co_ci_u32_e64 v16, null, 0, s45, s0
	v_mov_b32_e32 v2, 0
	v_lshlrev_b64 v[3:4], 3, v[5:6]
	v_lshlrev_b64 v[5:6], 3, v[12:13]
	v_cmp_gt_i64_e64 s0, s[14:15], v[15:16]
	v_lshlrev_b32_e32 v9, 3, v0
	v_lshl_add_u32 v10, v1, 6, 0x800
	v_lshl_or_b32 v14, v11, 8, v21
	v_add_co_u32 v3, s1, s1, v3
	v_add_co_ci_u32_e64 v4, null, s4, v4, s1
	s_lshl_b64 s[4:5], s[8:9], 6
	s_add_u32 s1, s10, s6
	s_addc_u32 s6, s11, s7
	v_add_co_u32 v5, s1, s1, v5
	v_add_co_ci_u32_e64 v6, null, s6, v6, s1
	v_add_co_u32 v3, s1, v3, v20
	v_add_co_ci_u32_e64 v7, null, 0, v4, s1
	;; [unrolled: 2-line block ×4, first 2 shown]
	s_waitcnt lgkmcnt(0)
	v_add_co_u32 v6, s1, s20, v12
	v_add_nc_u32_e32 v16, 0x800, v19
	v_add_co_ci_u32_e64 v7, null, s21, v13, s1
	v_mov_b32_e32 v13, 0
	v_mov_b32_e32 v12, 0
	;; [unrolled: 1-line block ×8, first 2 shown]
	s_lshl_b64 s[6:7], s[22:23], 6
	s_mov_b64 s[8:9], 0
	s_xor_b32 s1, vcc_lo, -1
	s_xor_b32 s0, s0, -1
	s_branch .LBB248_3
.LBB248_2:                              ;   in Loop: Header=BB248_3 Depth=1
	s_or_b32 exec_lo, exec_lo, s10
	ds_write_b32 v16, v3 offset:4
	s_waitcnt lgkmcnt(0)
	s_barrier
	buffer_gl0_inv
	ds_read_b128 v[22:25], v10
	ds_read2_b64 v[26:29], v9 offset1:16
	ds_read_b128 v[30:33], v10 offset:1024
	ds_read_b128 v[34:37], v10 offset:16
	;; [unrolled: 1-line block ×4, first 2 shown]
	ds_read2_b64 v[46:49], v9 offset0:32 offset1:48
	ds_read_b128 v[50:53], v10 offset:1040
	s_add_u32 s8, s8, 8
	s_addc_u32 s9, s9, 0
	v_add_co_u32 v4, vcc_lo, v4, s4
	v_cmp_lt_i64_e64 s10, s[8:9], s[16:17]
	v_add_co_ci_u32_e64 v5, null, s5, v5, vcc_lo
	v_add_co_u32 v6, vcc_lo, v6, s6
	v_add_co_ci_u32_e64 v7, null, s7, v7, vcc_lo
	s_and_b32 vcc_lo, exec_lo, s10
	s_waitcnt lgkmcnt(6)
	v_mul_f32_e32 v3, v23, v27
	v_mul_f32_e32 v54, v22, v27
	v_mul_f32_e32 v55, v23, v29
	v_mul_f32_e32 v56, v22, v29
	s_waitcnt lgkmcnt(5)
	v_mul_f32_e32 v57, v31, v27
	v_mul_f32_e32 v27, v30, v27
	;; [unrolled: 1-line block ×3, first 2 shown]
	v_fma_f32 v3, v22, v26, -v3
	v_fmac_f32_e32 v54, v23, v26
	v_fma_f32 v22, v22, v28, -v55
	v_fmac_f32_e32 v56, v23, v28
	;; [unrolled: 2-line block ×3, first 2 shown]
	v_mul_f32_e32 v29, v30, v29
	v_fma_f32 v26, v30, v28, -v58
	v_add_f32_e32 v3, v20, v3
	v_add_f32_e32 v22, v18, v22
	;; [unrolled: 1-line block ×5, first 2 shown]
	s_waitcnt lgkmcnt(1)
	v_mul_f32_e32 v27, v25, v47
	ds_read2_b64 v[17:20], v9 offset0:64 offset1:80
	v_fmac_f32_e32 v29, v31, v28
	v_mul_f32_e32 v28, v25, v49
	v_add_f32_e32 v12, v12, v26
	v_fma_f32 v27, v24, v46, -v27
	v_mul_f32_e32 v26, v24, v47
	v_add_f32_e32 v13, v13, v29
	v_mul_f32_e32 v29, v24, v49
	v_fma_f32 v24, v24, v48, -v28
	v_add_f32_e32 v3, v3, v27
	v_mul_f32_e32 v27, v33, v47
	v_add_f32_e32 v21, v21, v54
	v_fmac_f32_e32 v26, v25, v46
	v_fmac_f32_e32 v29, v25, v48
	v_add_f32_e32 v25, v22, v24
	v_fma_f32 v22, v32, v46, -v27
	v_mul_f32_e32 v24, v33, v49
	v_add_f32_e32 v26, v21, v26
	v_mul_f32_e32 v21, v32, v47
	v_add_f32_e32 v27, v30, v29
	v_add_f32_e32 v15, v15, v22
	v_fma_f32 v22, v32, v48, -v24
	s_waitcnt lgkmcnt(0)
	v_mul_f32_e32 v24, v35, v18
	v_fmac_f32_e32 v21, v33, v46
	v_mul_f32_e32 v28, v32, v49
	v_mul_f32_e32 v30, v34, v18
	;; [unrolled: 1-line block ×3, first 2 shown]
	v_fma_f32 v31, v34, v17, -v24
	v_add_f32_e32 v29, v23, v21
	v_add_f32_e32 v12, v12, v22
	ds_read2_b64 v[21:24], v9 offset0:96 offset1:112
	v_fmac_f32_e32 v30, v35, v17
	v_add_f32_e32 v3, v3, v31
	v_fma_f32 v31, v34, v19, -v32
	v_fmac_f32_e32 v28, v33, v48
	v_mul_f32_e32 v32, v50, v20
	v_add_f32_e32 v26, v26, v30
	v_mul_f32_e32 v30, v51, v18
	v_mul_f32_e32 v18, v50, v18
	v_add_f32_e32 v25, v25, v31
	v_mul_f32_e32 v31, v51, v20
	v_add_f32_e32 v13, v13, v28
	v_mul_f32_e32 v28, v34, v20
	v_fma_f32 v30, v50, v17, -v30
	v_fmac_f32_e32 v18, v51, v17
	v_fma_f32 v17, v50, v19, -v31
	v_fmac_f32_e32 v32, v51, v19
	v_fmac_f32_e32 v28, v35, v19
	v_add_f32_e32 v15, v15, v30
	v_add_f32_e32 v29, v29, v18
	;; [unrolled: 1-line block ×3, first 2 shown]
	ds_read2_b64 v[17:20], v9 offset0:128 offset1:144
	v_add_f32_e32 v33, v27, v28
	s_waitcnt lgkmcnt(1)
	v_mul_f32_e32 v27, v37, v22
	v_mul_f32_e32 v28, v36, v22
	;; [unrolled: 1-line block ×4, first 2 shown]
	v_add_f32_e32 v13, v13, v32
	v_fma_f32 v27, v36, v21, -v27
	v_fmac_f32_e32 v28, v37, v21
	v_fma_f32 v30, v36, v23, -v30
	v_fmac_f32_e32 v31, v37, v23
	v_mul_f32_e32 v32, v53, v24
	v_add_f32_e32 v3, v3, v27
	v_mul_f32_e32 v27, v53, v22
	v_mul_f32_e32 v22, v52, v22
	v_add_f32_e32 v34, v26, v28
	v_add_f32_e32 v35, v25, v30
	;; [unrolled: 1-line block ×3, first 2 shown]
	v_fma_f32 v30, v52, v21, -v27
	ds_read_b128 v[25:28], v10 offset:1056
	v_fmac_f32_e32 v22, v53, v21
	v_mul_f32_e32 v31, v52, v24
	v_fma_f32 v21, v52, v23, -v32
	s_waitcnt lgkmcnt(1)
	v_mul_f32_e32 v24, v39, v18
	v_add_f32_e32 v15, v15, v30
	v_add_f32_e32 v36, v29, v22
	v_fmac_f32_e32 v31, v53, v23
	v_add_f32_e32 v12, v12, v21
	v_fma_f32 v29, v38, v17, -v24
	ds_read2_b64 v[21:24], v9 offset0:160 offset1:176
	v_mul_f32_e32 v37, v38, v18
	v_mul_f32_e32 v30, v39, v20
	v_add_f32_e32 v13, v13, v31
	v_add_f32_e32 v3, v3, v29
	v_mul_f32_e32 v46, v38, v20
	v_fmac_f32_e32 v37, v39, v17
	v_fma_f32 v38, v38, v19, -v30
	ds_read_b128 v[29:32], v10 offset:1072
	s_waitcnt lgkmcnt(2)
	v_mul_f32_e32 v47, v26, v18
	v_mul_f32_e32 v18, v25, v18
	v_add_f32_e32 v34, v34, v37
	v_fmac_f32_e32 v46, v39, v19
	v_add_f32_e32 v35, v35, v38
	v_fma_f32 v37, v25, v17, -v47
	v_mul_f32_e32 v38, v26, v20
	v_fmac_f32_e32 v18, v26, v17
	v_mul_f32_e32 v39, v25, v20
	v_add_f32_e32 v33, v33, v46
	s_waitcnt lgkmcnt(1)
	v_mul_f32_e32 v20, v41, v22
	v_add_f32_e32 v15, v15, v37
	v_fma_f32 v17, v25, v19, -v38
	v_add_f32_e32 v25, v36, v18
	v_fmac_f32_e32 v39, v26, v19
	v_mul_f32_e32 v26, v40, v22
	v_fma_f32 v36, v40, v21, -v20
	v_mul_f32_e32 v37, v41, v24
	v_add_f32_e32 v12, v12, v17
	ds_read2_b64 v[17:20], v9 offset0:192 offset1:208
	v_fmac_f32_e32 v26, v41, v21
	v_add_f32_e32 v3, v3, v36
	v_mul_f32_e32 v36, v40, v24
	v_fma_f32 v37, v40, v23, -v37
	v_add_f32_e32 v13, v13, v39
	v_add_f32_e32 v26, v34, v26
	v_mul_f32_e32 v34, v28, v22
	v_mul_f32_e32 v22, v27, v22
	v_fmac_f32_e32 v36, v41, v23
	v_add_f32_e32 v35, v35, v37
	v_mul_f32_e32 v37, v28, v24
	v_fma_f32 v34, v27, v21, -v34
	v_fmac_f32_e32 v22, v28, v21
	v_add_f32_e32 v21, v33, v36
	v_mul_f32_e32 v33, v27, v24
	v_fma_f32 v24, v27, v23, -v37
	v_add_f32_e32 v15, v15, v34
	v_add_f32_e32 v27, v25, v22
	v_fmac_f32_e32 v33, v28, v23
	v_add_f32_e32 v12, v12, v24
	ds_read2_b64 v[22:25], v9 offset0:224 offset1:240
	s_waitcnt lgkmcnt(1)
	v_mul_f32_e32 v34, v43, v18
	v_mul_f32_e32 v28, v42, v18
	v_add_f32_e32 v13, v13, v33
	v_mul_f32_e32 v33, v43, v20
	v_mul_f32_e32 v36, v42, v20
	v_fma_f32 v34, v42, v17, -v34
	v_fmac_f32_e32 v28, v43, v17
	s_waitcnt lgkmcnt(0)
	v_fma_f32 v33, v42, v19, -v33
	v_fmac_f32_e32 v36, v43, v19
	v_add_f32_e32 v3, v3, v34
	v_mul_f32_e32 v34, v30, v18
	v_mul_f32_e32 v18, v29, v18
	v_add_f32_e32 v26, v26, v28
	v_add_f32_e32 v33, v35, v33
	;; [unrolled: 1-line block ×3, first 2 shown]
	v_fma_f32 v28, v29, v17, -v34
	v_mul_f32_e32 v34, v30, v20
	v_fmac_f32_e32 v18, v30, v17
	v_mul_f32_e32 v17, v29, v20
	v_mul_f32_e32 v21, v45, v23
	v_add_f32_e32 v15, v15, v28
	v_fma_f32 v20, v29, v19, -v34
	v_add_f32_e32 v27, v27, v18
	v_fmac_f32_e32 v17, v30, v19
	v_fma_f32 v18, v44, v22, -v21
	v_mul_f32_e32 v19, v45, v25
	v_mul_f32_e32 v28, v44, v23
	v_add_f32_e32 v12, v12, v20
	v_mul_f32_e32 v29, v44, v25
	v_add_f32_e32 v13, v13, v17
	v_add_f32_e32 v20, v3, v18
	v_fma_f32 v3, v44, v24, -v19
	v_mul_f32_e32 v17, v32, v23
	v_mul_f32_e32 v23, v31, v23
	;; [unrolled: 1-line block ×4, first 2 shown]
	v_fmac_f32_e32 v28, v45, v22
	v_fmac_f32_e32 v29, v45, v24
	v_add_f32_e32 v18, v33, v3
	v_fma_f32 v3, v31, v22, -v17
	v_fmac_f32_e32 v23, v32, v22
	v_fma_f32 v22, v31, v24, -v19
	v_fmac_f32_e32 v25, v32, v24
	v_add_f32_e32 v21, v26, v28
	v_add_f32_e32 v19, v35, v29
	v_add_f32_e32 v15, v15, v3
	v_add_f32_e32 v17, v27, v23
	v_add_f32_e32 v12, v12, v22
	v_add_f32_e32 v13, v13, v25
	s_barrier
	buffer_gl0_inv
	s_cbranch_vccz .LBB248_11
.LBB248_3:                              ; =>This Inner Loop Header: Depth=1
	v_add_co_u32 v22, s10, v11, s8
	v_add_co_ci_u32_e64 v23, null, 0, s9, s10
	v_cmp_le_i64_e32 vcc_lo, s[16:17], v[22:23]
	s_or_b32 s10, s1, vcc_lo
	s_and_saveexec_b32 s11, s10
	s_xor_b32 s10, exec_lo, s11
; %bb.4:                                ;   in Loop: Header=BB248_3 Depth=1
	v_mov_b32_e32 v3, v2
	ds_write_b64 v14, v[2:3]
; %bb.5:                                ;   in Loop: Header=BB248_3 Depth=1
	s_andn2_saveexec_b32 s10, s10
	s_cbranch_execz .LBB248_7
; %bb.6:                                ;   in Loop: Header=BB248_3 Depth=1
	flat_load_dwordx2 v[22:23], v[6:7]
	s_waitcnt vmcnt(0) lgkmcnt(0)
	ds_write_b64 v14, v[22:23]
.LBB248_7:                              ;   in Loop: Header=BB248_3 Depth=1
	s_or_b32 exec_lo, exec_lo, s10
	v_add_co_u32 v22, s10, v8, s8
	v_add_co_ci_u32_e64 v23, null, 0, s9, s10
	v_cmp_le_i64_e32 vcc_lo, s[16:17], v[22:23]
	s_or_b32 s10, vcc_lo, s0
	s_and_saveexec_b32 s11, s10
	s_xor_b32 s10, exec_lo, s11
; %bb.8:                                ;   in Loop: Header=BB248_3 Depth=1
	ds_write_b32 v16, v2
; %bb.9:                                ;   in Loop: Header=BB248_3 Depth=1
	s_or_saveexec_b32 s10, s10
	v_mov_b32_e32 v3, 0
	s_xor_b32 exec_lo, exec_lo, s10
	s_cbranch_execz .LBB248_2
; %bb.10:                               ;   in Loop: Header=BB248_3 Depth=1
	flat_load_dwordx2 v[22:23], v[4:5]
	s_waitcnt vmcnt(0) lgkmcnt(0)
	v_xor_b32_e32 v3, 0x80000000, v23
	ds_write_b32 v16, v22
	s_branch .LBB248_2
.LBB248_11:
	v_add_co_u32 v1, s4, s44, v1
	v_add_co_ci_u32_e64 v2, null, s45, 0, s4
	s_lshl_b64 s[0:1], s[30:31], 3
	s_waitcnt lgkmcnt(0)
	s_add_u32 s4, s2, s0
	s_addc_u32 s3, s3, s1
	s_or_b32 s1, s34, s35
	v_cmp_gt_i64_e64 s0, s[14:15], v[1:2]
	s_bitset0_b32 s1, 31
	s_cmp_lg_u32 s1, 0
	s_mov_b32 s1, -1
	s_cbranch_scc1 .LBB248_23
; %bb.12:
	s_and_saveexec_b32 s5, s0
	s_cbranch_execz .LBB248_22
; %bb.13:
	v_mul_lo_u32 v5, v2, s28
	v_mul_lo_u32 v6, v1, s29
	v_mad_u64_u32 v[3:4], null, v1, s28, 0
	v_add3_u32 v4, v4, v6, v5
	v_add_co_u32 v5, s1, s42, v0
	v_add_co_ci_u32_e64 v6, null, s43, 0, s1
	v_lshlrev_b64 v[7:8], 3, v[3:4]
	v_cmp_gt_i64_e32 vcc_lo, s[12:13], v[5:6]
	v_lshlrev_b64 v[3:4], 3, v[5:6]
	v_add_co_u32 v7, s1, s4, v7
	v_add_co_ci_u32_e64 v8, null, s3, v8, s1
	s_and_saveexec_b32 s2, vcc_lo
	s_cbranch_execz .LBB248_15
; %bb.14:
	v_mul_f32_e32 v9, s19, v21
	v_mul_f32_e32 v10, s18, v21
	v_add_co_u32 v22, s1, v7, v3
	v_add_co_ci_u32_e64 v23, null, v8, v4, s1
	v_fma_f32 v9, v20, s18, -v9
	v_fmac_f32_e32 v10, s19, v20
	flat_store_dwordx2 v[22:23], v[9:10]
.LBB248_15:
	s_or_b32 exec_lo, exec_lo, s2
	v_add_co_u32 v5, s1, v5, 16
	v_add_co_ci_u32_e64 v6, null, 0, v6, s1
	v_cmp_gt_i64_e64 s1, s[12:13], v[5:6]
	s_and_saveexec_b32 s6, s1
	s_cbranch_execz .LBB248_17
; %bb.16:
	v_mul_f32_e32 v5, s19, v19
	v_mul_f32_e32 v6, s18, v19
	v_add_co_u32 v9, s2, v7, v3
	v_add_co_ci_u32_e64 v10, null, v8, v4, s2
	v_fma_f32 v5, v18, s18, -v5
	v_fmac_f32_e32 v6, s19, v18
	flat_store_dwordx2 v[9:10], v[5:6] offset:128
.LBB248_17:
	s_or_b32 exec_lo, exec_lo, s6
	v_add_co_u32 v5, s2, v1, 16
	v_add_co_ci_u32_e64 v6, null, 0, v2, s2
	v_cmp_gt_i64_e64 s2, s[14:15], v[5:6]
	s_and_b32 exec_lo, exec_lo, s2
	s_cbranch_execz .LBB248_22
; %bb.18:
	s_lshl_b64 s[6:7], s[28:29], 7
	v_add_co_u32 v5, s2, v7, s6
	v_add_co_ci_u32_e64 v6, null, s7, v8, s2
	v_add_co_u32 v3, s2, v5, v3
	v_add_co_ci_u32_e64 v4, null, v6, v4, s2
	s_and_saveexec_b32 s2, vcc_lo
	s_cbranch_execz .LBB248_20
; %bb.19:
	v_mul_f32_e32 v5, s19, v17
	v_mul_f32_e32 v6, s18, v17
	v_fma_f32 v5, v15, s18, -v5
	v_fmac_f32_e32 v6, s19, v15
	flat_store_dwordx2 v[3:4], v[5:6]
.LBB248_20:
	s_or_b32 exec_lo, exec_lo, s2
	s_and_b32 exec_lo, exec_lo, s1
	s_cbranch_execz .LBB248_22
; %bb.21:
	v_mul_f32_e32 v5, s19, v13
	v_mul_f32_e32 v6, s18, v13
	v_fma_f32 v5, v12, s18, -v5
	v_fmac_f32_e32 v6, s19, v12
	flat_store_dwordx2 v[3:4], v[5:6] offset:128
.LBB248_22:
	s_or_b32 exec_lo, exec_lo, s5
	s_mov_b32 s1, 0
.LBB248_23:
	s_andn2_b32 vcc_lo, exec_lo, s1
	s_cbranch_vccnz .LBB248_34
; %bb.24:
	s_and_saveexec_b32 s1, s0
	s_cbranch_execz .LBB248_34
; %bb.25:
	v_mul_lo_u32 v5, v2, s38
	v_mul_lo_u32 v6, v1, s39
	v_mad_u64_u32 v[3:4], null, v1, s38, 0
	v_mul_lo_u32 v9, v2, s28
	v_mul_lo_u32 v10, v1, s29
	v_mad_u64_u32 v[7:8], null, v1, s28, 0
	s_lshl_b64 s[0:1], s[40:41], 3
	v_add3_u32 v4, v4, v6, v5
	v_add_co_u32 v5, s2, s42, v0
	v_add_co_ci_u32_e64 v6, null, s43, 0, s2
	v_add3_u32 v8, v8, v10, v9
	v_lshlrev_b64 v[3:4], 3, v[3:4]
	s_add_u32 s0, s36, s0
	s_addc_u32 s1, s37, s1
	v_cmp_gt_i64_e32 vcc_lo, s[12:13], v[5:6]
	v_lshlrev_b64 v[8:9], 3, v[7:8]
	v_add_co_u32 v0, s0, s0, v3
	v_add_co_ci_u32_e64 v7, null, s1, v4, s0
	v_add_co_u32 v8, s0, s4, v8
	v_lshlrev_b64 v[3:4], 3, v[5:6]
	v_add_co_ci_u32_e64 v9, null, s3, v9, s0
	s_and_saveexec_b32 s1, vcc_lo
	s_cbranch_execz .LBB248_27
; %bb.26:
	v_add_co_u32 v10, s0, v0, v3
	v_add_co_ci_u32_e64 v11, null, v7, v4, s0
	v_mul_f32_e32 v14, s19, v21
	v_mul_f32_e32 v16, s18, v21
	flat_load_dwordx2 v[10:11], v[10:11]
	v_fma_f32 v14, v20, s18, -v14
	v_fmac_f32_e32 v16, s19, v20
	s_waitcnt vmcnt(0) lgkmcnt(0)
	v_mul_f32_e32 v21, s35, v11
	v_mul_f32_e32 v11, s34, v11
	v_fma_f32 v20, v10, s34, -v21
	v_fmac_f32_e32 v11, s35, v10
	v_add_f32_e32 v10, v14, v20
	v_add_co_u32 v20, s0, v8, v3
	v_add_f32_e32 v11, v16, v11
	v_add_co_ci_u32_e64 v21, null, v9, v4, s0
	flat_store_dwordx2 v[20:21], v[10:11]
.LBB248_27:
	s_or_b32 exec_lo, exec_lo, s1
	v_add_co_u32 v5, s0, v5, 16
	v_add_co_ci_u32_e64 v6, null, 0, v6, s0
	v_cmp_gt_i64_e64 s0, s[12:13], v[5:6]
	s_and_saveexec_b32 s2, s0
	s_cbranch_execz .LBB248_29
; %bb.28:
	v_add_co_u32 v5, s1, v0, v3
	v_add_co_ci_u32_e64 v6, null, v7, v4, s1
	v_mul_f32_e32 v10, s19, v19
	v_mul_f32_e32 v11, s18, v19
	flat_load_dwordx2 v[5:6], v[5:6] offset:128
	v_fma_f32 v10, v18, s18, -v10
	v_fmac_f32_e32 v11, s19, v18
	s_waitcnt vmcnt(0) lgkmcnt(0)
	v_mul_f32_e32 v14, s35, v6
	v_mul_f32_e32 v6, s34, v6
	v_fma_f32 v14, v5, s34, -v14
	v_fmac_f32_e32 v6, s35, v5
	v_add_f32_e32 v5, v10, v14
	v_add_co_u32 v10, s1, v8, v3
	v_add_f32_e32 v6, v11, v6
	v_add_co_ci_u32_e64 v11, null, v9, v4, s1
	flat_store_dwordx2 v[10:11], v[5:6] offset:128
.LBB248_29:
	s_or_b32 exec_lo, exec_lo, s2
	v_add_co_u32 v1, s1, v1, 16
	v_add_co_ci_u32_e64 v2, null, 0, v2, s1
	v_cmp_gt_i64_e64 s1, s[14:15], v[1:2]
	s_and_b32 exec_lo, exec_lo, s1
	s_cbranch_execz .LBB248_34
; %bb.30:
	s_lshl_b64 s[2:3], s[38:39], 7
	v_add_co_u32 v0, s1, v0, s2
	v_add_co_ci_u32_e64 v1, null, s3, v7, s1
	s_lshl_b64 s[2:3], s[28:29], 7
	v_add_co_u32 v2, s1, v8, s2
	v_add_co_ci_u32_e64 v7, null, s3, v9, s1
	v_add_co_u32 v5, s1, v0, v3
	v_add_co_ci_u32_e64 v6, null, v1, v4, s1
	v_add_co_u32 v0, s1, v2, v3
	v_add_co_ci_u32_e64 v1, null, v7, v4, s1
	s_and_saveexec_b32 s1, vcc_lo
	s_cbranch_execz .LBB248_32
; %bb.31:
	flat_load_dwordx2 v[2:3], v[5:6]
	v_mul_f32_e32 v4, s19, v17
	v_mul_f32_e32 v7, s18, v17
	v_fma_f32 v4, v15, s18, -v4
	v_fmac_f32_e32 v7, s19, v15
	s_waitcnt vmcnt(0) lgkmcnt(0)
	v_mul_f32_e32 v8, s35, v3
	v_mul_f32_e32 v3, s34, v3
	v_fma_f32 v8, v2, s34, -v8
	v_fmac_f32_e32 v3, s35, v2
	v_add_f32_e32 v2, v4, v8
	v_add_f32_e32 v3, v7, v3
	flat_store_dwordx2 v[0:1], v[2:3]
.LBB248_32:
	s_or_b32 exec_lo, exec_lo, s1
	s_and_b32 exec_lo, exec_lo, s0
	s_cbranch_execz .LBB248_34
; %bb.33:
	flat_load_dwordx2 v[2:3], v[5:6] offset:128
	v_mul_f32_e32 v4, s19, v13
	v_mul_f32_e32 v5, s18, v13
	v_fma_f32 v4, v12, s18, -v4
	v_fmac_f32_e32 v5, s19, v12
	s_waitcnt vmcnt(0) lgkmcnt(0)
	v_mul_f32_e32 v6, s35, v3
	v_mul_f32_e32 v3, s34, v3
	v_fma_f32 v6, v2, s34, -v6
	v_fmac_f32_e32 v3, s35, v2
	v_add_f32_e32 v2, v4, v6
	v_add_f32_e32 v3, v5, v3
	flat_store_dwordx2 v[0:1], v[2:3] offset:128
.LBB248_34:
	s_endpgm
	.section	.rodata,"a",@progbits
	.p2align	6, 0x0
	.amdhsa_kernel _ZN12_GLOBAL__N_135rocblas_gemm_batched_general_kernelI19rocblas_complex_numIfELi16ELi16ELi32ELi32ELi8ELi32ELi8ELi8ELi32ELc78ELc67EKPKS2_S5_KPS2_EEvlllT_PT11_llSA_llS8_PT12_llPT13_lli
		.amdhsa_group_segment_fixed_size 4096
		.amdhsa_private_segment_fixed_size 0
		.amdhsa_kernarg_size 140
		.amdhsa_user_sgpr_count 6
		.amdhsa_user_sgpr_private_segment_buffer 1
		.amdhsa_user_sgpr_dispatch_ptr 0
		.amdhsa_user_sgpr_queue_ptr 0
		.amdhsa_user_sgpr_kernarg_segment_ptr 1
		.amdhsa_user_sgpr_dispatch_id 0
		.amdhsa_user_sgpr_flat_scratch_init 0
		.amdhsa_user_sgpr_private_segment_size 0
		.amdhsa_wavefront_size32 1
		.amdhsa_uses_dynamic_stack 0
		.amdhsa_system_sgpr_private_segment_wavefront_offset 0
		.amdhsa_system_sgpr_workgroup_id_x 1
		.amdhsa_system_sgpr_workgroup_id_y 1
		.amdhsa_system_sgpr_workgroup_id_z 1
		.amdhsa_system_sgpr_workgroup_info 0
		.amdhsa_system_vgpr_workitem_id 1
		.amdhsa_next_free_vgpr 59
		.amdhsa_next_free_sgpr 48
		.amdhsa_reserve_vcc 1
		.amdhsa_reserve_flat_scratch 0
		.amdhsa_float_round_mode_32 0
		.amdhsa_float_round_mode_16_64 0
		.amdhsa_float_denorm_mode_32 3
		.amdhsa_float_denorm_mode_16_64 3
		.amdhsa_dx10_clamp 1
		.amdhsa_ieee_mode 1
		.amdhsa_fp16_overflow 0
		.amdhsa_workgroup_processor_mode 1
		.amdhsa_memory_ordered 1
		.amdhsa_forward_progress 1
		.amdhsa_shared_vgpr_count 0
		.amdhsa_exception_fp_ieee_invalid_op 0
		.amdhsa_exception_fp_denorm_src 0
		.amdhsa_exception_fp_ieee_div_zero 0
		.amdhsa_exception_fp_ieee_overflow 0
		.amdhsa_exception_fp_ieee_underflow 0
		.amdhsa_exception_fp_ieee_inexact 0
		.amdhsa_exception_int_div_zero 0
	.end_amdhsa_kernel
	.section	.text._ZN12_GLOBAL__N_135rocblas_gemm_batched_general_kernelI19rocblas_complex_numIfELi16ELi16ELi32ELi32ELi8ELi32ELi8ELi8ELi32ELc78ELc67EKPKS2_S5_KPS2_EEvlllT_PT11_llSA_llS8_PT12_llPT13_lli,"axG",@progbits,_ZN12_GLOBAL__N_135rocblas_gemm_batched_general_kernelI19rocblas_complex_numIfELi16ELi16ELi32ELi32ELi8ELi32ELi8ELi8ELi32ELc78ELc67EKPKS2_S5_KPS2_EEvlllT_PT11_llSA_llS8_PT12_llPT13_lli,comdat
.Lfunc_end248:
	.size	_ZN12_GLOBAL__N_135rocblas_gemm_batched_general_kernelI19rocblas_complex_numIfELi16ELi16ELi32ELi32ELi8ELi32ELi8ELi8ELi32ELc78ELc67EKPKS2_S5_KPS2_EEvlllT_PT11_llSA_llS8_PT12_llPT13_lli, .Lfunc_end248-_ZN12_GLOBAL__N_135rocblas_gemm_batched_general_kernelI19rocblas_complex_numIfELi16ELi16ELi32ELi32ELi8ELi32ELi8ELi8ELi32ELc78ELc67EKPKS2_S5_KPS2_EEvlllT_PT11_llSA_llS8_PT12_llPT13_lli
                                        ; -- End function
	.set _ZN12_GLOBAL__N_135rocblas_gemm_batched_general_kernelI19rocblas_complex_numIfELi16ELi16ELi32ELi32ELi8ELi32ELi8ELi8ELi32ELc78ELc67EKPKS2_S5_KPS2_EEvlllT_PT11_llSA_llS8_PT12_llPT13_lli.num_vgpr, 59
	.set _ZN12_GLOBAL__N_135rocblas_gemm_batched_general_kernelI19rocblas_complex_numIfELi16ELi16ELi32ELi32ELi8ELi32ELi8ELi8ELi32ELc78ELc67EKPKS2_S5_KPS2_EEvlllT_PT11_llSA_llS8_PT12_llPT13_lli.num_agpr, 0
	.set _ZN12_GLOBAL__N_135rocblas_gemm_batched_general_kernelI19rocblas_complex_numIfELi16ELi16ELi32ELi32ELi8ELi32ELi8ELi8ELi32ELc78ELc67EKPKS2_S5_KPS2_EEvlllT_PT11_llSA_llS8_PT12_llPT13_lli.numbered_sgpr, 48
	.set _ZN12_GLOBAL__N_135rocblas_gemm_batched_general_kernelI19rocblas_complex_numIfELi16ELi16ELi32ELi32ELi8ELi32ELi8ELi8ELi32ELc78ELc67EKPKS2_S5_KPS2_EEvlllT_PT11_llSA_llS8_PT12_llPT13_lli.num_named_barrier, 0
	.set _ZN12_GLOBAL__N_135rocblas_gemm_batched_general_kernelI19rocblas_complex_numIfELi16ELi16ELi32ELi32ELi8ELi32ELi8ELi8ELi32ELc78ELc67EKPKS2_S5_KPS2_EEvlllT_PT11_llSA_llS8_PT12_llPT13_lli.private_seg_size, 0
	.set _ZN12_GLOBAL__N_135rocblas_gemm_batched_general_kernelI19rocblas_complex_numIfELi16ELi16ELi32ELi32ELi8ELi32ELi8ELi8ELi32ELc78ELc67EKPKS2_S5_KPS2_EEvlllT_PT11_llSA_llS8_PT12_llPT13_lli.uses_vcc, 1
	.set _ZN12_GLOBAL__N_135rocblas_gemm_batched_general_kernelI19rocblas_complex_numIfELi16ELi16ELi32ELi32ELi8ELi32ELi8ELi8ELi32ELc78ELc67EKPKS2_S5_KPS2_EEvlllT_PT11_llSA_llS8_PT12_llPT13_lli.uses_flat_scratch, 0
	.set _ZN12_GLOBAL__N_135rocblas_gemm_batched_general_kernelI19rocblas_complex_numIfELi16ELi16ELi32ELi32ELi8ELi32ELi8ELi8ELi32ELc78ELc67EKPKS2_S5_KPS2_EEvlllT_PT11_llSA_llS8_PT12_llPT13_lli.has_dyn_sized_stack, 0
	.set _ZN12_GLOBAL__N_135rocblas_gemm_batched_general_kernelI19rocblas_complex_numIfELi16ELi16ELi32ELi32ELi8ELi32ELi8ELi8ELi32ELc78ELc67EKPKS2_S5_KPS2_EEvlllT_PT11_llSA_llS8_PT12_llPT13_lli.has_recursion, 0
	.set _ZN12_GLOBAL__N_135rocblas_gemm_batched_general_kernelI19rocblas_complex_numIfELi16ELi16ELi32ELi32ELi8ELi32ELi8ELi8ELi32ELc78ELc67EKPKS2_S5_KPS2_EEvlllT_PT11_llSA_llS8_PT12_llPT13_lli.has_indirect_call, 0
	.section	.AMDGPU.csdata,"",@progbits
; Kernel info:
; codeLenInByte = 3008
; TotalNumSgprs: 50
; NumVgprs: 59
; ScratchSize: 0
; MemoryBound: 1
; FloatMode: 240
; IeeeMode: 1
; LDSByteSize: 4096 bytes/workgroup (compile time only)
; SGPRBlocks: 0
; VGPRBlocks: 7
; NumSGPRsForWavesPerEU: 50
; NumVGPRsForWavesPerEU: 59
; Occupancy: 16
; WaveLimiterHint : 1
; COMPUTE_PGM_RSRC2:SCRATCH_EN: 0
; COMPUTE_PGM_RSRC2:USER_SGPR: 6
; COMPUTE_PGM_RSRC2:TRAP_HANDLER: 0
; COMPUTE_PGM_RSRC2:TGID_X_EN: 1
; COMPUTE_PGM_RSRC2:TGID_Y_EN: 1
; COMPUTE_PGM_RSRC2:TGID_Z_EN: 1
; COMPUTE_PGM_RSRC2:TIDIG_COMP_CNT: 1
	.section	.text._ZN12_GLOBAL__N_135rocblas_gemm_batched_general_kernelI19rocblas_complex_numIfELi16ELi16ELi32ELi32ELi8ELi32ELi8ELi8ELi32ELc84ELc67EKPKS2_S5_KPS2_EEvlllT_PT11_llSA_llS8_PT12_llPT13_lli,"axG",@progbits,_ZN12_GLOBAL__N_135rocblas_gemm_batched_general_kernelI19rocblas_complex_numIfELi16ELi16ELi32ELi32ELi8ELi32ELi8ELi8ELi32ELc84ELc67EKPKS2_S5_KPS2_EEvlllT_PT11_llSA_llS8_PT12_llPT13_lli,comdat
	.globl	_ZN12_GLOBAL__N_135rocblas_gemm_batched_general_kernelI19rocblas_complex_numIfELi16ELi16ELi32ELi32ELi8ELi32ELi8ELi8ELi32ELc84ELc67EKPKS2_S5_KPS2_EEvlllT_PT11_llSA_llS8_PT12_llPT13_lli ; -- Begin function _ZN12_GLOBAL__N_135rocblas_gemm_batched_general_kernelI19rocblas_complex_numIfELi16ELi16ELi32ELi32ELi8ELi32ELi8ELi8ELi32ELc84ELc67EKPKS2_S5_KPS2_EEvlllT_PT11_llSA_llS8_PT12_llPT13_lli
	.p2align	8
	.type	_ZN12_GLOBAL__N_135rocblas_gemm_batched_general_kernelI19rocblas_complex_numIfELi16ELi16ELi32ELi32ELi8ELi32ELi8ELi8ELi32ELc84ELc67EKPKS2_S5_KPS2_EEvlllT_PT11_llSA_llS8_PT12_llPT13_lli,@function
_ZN12_GLOBAL__N_135rocblas_gemm_batched_general_kernelI19rocblas_complex_numIfELi16ELi16ELi32ELi32ELi8ELi32ELi8ELi8ELi32ELc84ELc67EKPKS2_S5_KPS2_EEvlllT_PT11_llSA_llS8_PT12_llPT13_lli: ; @_ZN12_GLOBAL__N_135rocblas_gemm_batched_general_kernelI19rocblas_complex_numIfELi16ELi16ELi32ELi32ELi8ELi32ELi8ELi8ELi32ELc84ELc67EKPKS2_S5_KPS2_EEvlllT_PT11_llSA_llS8_PT12_llPT13_lli
; %bb.0:
	s_clause 0x1
	s_load_dwordx8 s[36:43], s[4:5], 0x58
	s_load_dwordx16 s[12:27], s[4:5], 0x0
	s_mov_b32 s9, 0
	s_load_dwordx4 s[28:31], s[4:5], 0x78
	s_lshl_b64 s[44:45], s[8:9], 3
	s_load_dwordx2 s[8:9], s[4:5], 0x50
	s_mov_b32 s0, s7
	v_mov_b32_e32 v20, 0
	v_mov_b32_e32 v21, 0
	;; [unrolled: 1-line block ×8, first 2 shown]
	s_waitcnt lgkmcnt(0)
	s_add_u32 s2, s36, s44
	s_addc_u32 s3, s37, s45
	s_add_u32 s34, s42, s44
	s_addc_u32 s35, s43, s45
	s_load_dwordx2 s[10:11], s[2:3], 0x0
	s_load_dwordx2 s[2:3], s[34:35], 0x0
	v_cmp_lt_i64_e64 s33, s[16:17], 1
	s_ashr_i32 s7, s6, 31
	s_ashr_i32 s1, s0, 31
	s_lshl_b64 s[34:35], s[6:7], 5
	s_lshl_b64 s[36:37], s[0:1], 5
	s_and_b32 vcc_lo, exec_lo, s33
	s_cbranch_vccnz .LBB249_11
; %bb.1:
	s_load_dwordx4 s[4:7], s[4:5], 0x40
	v_and_b32_e32 v8, 7, v0
	v_lshl_add_u32 v3, v1, 4, v0
	s_add_u32 s26, s26, s44
	s_addc_u32 s27, s27, s45
	s_add_u32 s20, s20, s44
	s_addc_u32 s21, s21, s45
	v_lshrrev_b32_e32 v14, 3, v3
	v_and_b32_e32 v15, 31, v3
	s_lshl_b64 s[42:43], s[0:1], 8
	v_mov_b32_e32 v4, s35
	v_lshrrev_b32_e32 v13, 5, v3
	v_add_co_u32 v11, s0, v14, s36
	v_add_co_ci_u32_e64 v12, null, 0, s37, s0
	v_and_b32_e32 v17, 0x1ff8, v3
	v_or_b32_e32 v3, s34, v15
	s_load_dwordx2 s[26:27], s[26:27], 0x0
	s_load_dwordx2 s[20:21], s[20:21], 0x0
	s_waitcnt lgkmcnt(0)
	v_mad_u64_u32 v[5:6], null, s4, v8, 0
	v_cmp_gt_i64_e32 vcc_lo, s[12:13], v[3:4]
	s_lshl_b64 s[6:7], s[6:7], 3
	v_lshlrev_b32_e32 v16, 3, v8
	s_add_u32 s1, s6, s42
	s_addc_u32 s6, s7, s43
	v_mov_b32_e32 v2, 0
	v_mad_u64_u32 v[6:7], null, s5, v8, v[6:7]
	v_add_co_u32 v7, s0, s34, v15
	v_add_co_ci_u32_e64 v18, null, s35, 0, s0
	v_cmp_gt_i64_e64 s0, s[14:15], v[11:12]
	v_mul_lo_u32 v19, s23, v7
	v_mad_u64_u32 v[3:4], null, s22, v7, 0
	v_mul_lo_u32 v18, s22, v18
	v_lshlrev_b64 v[5:6], 3, v[5:6]
	v_lshlrev_b32_e32 v11, 3, v13
	v_lshlrev_b32_e32 v15, 3, v15
	v_lshl_or_b32 v14, v14, 6, v16
	v_lshlrev_b32_e32 v9, 3, v0
	v_lshl_add_u32 v10, v1, 6, 0x800
	v_add_co_u32 v5, s1, s1, v5
	v_add3_u32 v4, v4, v18, v19
	v_add_co_ci_u32_e64 v6, null, s6, v6, s1
	v_add_co_u32 v5, s1, v5, v17
	v_lshlrev_b64 v[3:4], 3, v[3:4]
	s_lshl_b64 s[6:7], s[24:25], 3
	v_add_co_ci_u32_e64 v6, null, 0, v6, s1
	v_lshl_or_b32 v15, v13, 8, v15
	v_add_nc_u32_e32 v16, 0x800, v14
	v_add_co_u32 v3, s1, v3, s6
	v_add_co_ci_u32_e64 v7, null, s7, v4, s1
	v_add_co_u32 v4, s1, s26, v5
	v_add_co_ci_u32_e64 v5, null, s27, v6, s1
	;; [unrolled: 2-line block ×3, first 2 shown]
	v_mov_b32_e32 v12, 0
	v_add_co_u32 v6, s1, s20, v3
	v_add_co_ci_u32_e64 v7, null, s21, v7, s1
	v_mov_b32_e32 v11, 0
	v_mov_b32_e32 v17, 0
	;; [unrolled: 1-line block ×7, first 2 shown]
	s_lshl_b64 s[4:5], s[4:5], 6
	s_mov_b64 s[6:7], 0
	s_xor_b32 s1, vcc_lo, -1
	s_xor_b32 s0, s0, -1
	s_branch .LBB249_3
.LBB249_2:                              ;   in Loop: Header=BB249_3 Depth=1
	s_or_b32 exec_lo, exec_lo, s20
	ds_write_b32 v16, v3 offset:4
	s_waitcnt lgkmcnt(0)
	s_barrier
	buffer_gl0_inv
	ds_read_b128 v[22:25], v10
	ds_read2_b64 v[26:29], v9 offset1:16
	ds_read_b128 v[30:33], v10 offset:1024
	ds_read_b128 v[34:37], v10 offset:16
	;; [unrolled: 1-line block ×4, first 2 shown]
	ds_read2_b64 v[46:49], v9 offset0:32 offset1:48
	ds_read_b128 v[50:53], v10 offset:1040
	s_add_u32 s6, s6, 8
	s_addc_u32 s7, s7, 0
	v_add_co_u32 v4, vcc_lo, v4, s4
	v_cmp_lt_i64_e64 s20, s[6:7], s[16:17]
	v_add_co_ci_u32_e64 v5, null, s5, v5, vcc_lo
	v_add_co_u32 v6, vcc_lo, v6, 64
	v_add_co_ci_u32_e64 v7, null, 0, v7, vcc_lo
	s_and_b32 vcc_lo, exec_lo, s20
	s_waitcnt lgkmcnt(6)
	v_mul_f32_e32 v3, v23, v27
	v_mul_f32_e32 v54, v22, v27
	;; [unrolled: 1-line block ×4, first 2 shown]
	s_waitcnt lgkmcnt(5)
	v_mul_f32_e32 v57, v31, v27
	v_mul_f32_e32 v27, v30, v27
	;; [unrolled: 1-line block ×3, first 2 shown]
	v_fma_f32 v3, v22, v26, -v3
	v_fmac_f32_e32 v54, v23, v26
	v_fma_f32 v22, v22, v28, -v55
	v_fmac_f32_e32 v56, v23, v28
	;; [unrolled: 2-line block ×3, first 2 shown]
	v_mul_f32_e32 v29, v30, v29
	v_fma_f32 v26, v30, v28, -v58
	v_add_f32_e32 v3, v20, v3
	v_add_f32_e32 v22, v18, v22
	;; [unrolled: 1-line block ×5, first 2 shown]
	s_waitcnt lgkmcnt(1)
	v_mul_f32_e32 v27, v25, v47
	ds_read2_b64 v[17:20], v9 offset0:64 offset1:80
	v_fmac_f32_e32 v29, v31, v28
	v_mul_f32_e32 v28, v25, v49
	v_add_f32_e32 v11, v11, v26
	v_fma_f32 v27, v24, v46, -v27
	v_mul_f32_e32 v26, v24, v47
	v_add_f32_e32 v12, v12, v29
	v_mul_f32_e32 v29, v24, v49
	v_fma_f32 v24, v24, v48, -v28
	v_add_f32_e32 v3, v3, v27
	v_mul_f32_e32 v27, v33, v47
	v_add_f32_e32 v21, v21, v54
	v_fmac_f32_e32 v26, v25, v46
	v_fmac_f32_e32 v29, v25, v48
	v_add_f32_e32 v25, v22, v24
	v_fma_f32 v22, v32, v46, -v27
	v_mul_f32_e32 v24, v33, v49
	v_add_f32_e32 v26, v21, v26
	v_mul_f32_e32 v21, v32, v47
	v_add_f32_e32 v27, v30, v29
	v_add_f32_e32 v14, v14, v22
	v_fma_f32 v22, v32, v48, -v24
	s_waitcnt lgkmcnt(0)
	v_mul_f32_e32 v24, v35, v18
	v_fmac_f32_e32 v21, v33, v46
	v_mul_f32_e32 v28, v32, v49
	v_mul_f32_e32 v30, v34, v18
	;; [unrolled: 1-line block ×3, first 2 shown]
	v_fma_f32 v31, v34, v17, -v24
	v_add_f32_e32 v29, v23, v21
	v_add_f32_e32 v11, v11, v22
	ds_read2_b64 v[21:24], v9 offset0:96 offset1:112
	v_fmac_f32_e32 v30, v35, v17
	v_add_f32_e32 v3, v3, v31
	v_fma_f32 v31, v34, v19, -v32
	v_fmac_f32_e32 v28, v33, v48
	v_mul_f32_e32 v32, v50, v20
	v_add_f32_e32 v26, v26, v30
	v_mul_f32_e32 v30, v51, v18
	v_mul_f32_e32 v18, v50, v18
	v_add_f32_e32 v25, v25, v31
	v_mul_f32_e32 v31, v51, v20
	v_add_f32_e32 v12, v12, v28
	v_mul_f32_e32 v28, v34, v20
	v_fma_f32 v30, v50, v17, -v30
	v_fmac_f32_e32 v18, v51, v17
	v_fma_f32 v17, v50, v19, -v31
	v_fmac_f32_e32 v32, v51, v19
	v_fmac_f32_e32 v28, v35, v19
	v_add_f32_e32 v14, v14, v30
	v_add_f32_e32 v29, v29, v18
	;; [unrolled: 1-line block ×3, first 2 shown]
	ds_read2_b64 v[17:20], v9 offset0:128 offset1:144
	v_add_f32_e32 v33, v27, v28
	s_waitcnt lgkmcnt(1)
	v_mul_f32_e32 v27, v37, v22
	v_mul_f32_e32 v28, v36, v22
	;; [unrolled: 1-line block ×4, first 2 shown]
	v_add_f32_e32 v12, v12, v32
	v_fma_f32 v27, v36, v21, -v27
	v_fmac_f32_e32 v28, v37, v21
	v_fma_f32 v30, v36, v23, -v30
	v_fmac_f32_e32 v31, v37, v23
	v_mul_f32_e32 v32, v53, v24
	v_add_f32_e32 v3, v3, v27
	v_mul_f32_e32 v27, v53, v22
	v_mul_f32_e32 v22, v52, v22
	v_add_f32_e32 v34, v26, v28
	v_add_f32_e32 v35, v25, v30
	;; [unrolled: 1-line block ×3, first 2 shown]
	v_fma_f32 v30, v52, v21, -v27
	ds_read_b128 v[25:28], v10 offset:1056
	v_fmac_f32_e32 v22, v53, v21
	v_mul_f32_e32 v31, v52, v24
	v_fma_f32 v21, v52, v23, -v32
	s_waitcnt lgkmcnt(1)
	v_mul_f32_e32 v24, v39, v18
	v_add_f32_e32 v14, v14, v30
	v_add_f32_e32 v36, v29, v22
	v_fmac_f32_e32 v31, v53, v23
	v_add_f32_e32 v11, v11, v21
	v_fma_f32 v29, v38, v17, -v24
	ds_read2_b64 v[21:24], v9 offset0:160 offset1:176
	v_mul_f32_e32 v37, v38, v18
	v_mul_f32_e32 v30, v39, v20
	v_add_f32_e32 v12, v12, v31
	v_add_f32_e32 v3, v3, v29
	v_mul_f32_e32 v46, v38, v20
	v_fmac_f32_e32 v37, v39, v17
	v_fma_f32 v38, v38, v19, -v30
	ds_read_b128 v[29:32], v10 offset:1072
	s_waitcnt lgkmcnt(2)
	v_mul_f32_e32 v47, v26, v18
	v_mul_f32_e32 v18, v25, v18
	v_add_f32_e32 v34, v34, v37
	v_fmac_f32_e32 v46, v39, v19
	v_add_f32_e32 v35, v35, v38
	v_fma_f32 v37, v25, v17, -v47
	v_mul_f32_e32 v38, v26, v20
	v_fmac_f32_e32 v18, v26, v17
	v_mul_f32_e32 v39, v25, v20
	v_add_f32_e32 v33, v33, v46
	s_waitcnt lgkmcnt(1)
	v_mul_f32_e32 v20, v41, v22
	v_add_f32_e32 v14, v14, v37
	v_fma_f32 v17, v25, v19, -v38
	v_add_f32_e32 v25, v36, v18
	v_fmac_f32_e32 v39, v26, v19
	v_mul_f32_e32 v26, v40, v22
	v_fma_f32 v36, v40, v21, -v20
	v_mul_f32_e32 v37, v41, v24
	v_add_f32_e32 v11, v11, v17
	ds_read2_b64 v[17:20], v9 offset0:192 offset1:208
	v_fmac_f32_e32 v26, v41, v21
	v_add_f32_e32 v3, v3, v36
	v_mul_f32_e32 v36, v40, v24
	v_fma_f32 v37, v40, v23, -v37
	v_add_f32_e32 v12, v12, v39
	v_add_f32_e32 v26, v34, v26
	v_mul_f32_e32 v34, v28, v22
	v_mul_f32_e32 v22, v27, v22
	v_fmac_f32_e32 v36, v41, v23
	v_add_f32_e32 v35, v35, v37
	v_mul_f32_e32 v37, v28, v24
	v_fma_f32 v34, v27, v21, -v34
	v_fmac_f32_e32 v22, v28, v21
	v_add_f32_e32 v21, v33, v36
	v_mul_f32_e32 v33, v27, v24
	v_fma_f32 v24, v27, v23, -v37
	v_add_f32_e32 v14, v14, v34
	v_add_f32_e32 v27, v25, v22
	v_fmac_f32_e32 v33, v28, v23
	v_add_f32_e32 v11, v11, v24
	ds_read2_b64 v[22:25], v9 offset0:224 offset1:240
	s_waitcnt lgkmcnt(1)
	v_mul_f32_e32 v34, v43, v18
	v_mul_f32_e32 v28, v42, v18
	v_add_f32_e32 v12, v12, v33
	v_mul_f32_e32 v33, v43, v20
	v_mul_f32_e32 v36, v42, v20
	v_fma_f32 v34, v42, v17, -v34
	v_fmac_f32_e32 v28, v43, v17
	s_waitcnt lgkmcnt(0)
	v_fma_f32 v33, v42, v19, -v33
	v_fmac_f32_e32 v36, v43, v19
	v_add_f32_e32 v3, v3, v34
	v_mul_f32_e32 v34, v30, v18
	v_mul_f32_e32 v18, v29, v18
	v_add_f32_e32 v26, v26, v28
	v_add_f32_e32 v33, v35, v33
	;; [unrolled: 1-line block ×3, first 2 shown]
	v_fma_f32 v28, v29, v17, -v34
	v_mul_f32_e32 v34, v30, v20
	v_fmac_f32_e32 v18, v30, v17
	v_mul_f32_e32 v17, v29, v20
	v_mul_f32_e32 v21, v45, v23
	v_add_f32_e32 v14, v14, v28
	v_fma_f32 v20, v29, v19, -v34
	v_add_f32_e32 v27, v27, v18
	v_fmac_f32_e32 v17, v30, v19
	v_fma_f32 v18, v44, v22, -v21
	v_mul_f32_e32 v19, v45, v25
	v_mul_f32_e32 v28, v44, v23
	v_add_f32_e32 v11, v11, v20
	v_mul_f32_e32 v29, v44, v25
	v_add_f32_e32 v12, v12, v17
	v_add_f32_e32 v20, v3, v18
	v_fma_f32 v3, v44, v24, -v19
	v_mul_f32_e32 v17, v32, v23
	v_mul_f32_e32 v23, v31, v23
	;; [unrolled: 1-line block ×4, first 2 shown]
	v_fmac_f32_e32 v28, v45, v22
	v_fmac_f32_e32 v29, v45, v24
	v_add_f32_e32 v18, v33, v3
	v_fma_f32 v3, v31, v22, -v17
	v_fmac_f32_e32 v23, v32, v22
	v_fma_f32 v22, v31, v24, -v19
	v_fmac_f32_e32 v25, v32, v24
	v_add_f32_e32 v21, v26, v28
	v_add_f32_e32 v19, v35, v29
	;; [unrolled: 1-line block ×6, first 2 shown]
	s_barrier
	buffer_gl0_inv
	s_cbranch_vccz .LBB249_11
.LBB249_3:                              ; =>This Inner Loop Header: Depth=1
	v_add_co_u32 v22, s20, v13, s6
	v_add_co_ci_u32_e64 v23, null, 0, s7, s20
	v_cmp_le_i64_e32 vcc_lo, s[16:17], v[22:23]
	s_or_b32 s20, s1, vcc_lo
	s_and_saveexec_b32 s21, s20
	s_xor_b32 s20, exec_lo, s21
; %bb.4:                                ;   in Loop: Header=BB249_3 Depth=1
	v_mov_b32_e32 v3, v2
	ds_write_b64 v15, v[2:3]
; %bb.5:                                ;   in Loop: Header=BB249_3 Depth=1
	s_andn2_saveexec_b32 s20, s20
	s_cbranch_execz .LBB249_7
; %bb.6:                                ;   in Loop: Header=BB249_3 Depth=1
	flat_load_dwordx2 v[22:23], v[6:7]
	s_waitcnt vmcnt(0) lgkmcnt(0)
	ds_write_b64 v15, v[22:23]
.LBB249_7:                              ;   in Loop: Header=BB249_3 Depth=1
	s_or_b32 exec_lo, exec_lo, s20
	v_add_co_u32 v22, s20, v8, s6
	v_add_co_ci_u32_e64 v23, null, 0, s7, s20
	v_cmp_le_i64_e32 vcc_lo, s[16:17], v[22:23]
	s_or_b32 s20, vcc_lo, s0
	s_and_saveexec_b32 s21, s20
	s_xor_b32 s20, exec_lo, s21
; %bb.8:                                ;   in Loop: Header=BB249_3 Depth=1
	ds_write_b32 v16, v2
; %bb.9:                                ;   in Loop: Header=BB249_3 Depth=1
	s_or_saveexec_b32 s20, s20
	v_mov_b32_e32 v3, 0
	s_xor_b32 exec_lo, exec_lo, s20
	s_cbranch_execz .LBB249_2
; %bb.10:                               ;   in Loop: Header=BB249_3 Depth=1
	flat_load_dwordx2 v[22:23], v[4:5]
	s_waitcnt vmcnt(0) lgkmcnt(0)
	v_xor_b32_e32 v3, 0x80000000, v23
	ds_write_b32 v16, v22
	s_branch .LBB249_2
.LBB249_11:
	v_add_co_u32 v1, s4, s36, v1
	v_add_co_ci_u32_e64 v2, null, s37, 0, s4
	s_lshl_b64 s[0:1], s[30:31], 3
	s_waitcnt lgkmcnt(0)
	s_add_u32 s4, s2, s0
	s_addc_u32 s3, s3, s1
	s_or_b32 s1, s8, s9
	v_cmp_gt_i64_e64 s0, s[14:15], v[1:2]
	s_bitset0_b32 s1, 31
	s_cmp_lg_u32 s1, 0
	s_mov_b32 s1, -1
	s_cbranch_scc1 .LBB249_23
; %bb.12:
	s_and_saveexec_b32 s5, s0
	s_cbranch_execz .LBB249_22
; %bb.13:
	v_mul_lo_u32 v5, v2, s28
	v_mul_lo_u32 v6, v1, s29
	v_mad_u64_u32 v[3:4], null, v1, s28, 0
	v_add3_u32 v4, v4, v6, v5
	v_add_co_u32 v5, s1, s34, v0
	v_add_co_ci_u32_e64 v6, null, s35, 0, s1
	v_lshlrev_b64 v[7:8], 3, v[3:4]
	v_cmp_gt_i64_e32 vcc_lo, s[12:13], v[5:6]
	v_lshlrev_b64 v[3:4], 3, v[5:6]
	v_add_co_u32 v7, s1, s4, v7
	v_add_co_ci_u32_e64 v8, null, s3, v8, s1
	s_and_saveexec_b32 s2, vcc_lo
	s_cbranch_execz .LBB249_15
; %bb.14:
	v_mul_f32_e32 v9, s19, v21
	v_mul_f32_e32 v10, s18, v21
	v_add_co_u32 v15, s1, v7, v3
	v_add_co_ci_u32_e64 v16, null, v8, v4, s1
	v_fma_f32 v9, v20, s18, -v9
	v_fmac_f32_e32 v10, s19, v20
	flat_store_dwordx2 v[15:16], v[9:10]
.LBB249_15:
	s_or_b32 exec_lo, exec_lo, s2
	v_add_co_u32 v5, s1, v5, 16
	v_add_co_ci_u32_e64 v6, null, 0, v6, s1
	v_cmp_gt_i64_e64 s1, s[12:13], v[5:6]
	s_and_saveexec_b32 s6, s1
	s_cbranch_execz .LBB249_17
; %bb.16:
	v_mul_f32_e32 v5, s19, v19
	v_mul_f32_e32 v6, s18, v19
	v_add_co_u32 v9, s2, v7, v3
	v_add_co_ci_u32_e64 v10, null, v8, v4, s2
	v_fma_f32 v5, v18, s18, -v5
	v_fmac_f32_e32 v6, s19, v18
	flat_store_dwordx2 v[9:10], v[5:6] offset:128
.LBB249_17:
	s_or_b32 exec_lo, exec_lo, s6
	v_add_co_u32 v5, s2, v1, 16
	v_add_co_ci_u32_e64 v6, null, 0, v2, s2
	v_cmp_gt_i64_e64 s2, s[14:15], v[5:6]
	s_and_b32 exec_lo, exec_lo, s2
	s_cbranch_execz .LBB249_22
; %bb.18:
	s_lshl_b64 s[6:7], s[28:29], 7
	v_add_co_u32 v5, s2, v7, s6
	v_add_co_ci_u32_e64 v6, null, s7, v8, s2
	v_add_co_u32 v3, s2, v5, v3
	v_add_co_ci_u32_e64 v4, null, v6, v4, s2
	s_and_saveexec_b32 s2, vcc_lo
	s_cbranch_execz .LBB249_20
; %bb.19:
	v_mul_f32_e32 v5, s19, v17
	v_mul_f32_e32 v6, s18, v17
	v_fma_f32 v5, v14, s18, -v5
	v_fmac_f32_e32 v6, s19, v14
	flat_store_dwordx2 v[3:4], v[5:6]
.LBB249_20:
	s_or_b32 exec_lo, exec_lo, s2
	s_and_b32 exec_lo, exec_lo, s1
	s_cbranch_execz .LBB249_22
; %bb.21:
	v_mul_f32_e32 v5, s19, v12
	v_mul_f32_e32 v6, s18, v12
	v_fma_f32 v5, v11, s18, -v5
	v_fmac_f32_e32 v6, s19, v11
	flat_store_dwordx2 v[3:4], v[5:6] offset:128
.LBB249_22:
	s_or_b32 exec_lo, exec_lo, s5
	s_mov_b32 s1, 0
.LBB249_23:
	s_andn2_b32 vcc_lo, exec_lo, s1
	s_cbranch_vccnz .LBB249_34
; %bb.24:
	s_and_saveexec_b32 s1, s0
	s_cbranch_execz .LBB249_34
; %bb.25:
	v_mul_lo_u32 v5, v2, s38
	v_mul_lo_u32 v6, v1, s39
	v_mad_u64_u32 v[3:4], null, v1, s38, 0
	v_mul_lo_u32 v9, v2, s28
	v_mul_lo_u32 v10, v1, s29
	v_mad_u64_u32 v[7:8], null, v1, s28, 0
	s_lshl_b64 s[0:1], s[40:41], 3
	v_add3_u32 v4, v4, v6, v5
	v_add_co_u32 v5, s2, s34, v0
	v_add_co_ci_u32_e64 v6, null, s35, 0, s2
	v_add3_u32 v8, v8, v10, v9
	v_lshlrev_b64 v[3:4], 3, v[3:4]
	s_add_u32 s0, s10, s0
	s_addc_u32 s1, s11, s1
	v_cmp_gt_i64_e32 vcc_lo, s[12:13], v[5:6]
	v_lshlrev_b64 v[8:9], 3, v[7:8]
	v_add_co_u32 v0, s0, s0, v3
	v_add_co_ci_u32_e64 v7, null, s1, v4, s0
	v_add_co_u32 v8, s0, s4, v8
	v_lshlrev_b64 v[3:4], 3, v[5:6]
	v_add_co_ci_u32_e64 v9, null, s3, v9, s0
	s_and_saveexec_b32 s1, vcc_lo
	s_cbranch_execz .LBB249_27
; %bb.26:
	v_add_co_u32 v15, s0, v0, v3
	v_add_co_ci_u32_e64 v16, null, v7, v4, s0
	v_mul_f32_e32 v10, s19, v21
	v_mul_f32_e32 v13, s18, v21
	flat_load_dwordx2 v[15:16], v[15:16]
	v_fma_f32 v10, v20, s18, -v10
	v_fmac_f32_e32 v13, s19, v20
	s_waitcnt vmcnt(0) lgkmcnt(0)
	v_mul_f32_e32 v21, s9, v16
	v_mul_f32_e32 v16, s8, v16
	v_fma_f32 v20, v15, s8, -v21
	v_fmac_f32_e32 v16, s9, v15
	v_add_f32_e32 v15, v10, v20
	v_add_co_u32 v20, s0, v8, v3
	v_add_f32_e32 v16, v13, v16
	v_add_co_ci_u32_e64 v21, null, v9, v4, s0
	flat_store_dwordx2 v[20:21], v[15:16]
.LBB249_27:
	s_or_b32 exec_lo, exec_lo, s1
	v_add_co_u32 v5, s0, v5, 16
	v_add_co_ci_u32_e64 v6, null, 0, v6, s0
	v_cmp_gt_i64_e64 s0, s[12:13], v[5:6]
	s_and_saveexec_b32 s2, s0
	s_cbranch_execz .LBB249_29
; %bb.28:
	v_add_co_u32 v5, s1, v0, v3
	v_add_co_ci_u32_e64 v6, null, v7, v4, s1
	v_mul_f32_e32 v10, s19, v19
	v_mul_f32_e32 v13, s18, v19
	flat_load_dwordx2 v[5:6], v[5:6] offset:128
	v_fma_f32 v10, v18, s18, -v10
	v_fmac_f32_e32 v13, s19, v18
	s_waitcnt vmcnt(0) lgkmcnt(0)
	v_mul_f32_e32 v15, s9, v6
	v_mul_f32_e32 v6, s8, v6
	v_fma_f32 v15, v5, s8, -v15
	v_fmac_f32_e32 v6, s9, v5
	v_add_f32_e32 v5, v10, v15
	v_add_co_u32 v15, s1, v8, v3
	v_add_f32_e32 v6, v13, v6
	v_add_co_ci_u32_e64 v16, null, v9, v4, s1
	flat_store_dwordx2 v[15:16], v[5:6] offset:128
.LBB249_29:
	s_or_b32 exec_lo, exec_lo, s2
	v_add_co_u32 v1, s1, v1, 16
	v_add_co_ci_u32_e64 v2, null, 0, v2, s1
	v_cmp_gt_i64_e64 s1, s[14:15], v[1:2]
	s_and_b32 exec_lo, exec_lo, s1
	s_cbranch_execz .LBB249_34
; %bb.30:
	s_lshl_b64 s[2:3], s[38:39], 7
	v_add_co_u32 v0, s1, v0, s2
	v_add_co_ci_u32_e64 v1, null, s3, v7, s1
	s_lshl_b64 s[2:3], s[28:29], 7
	v_add_co_u32 v2, s1, v8, s2
	v_add_co_ci_u32_e64 v7, null, s3, v9, s1
	v_add_co_u32 v5, s1, v0, v3
	v_add_co_ci_u32_e64 v6, null, v1, v4, s1
	;; [unrolled: 2-line block ×3, first 2 shown]
	s_and_saveexec_b32 s1, vcc_lo
	s_cbranch_execz .LBB249_32
; %bb.31:
	flat_load_dwordx2 v[2:3], v[5:6]
	v_mul_f32_e32 v4, s19, v17
	v_mul_f32_e32 v7, s18, v17
	v_fma_f32 v4, v14, s18, -v4
	v_fmac_f32_e32 v7, s19, v14
	s_waitcnt vmcnt(0) lgkmcnt(0)
	v_mul_f32_e32 v8, s9, v3
	v_mul_f32_e32 v3, s8, v3
	v_fma_f32 v8, v2, s8, -v8
	v_fmac_f32_e32 v3, s9, v2
	v_add_f32_e32 v2, v4, v8
	v_add_f32_e32 v3, v7, v3
	flat_store_dwordx2 v[0:1], v[2:3]
.LBB249_32:
	s_or_b32 exec_lo, exec_lo, s1
	s_and_b32 exec_lo, exec_lo, s0
	s_cbranch_execz .LBB249_34
; %bb.33:
	flat_load_dwordx2 v[2:3], v[5:6] offset:128
	v_mul_f32_e32 v4, s19, v12
	v_mul_f32_e32 v5, s18, v12
	v_fma_f32 v4, v11, s18, -v4
	v_fmac_f32_e32 v5, s19, v11
	s_waitcnt vmcnt(0) lgkmcnt(0)
	v_mul_f32_e32 v6, s9, v3
	v_mul_f32_e32 v3, s8, v3
	v_fma_f32 v6, v2, s8, -v6
	v_fmac_f32_e32 v3, s9, v2
	v_add_f32_e32 v2, v4, v6
	v_add_f32_e32 v3, v5, v3
	flat_store_dwordx2 v[0:1], v[2:3] offset:128
.LBB249_34:
	s_endpgm
	.section	.rodata,"a",@progbits
	.p2align	6, 0x0
	.amdhsa_kernel _ZN12_GLOBAL__N_135rocblas_gemm_batched_general_kernelI19rocblas_complex_numIfELi16ELi16ELi32ELi32ELi8ELi32ELi8ELi8ELi32ELc84ELc67EKPKS2_S5_KPS2_EEvlllT_PT11_llSA_llS8_PT12_llPT13_lli
		.amdhsa_group_segment_fixed_size 4096
		.amdhsa_private_segment_fixed_size 0
		.amdhsa_kernarg_size 140
		.amdhsa_user_sgpr_count 6
		.amdhsa_user_sgpr_private_segment_buffer 1
		.amdhsa_user_sgpr_dispatch_ptr 0
		.amdhsa_user_sgpr_queue_ptr 0
		.amdhsa_user_sgpr_kernarg_segment_ptr 1
		.amdhsa_user_sgpr_dispatch_id 0
		.amdhsa_user_sgpr_flat_scratch_init 0
		.amdhsa_user_sgpr_private_segment_size 0
		.amdhsa_wavefront_size32 1
		.amdhsa_uses_dynamic_stack 0
		.amdhsa_system_sgpr_private_segment_wavefront_offset 0
		.amdhsa_system_sgpr_workgroup_id_x 1
		.amdhsa_system_sgpr_workgroup_id_y 1
		.amdhsa_system_sgpr_workgroup_id_z 1
		.amdhsa_system_sgpr_workgroup_info 0
		.amdhsa_system_vgpr_workitem_id 1
		.amdhsa_next_free_vgpr 59
		.amdhsa_next_free_sgpr 46
		.amdhsa_reserve_vcc 1
		.amdhsa_reserve_flat_scratch 0
		.amdhsa_float_round_mode_32 0
		.amdhsa_float_round_mode_16_64 0
		.amdhsa_float_denorm_mode_32 3
		.amdhsa_float_denorm_mode_16_64 3
		.amdhsa_dx10_clamp 1
		.amdhsa_ieee_mode 1
		.amdhsa_fp16_overflow 0
		.amdhsa_workgroup_processor_mode 1
		.amdhsa_memory_ordered 1
		.amdhsa_forward_progress 1
		.amdhsa_shared_vgpr_count 0
		.amdhsa_exception_fp_ieee_invalid_op 0
		.amdhsa_exception_fp_denorm_src 0
		.amdhsa_exception_fp_ieee_div_zero 0
		.amdhsa_exception_fp_ieee_overflow 0
		.amdhsa_exception_fp_ieee_underflow 0
		.amdhsa_exception_fp_ieee_inexact 0
		.amdhsa_exception_int_div_zero 0
	.end_amdhsa_kernel
	.section	.text._ZN12_GLOBAL__N_135rocblas_gemm_batched_general_kernelI19rocblas_complex_numIfELi16ELi16ELi32ELi32ELi8ELi32ELi8ELi8ELi32ELc84ELc67EKPKS2_S5_KPS2_EEvlllT_PT11_llSA_llS8_PT12_llPT13_lli,"axG",@progbits,_ZN12_GLOBAL__N_135rocblas_gemm_batched_general_kernelI19rocblas_complex_numIfELi16ELi16ELi32ELi32ELi8ELi32ELi8ELi8ELi32ELc84ELc67EKPKS2_S5_KPS2_EEvlllT_PT11_llSA_llS8_PT12_llPT13_lli,comdat
.Lfunc_end249:
	.size	_ZN12_GLOBAL__N_135rocblas_gemm_batched_general_kernelI19rocblas_complex_numIfELi16ELi16ELi32ELi32ELi8ELi32ELi8ELi8ELi32ELc84ELc67EKPKS2_S5_KPS2_EEvlllT_PT11_llSA_llS8_PT12_llPT13_lli, .Lfunc_end249-_ZN12_GLOBAL__N_135rocblas_gemm_batched_general_kernelI19rocblas_complex_numIfELi16ELi16ELi32ELi32ELi8ELi32ELi8ELi8ELi32ELc84ELc67EKPKS2_S5_KPS2_EEvlllT_PT11_llSA_llS8_PT12_llPT13_lli
                                        ; -- End function
	.set _ZN12_GLOBAL__N_135rocblas_gemm_batched_general_kernelI19rocblas_complex_numIfELi16ELi16ELi32ELi32ELi8ELi32ELi8ELi8ELi32ELc84ELc67EKPKS2_S5_KPS2_EEvlllT_PT11_llSA_llS8_PT12_llPT13_lli.num_vgpr, 59
	.set _ZN12_GLOBAL__N_135rocblas_gemm_batched_general_kernelI19rocblas_complex_numIfELi16ELi16ELi32ELi32ELi8ELi32ELi8ELi8ELi32ELc84ELc67EKPKS2_S5_KPS2_EEvlllT_PT11_llSA_llS8_PT12_llPT13_lli.num_agpr, 0
	.set _ZN12_GLOBAL__N_135rocblas_gemm_batched_general_kernelI19rocblas_complex_numIfELi16ELi16ELi32ELi32ELi8ELi32ELi8ELi8ELi32ELc84ELc67EKPKS2_S5_KPS2_EEvlllT_PT11_llSA_llS8_PT12_llPT13_lli.numbered_sgpr, 46
	.set _ZN12_GLOBAL__N_135rocblas_gemm_batched_general_kernelI19rocblas_complex_numIfELi16ELi16ELi32ELi32ELi8ELi32ELi8ELi8ELi32ELc84ELc67EKPKS2_S5_KPS2_EEvlllT_PT11_llSA_llS8_PT12_llPT13_lli.num_named_barrier, 0
	.set _ZN12_GLOBAL__N_135rocblas_gemm_batched_general_kernelI19rocblas_complex_numIfELi16ELi16ELi32ELi32ELi8ELi32ELi8ELi8ELi32ELc84ELc67EKPKS2_S5_KPS2_EEvlllT_PT11_llSA_llS8_PT12_llPT13_lli.private_seg_size, 0
	.set _ZN12_GLOBAL__N_135rocblas_gemm_batched_general_kernelI19rocblas_complex_numIfELi16ELi16ELi32ELi32ELi8ELi32ELi8ELi8ELi32ELc84ELc67EKPKS2_S5_KPS2_EEvlllT_PT11_llSA_llS8_PT12_llPT13_lli.uses_vcc, 1
	.set _ZN12_GLOBAL__N_135rocblas_gemm_batched_general_kernelI19rocblas_complex_numIfELi16ELi16ELi32ELi32ELi8ELi32ELi8ELi8ELi32ELc84ELc67EKPKS2_S5_KPS2_EEvlllT_PT11_llSA_llS8_PT12_llPT13_lli.uses_flat_scratch, 0
	.set _ZN12_GLOBAL__N_135rocblas_gemm_batched_general_kernelI19rocblas_complex_numIfELi16ELi16ELi32ELi32ELi8ELi32ELi8ELi8ELi32ELc84ELc67EKPKS2_S5_KPS2_EEvlllT_PT11_llSA_llS8_PT12_llPT13_lli.has_dyn_sized_stack, 0
	.set _ZN12_GLOBAL__N_135rocblas_gemm_batched_general_kernelI19rocblas_complex_numIfELi16ELi16ELi32ELi32ELi8ELi32ELi8ELi8ELi32ELc84ELc67EKPKS2_S5_KPS2_EEvlllT_PT11_llSA_llS8_PT12_llPT13_lli.has_recursion, 0
	.set _ZN12_GLOBAL__N_135rocblas_gemm_batched_general_kernelI19rocblas_complex_numIfELi16ELi16ELi32ELi32ELi8ELi32ELi8ELi8ELi32ELc84ELc67EKPKS2_S5_KPS2_EEvlllT_PT11_llSA_llS8_PT12_llPT13_lli.has_indirect_call, 0
	.section	.AMDGPU.csdata,"",@progbits
; Kernel info:
; codeLenInByte = 3008
; TotalNumSgprs: 48
; NumVgprs: 59
; ScratchSize: 0
; MemoryBound: 1
; FloatMode: 240
; IeeeMode: 1
; LDSByteSize: 4096 bytes/workgroup (compile time only)
; SGPRBlocks: 0
; VGPRBlocks: 7
; NumSGPRsForWavesPerEU: 48
; NumVGPRsForWavesPerEU: 59
; Occupancy: 16
; WaveLimiterHint : 1
; COMPUTE_PGM_RSRC2:SCRATCH_EN: 0
; COMPUTE_PGM_RSRC2:USER_SGPR: 6
; COMPUTE_PGM_RSRC2:TRAP_HANDLER: 0
; COMPUTE_PGM_RSRC2:TGID_X_EN: 1
; COMPUTE_PGM_RSRC2:TGID_Y_EN: 1
; COMPUTE_PGM_RSRC2:TGID_Z_EN: 1
; COMPUTE_PGM_RSRC2:TIDIG_COMP_CNT: 1
	.section	.text._ZN12_GLOBAL__N_120gemm_ex_scale_kernelILi32ELi32E19rocblas_complex_numIdEPKPKS2_PKPS2_EEviiT1_T2_lllT3_llli,"axG",@progbits,_ZN12_GLOBAL__N_120gemm_ex_scale_kernelILi32ELi32E19rocblas_complex_numIdEPKPKS2_PKPS2_EEviiT1_T2_lllT3_llli,comdat
	.globl	_ZN12_GLOBAL__N_120gemm_ex_scale_kernelILi32ELi32E19rocblas_complex_numIdEPKPKS2_PKPS2_EEviiT1_T2_lllT3_llli ; -- Begin function _ZN12_GLOBAL__N_120gemm_ex_scale_kernelILi32ELi32E19rocblas_complex_numIdEPKPKS2_PKPS2_EEviiT1_T2_lllT3_llli
	.p2align	8
	.type	_ZN12_GLOBAL__N_120gemm_ex_scale_kernelILi32ELi32E19rocblas_complex_numIdEPKPKS2_PKPS2_EEviiT1_T2_lllT3_llli,@function
_ZN12_GLOBAL__N_120gemm_ex_scale_kernelILi32ELi32E19rocblas_complex_numIdEPKPKS2_PKPS2_EEviiT1_T2_lllT3_llli: ; @_ZN12_GLOBAL__N_120gemm_ex_scale_kernelILi32ELi32E19rocblas_complex_numIdEPKPKS2_PKPS2_EEviiT1_T2_lllT3_llli
; %bb.0:
	s_clause 0x1
	s_load_dwordx8 s[12:19], s[4:5], 0x8
	s_load_dwordx2 s[10:11], s[4:5], 0x28
	s_mov_b64 s[20:21], 0
	s_mov_b32 s9, 0
	s_waitcnt lgkmcnt(0)
	v_cmp_eq_f64_e64 s0, s[12:13], 0
	v_cmp_eq_f64_e64 s1, s[14:15], 0
	s_and_b32 s22, s0, s1
	s_and_b32 vcc_lo, exec_lo, s22
	s_cbranch_vccnz .LBB250_2
; %bb.1:
	s_lshl_b64 s[0:1], s[8:9], 3
	s_add_u32 s0, s16, s0
	s_addc_u32 s1, s17, s1
	s_lshl_b64 s[2:3], s[18:19], 4
	s_load_dwordx2 s[0:1], s[0:1], 0x0
	s_waitcnt lgkmcnt(0)
	s_add_u32 s20, s0, s2
	s_addc_u32 s21, s1, s3
.LBB250_2:
	s_load_dwordx2 s[0:1], s[4:5], 0x0
	v_lshl_add_u32 v4, s6, 5, v0
	v_lshl_add_u32 v6, s7, 5, v1
	s_waitcnt lgkmcnt(0)
	v_cmp_gt_u32_e32 vcc_lo, s0, v4
	v_cmp_gt_u32_e64 s0, s1, v6
	s_and_b32 s0, vcc_lo, s0
	s_and_saveexec_b32 s1, s0
	s_cbranch_execz .LBB250_9
; %bb.3:
	s_load_dwordx4 s[0:3], s[4:5], 0x38
	s_lshl_b64 s[6:7], s[8:9], 3
	s_load_dwordx2 s[4:5], s[4:5], 0x48
	v_mov_b32_e32 v5, 0
	s_waitcnt lgkmcnt(0)
	s_add_u32 s0, s0, s6
	s_addc_u32 s1, s1, s7
	s_andn2_b32 vcc_lo, exec_lo, s22
	s_load_dwordx2 s[0:1], s[0:1], 0x0
	s_cbranch_vccnz .LBB250_5
; %bb.4:
	s_mov_b32 s6, 0
	s_branch .LBB250_6
.LBB250_5:
	s_mov_b32 s6, -1
.LBB250_6:
	v_mov_b32_e32 v2, 0
	v_mov_b32_e32 v0, 0
	;; [unrolled: 1-line block ×4, first 2 shown]
	s_andn2_b32 vcc_lo, exec_lo, s6
	s_cbranch_vccnz .LBB250_8
; %bb.7:
	v_mad_u64_u32 v[0:1], null, s10, v6, 0
	v_mad_u64_u32 v[1:2], null, s11, v6, v[1:2]
	v_lshlrev_b64 v[2:3], 4, v[4:5]
	v_lshlrev_b64 v[0:1], 4, v[0:1]
	v_add_co_u32 v0, vcc_lo, s20, v0
	v_add_co_ci_u32_e64 v1, null, s21, v1, vcc_lo
	v_add_co_u32 v0, vcc_lo, v0, v2
	v_add_co_ci_u32_e64 v1, null, v1, v3, vcc_lo
	flat_load_dwordx4 v[7:10], v[0:1]
	s_waitcnt vmcnt(0) lgkmcnt(0)
	v_mul_f64 v[0:1], s[14:15], v[9:10]
	v_mul_f64 v[2:3], s[12:13], v[9:10]
	v_fma_f64 v[0:1], s[12:13], v[7:8], -v[0:1]
	v_fma_f64 v[2:3], s[14:15], v[7:8], v[2:3]
.LBB250_8:
	v_mad_u64_u32 v[7:8], null, s4, v6, 0
	s_lshl_b64 s[2:3], s[2:3], 4
	v_lshlrev_b64 v[4:5], 4, v[4:5]
	s_waitcnt lgkmcnt(0)
	s_add_u32 s0, s0, s2
	s_addc_u32 s1, s1, s3
	v_mad_u64_u32 v[8:9], null, s5, v6, v[8:9]
	v_lshlrev_b64 v[6:7], 4, v[7:8]
	v_add_co_u32 v6, vcc_lo, s0, v6
	v_add_co_ci_u32_e64 v7, null, s1, v7, vcc_lo
	v_add_co_u32 v4, vcc_lo, v6, v4
	v_add_co_ci_u32_e64 v5, null, v7, v5, vcc_lo
	flat_store_dwordx4 v[4:5], v[0:3]
.LBB250_9:
	s_endpgm
	.section	.rodata,"a",@progbits
	.p2align	6, 0x0
	.amdhsa_kernel _ZN12_GLOBAL__N_120gemm_ex_scale_kernelILi32ELi32E19rocblas_complex_numIdEPKPKS2_PKPS2_EEviiT1_T2_lllT3_llli
		.amdhsa_group_segment_fixed_size 0
		.amdhsa_private_segment_fixed_size 0
		.amdhsa_kernarg_size 92
		.amdhsa_user_sgpr_count 6
		.amdhsa_user_sgpr_private_segment_buffer 1
		.amdhsa_user_sgpr_dispatch_ptr 0
		.amdhsa_user_sgpr_queue_ptr 0
		.amdhsa_user_sgpr_kernarg_segment_ptr 1
		.amdhsa_user_sgpr_dispatch_id 0
		.amdhsa_user_sgpr_flat_scratch_init 0
		.amdhsa_user_sgpr_private_segment_size 0
		.amdhsa_wavefront_size32 1
		.amdhsa_uses_dynamic_stack 0
		.amdhsa_system_sgpr_private_segment_wavefront_offset 0
		.amdhsa_system_sgpr_workgroup_id_x 1
		.amdhsa_system_sgpr_workgroup_id_y 1
		.amdhsa_system_sgpr_workgroup_id_z 1
		.amdhsa_system_sgpr_workgroup_info 0
		.amdhsa_system_vgpr_workitem_id 1
		.amdhsa_next_free_vgpr 11
		.amdhsa_next_free_sgpr 23
		.amdhsa_reserve_vcc 1
		.amdhsa_reserve_flat_scratch 0
		.amdhsa_float_round_mode_32 0
		.amdhsa_float_round_mode_16_64 0
		.amdhsa_float_denorm_mode_32 3
		.amdhsa_float_denorm_mode_16_64 3
		.amdhsa_dx10_clamp 1
		.amdhsa_ieee_mode 1
		.amdhsa_fp16_overflow 0
		.amdhsa_workgroup_processor_mode 1
		.amdhsa_memory_ordered 1
		.amdhsa_forward_progress 1
		.amdhsa_shared_vgpr_count 0
		.amdhsa_exception_fp_ieee_invalid_op 0
		.amdhsa_exception_fp_denorm_src 0
		.amdhsa_exception_fp_ieee_div_zero 0
		.amdhsa_exception_fp_ieee_overflow 0
		.amdhsa_exception_fp_ieee_underflow 0
		.amdhsa_exception_fp_ieee_inexact 0
		.amdhsa_exception_int_div_zero 0
	.end_amdhsa_kernel
	.section	.text._ZN12_GLOBAL__N_120gemm_ex_scale_kernelILi32ELi32E19rocblas_complex_numIdEPKPKS2_PKPS2_EEviiT1_T2_lllT3_llli,"axG",@progbits,_ZN12_GLOBAL__N_120gemm_ex_scale_kernelILi32ELi32E19rocblas_complex_numIdEPKPKS2_PKPS2_EEviiT1_T2_lllT3_llli,comdat
.Lfunc_end250:
	.size	_ZN12_GLOBAL__N_120gemm_ex_scale_kernelILi32ELi32E19rocblas_complex_numIdEPKPKS2_PKPS2_EEviiT1_T2_lllT3_llli, .Lfunc_end250-_ZN12_GLOBAL__N_120gemm_ex_scale_kernelILi32ELi32E19rocblas_complex_numIdEPKPKS2_PKPS2_EEviiT1_T2_lllT3_llli
                                        ; -- End function
	.set _ZN12_GLOBAL__N_120gemm_ex_scale_kernelILi32ELi32E19rocblas_complex_numIdEPKPKS2_PKPS2_EEviiT1_T2_lllT3_llli.num_vgpr, 11
	.set _ZN12_GLOBAL__N_120gemm_ex_scale_kernelILi32ELi32E19rocblas_complex_numIdEPKPKS2_PKPS2_EEviiT1_T2_lllT3_llli.num_agpr, 0
	.set _ZN12_GLOBAL__N_120gemm_ex_scale_kernelILi32ELi32E19rocblas_complex_numIdEPKPKS2_PKPS2_EEviiT1_T2_lllT3_llli.numbered_sgpr, 23
	.set _ZN12_GLOBAL__N_120gemm_ex_scale_kernelILi32ELi32E19rocblas_complex_numIdEPKPKS2_PKPS2_EEviiT1_T2_lllT3_llli.num_named_barrier, 0
	.set _ZN12_GLOBAL__N_120gemm_ex_scale_kernelILi32ELi32E19rocblas_complex_numIdEPKPKS2_PKPS2_EEviiT1_T2_lllT3_llli.private_seg_size, 0
	.set _ZN12_GLOBAL__N_120gemm_ex_scale_kernelILi32ELi32E19rocblas_complex_numIdEPKPKS2_PKPS2_EEviiT1_T2_lllT3_llli.uses_vcc, 1
	.set _ZN12_GLOBAL__N_120gemm_ex_scale_kernelILi32ELi32E19rocblas_complex_numIdEPKPKS2_PKPS2_EEviiT1_T2_lllT3_llli.uses_flat_scratch, 0
	.set _ZN12_GLOBAL__N_120gemm_ex_scale_kernelILi32ELi32E19rocblas_complex_numIdEPKPKS2_PKPS2_EEviiT1_T2_lllT3_llli.has_dyn_sized_stack, 0
	.set _ZN12_GLOBAL__N_120gemm_ex_scale_kernelILi32ELi32E19rocblas_complex_numIdEPKPKS2_PKPS2_EEviiT1_T2_lllT3_llli.has_recursion, 0
	.set _ZN12_GLOBAL__N_120gemm_ex_scale_kernelILi32ELi32E19rocblas_complex_numIdEPKPKS2_PKPS2_EEviiT1_T2_lllT3_llli.has_indirect_call, 0
	.section	.AMDGPU.csdata,"",@progbits
; Kernel info:
; codeLenInByte = 436
; TotalNumSgprs: 25
; NumVgprs: 11
; ScratchSize: 0
; MemoryBound: 0
; FloatMode: 240
; IeeeMode: 1
; LDSByteSize: 0 bytes/workgroup (compile time only)
; SGPRBlocks: 0
; VGPRBlocks: 1
; NumSGPRsForWavesPerEU: 25
; NumVGPRsForWavesPerEU: 11
; Occupancy: 16
; WaveLimiterHint : 1
; COMPUTE_PGM_RSRC2:SCRATCH_EN: 0
; COMPUTE_PGM_RSRC2:USER_SGPR: 6
; COMPUTE_PGM_RSRC2:TRAP_HANDLER: 0
; COMPUTE_PGM_RSRC2:TGID_X_EN: 1
; COMPUTE_PGM_RSRC2:TGID_Y_EN: 1
; COMPUTE_PGM_RSRC2:TGID_Z_EN: 1
; COMPUTE_PGM_RSRC2:TIDIG_COMP_CNT: 1
	.section	.text._ZN12_GLOBAL__N_127rocblas_gemm_batched_kernelI19rocblas_complex_numIdELi16ELi16ELi64ELi64ELi4ELi64ELi4ELi4ELi64ELc78ELc78EKPKS2_S5_KPS2_EEvlllT_PT11_llSA_llS8_PT12_llPT13_lli,"axG",@progbits,_ZN12_GLOBAL__N_127rocblas_gemm_batched_kernelI19rocblas_complex_numIdELi16ELi16ELi64ELi64ELi4ELi64ELi4ELi4ELi64ELc78ELc78EKPKS2_S5_KPS2_EEvlllT_PT11_llSA_llS8_PT12_llPT13_lli,comdat
	.globl	_ZN12_GLOBAL__N_127rocblas_gemm_batched_kernelI19rocblas_complex_numIdELi16ELi16ELi64ELi64ELi4ELi64ELi4ELi4ELi64ELc78ELc78EKPKS2_S5_KPS2_EEvlllT_PT11_llSA_llS8_PT12_llPT13_lli ; -- Begin function _ZN12_GLOBAL__N_127rocblas_gemm_batched_kernelI19rocblas_complex_numIdELi16ELi16ELi64ELi64ELi4ELi64ELi4ELi4ELi64ELc78ELc78EKPKS2_S5_KPS2_EEvlllT_PT11_llSA_llS8_PT12_llPT13_lli
	.p2align	8
	.type	_ZN12_GLOBAL__N_127rocblas_gemm_batched_kernelI19rocblas_complex_numIdELi16ELi16ELi64ELi64ELi4ELi64ELi4ELi4ELi64ELc78ELc78EKPKS2_S5_KPS2_EEvlllT_PT11_llSA_llS8_PT12_llPT13_lli,@function
_ZN12_GLOBAL__N_127rocblas_gemm_batched_kernelI19rocblas_complex_numIdELi16ELi16ELi64ELi64ELi4ELi64ELi4ELi4ELi64ELc78ELc78EKPKS2_S5_KPS2_EEvlllT_PT11_llSA_llS8_PT12_llPT13_lli: ; @_ZN12_GLOBAL__N_127rocblas_gemm_batched_kernelI19rocblas_complex_numIdELi16ELi16ELi64ELi64ELi4ELi64ELi4ELi4ELi64ELc78ELc78EKPKS2_S5_KPS2_EEvlllT_PT11_llSA_llS8_PT12_llPT13_lli
; %bb.0:
	s_clause 0x1
	s_load_dwordx16 s[12:27], s[4:5], 0x50
	s_load_dwordx16 s[36:51], s[4:5], 0x10
	s_mov_b32 s9, 0
	s_mov_b32 s28, s7
	s_lshl_b64 s[10:11], s[8:9], 3
	s_waitcnt lgkmcnt(0)
	s_add_u32 s0, s18, s10
	s_addc_u32 s1, s19, s11
	s_add_u32 s2, s24, s10
	s_addc_u32 s3, s25, s11
	s_load_dwordx2 s[0:1], s[0:1], 0x0
	s_load_dwordx2 s[2:3], s[2:3], 0x0
	v_cmp_lt_i64_e64 s8, s[36:37], 1
	s_ashr_i32 s7, s6, 31
	s_ashr_i32 s29, s28, 31
	s_lshl_b64 s[6:7], s[6:7], 6
	s_and_b32 vcc_lo, exec_lo, s8
	s_lshl_b64 s[8:9], s[28:29], 6
	s_cbranch_vccnz .LBB251_3
; %bb.1:
	v_lshl_add_u32 v4, v1, 4, v0
	v_and_b32_e32 v5, 3, v0
	s_add_u32 s18, s42, s10
	s_addc_u32 s19, s43, s11
	s_add_u32 s10, s48, s10
	v_lshrrev_b32_e32 v6, 2, v4
	v_lshrrev_b32_e32 v8, 6, v4
	v_and_b32_e32 v10, 63, v4
	v_lshlrev_b32_e32 v11, 4, v5
	s_load_dwordx2 s[18:19], s[18:19], 0x0
	v_add_co_u32 v7, s24, v6, s8
	v_mad_u64_u32 v[2:3], null, s44, v8, s[6:7]
	v_add_co_ci_u32_e64 v9, null, 0, s9, s24
	v_mad_u64_u32 v[4:5], null, s50, v7, 0
	v_mul_lo_u32 v12, s51, v7
	v_mul_lo_u32 v9, s50, v9
	v_lshl_or_b32 v14, v6, 6, v11
	s_addc_u32 s11, s49, s11
	v_add_co_u32 v2, vcc_lo, v2, v10
	v_mad_u64_u32 v[6:7], null, s45, v8, v[3:4]
	s_load_dwordx2 s[10:11], s[10:11], 0x0
	v_add3_u32 v5, v5, v9, v12
	s_lshl_b64 s[24:25], s[46:47], 4
	v_lshlrev_b32_e32 v13, 4, v10
	s_waitcnt lgkmcnt(0)
	s_add_u32 s18, s18, s24
	s_addc_u32 s19, s19, s25
	v_add_co_ci_u32_e64 v3, null, 0, v6, vcc_lo
	v_lshlrev_b64 v[4:5], 4, v[4:5]
	s_lshl_b64 s[12:13], s[12:13], 4
	v_lshl_or_b32 v90, v8, 10, v13
	v_lshlrev_b64 v[2:3], 4, v[2:3]
	v_add_nc_u32_e32 v91, 0x1000, v14
	v_mov_b32_e32 v76, 0
	v_add_co_u32 v4, vcc_lo, v4, s12
	v_add_co_ci_u32_e64 v5, null, s13, v5, vcc_lo
	v_add_co_u32 v26, vcc_lo, s18, v2
	v_add_co_ci_u32_e64 v27, null, s19, v3, vcc_lo
	;; [unrolled: 2-line block ×3, first 2 shown]
	v_mov_b32_e32 v74, 0
	v_add_co_u32 v28, vcc_lo, s10, v2
	v_mov_b32_e32 v12, 0
	v_mov_b32_e32 v10, 0
	;; [unrolled: 1-line block ×30, first 2 shown]
	v_lshlrev_b32_e32 v92, 4, v0
	v_lshl_add_u32 v93, v1, 6, 0x1000
	v_mov_b32_e32 v77, 0
	v_mov_b32_e32 v75, 0
	v_mov_b32_e32 v13, 0
	v_mov_b32_e32 v11, 0
	v_mov_b32_e32 v17, 0
	v_mov_b32_e32 v15, 0
	v_mov_b32_e32 v21, 0
	v_mov_b32_e32 v19, 0
	v_mov_b32_e32 v41, 0
	v_mov_b32_e32 v39, 0
	v_mov_b32_e32 v51, 0
	v_mov_b32_e32 v45, 0
	v_mov_b32_e32 v61, 0
	v_mov_b32_e32 v57, 0
	v_mov_b32_e32 v69, 0
	v_mov_b32_e32 v67, 0
	v_mov_b32_e32 v47, 0
	v_mov_b32_e32 v43, 0
	v_mov_b32_e32 v59, 0
	v_mov_b32_e32 v55, 0
	v_mov_b32_e32 v65, 0
	v_mov_b32_e32 v63, 0
	v_mov_b32_e32 v73, 0
	v_mov_b32_e32 v71, 0
	v_mov_b32_e32 v25, 0
	v_mov_b32_e32 v23, 0
	v_mov_b32_e32 v33, 0
	v_mov_b32_e32 v31, 0
	v_mov_b32_e32 v37, 0
	v_mov_b32_e32 v35, 0
	v_mov_b32_e32 v53, 0
	v_mov_b32_e32 v49, 0
	v_add_co_ci_u32_e64 v29, null, s11, v3, vcc_lo
	s_lshl_b64 s[10:11], s[44:45], 6
	s_mov_b64 s[12:13], 0
.LBB251_2:                              ; =>This Inner Loop Header: Depth=1
	flat_load_dwordx4 v[2:5], v[26:27]
	s_add_u32 s12, s12, 4
	s_addc_u32 s13, s13, 0
	v_add_co_u32 v26, vcc_lo, v26, s10
	v_cmp_lt_i64_e64 s18, s[12:13], s[36:37]
	v_add_co_ci_u32_e64 v27, null, s11, v27, vcc_lo
	s_waitcnt vmcnt(0) lgkmcnt(0)
	ds_write2_b64 v90, v[2:3], v[4:5] offset1:1
	flat_load_dwordx4 v[2:5], v[28:29]
	v_add_co_u32 v28, vcc_lo, v28, 64
	v_add_co_ci_u32_e64 v29, null, 0, v29, vcc_lo
	s_and_b32 vcc_lo, exec_lo, s18
	s_waitcnt vmcnt(0) lgkmcnt(0)
	ds_write2_b64 v91, v[2:3], v[4:5] offset1:1
	s_waitcnt lgkmcnt(0)
	s_barrier
	buffer_gl0_inv
	ds_read_b128 v[78:81], v93
	ds_read_b128 v[82:85], v93 offset:16
	ds_read_b128 v[6:9], v93 offset:32
	;; [unrolled: 1-line block ×3, first 2 shown]
	ds_read_b128 v[86:89], v92
	s_waitcnt lgkmcnt(0)
	v_mul_f64 v[94:95], v[80:81], v[88:89]
	v_mul_f64 v[96:97], v[78:79], v[88:89]
	v_fma_f64 v[94:95], v[78:79], v[86:87], -v[94:95]
	v_fma_f64 v[96:97], v[80:81], v[86:87], v[96:97]
	v_add_f64 v[98:99], v[48:49], v[94:95]
	v_add_f64 v[100:101], v[96:97], v[52:53]
	ds_read_b128 v[94:97], v92 offset:256
	s_waitcnt lgkmcnt(0)
	v_mul_f64 v[48:49], v[80:81], v[96:97]
	v_mul_f64 v[52:53], v[78:79], v[96:97]
	v_fma_f64 v[48:49], v[78:79], v[94:95], -v[48:49]
	v_fma_f64 v[52:53], v[80:81], v[94:95], v[52:53]
	v_add_f64 v[102:103], v[34:35], v[48:49]
	v_add_f64 v[104:105], v[52:53], v[36:37]
	ds_read_b128 v[34:37], v92 offset:512
	;; [unrolled: 8-line block ×4, first 2 shown]
	s_waitcnt lgkmcnt(0)
	v_mul_f64 v[48:49], v[24:25], v[88:89]
	v_mul_f64 v[52:53], v[22:23], v[88:89]
	v_fma_f64 v[48:49], v[22:23], v[86:87], -v[48:49]
	v_fma_f64 v[52:53], v[24:25], v[86:87], v[52:53]
	v_add_f64 v[70:71], v[70:71], v[48:49]
	v_mul_f64 v[48:49], v[24:25], v[96:97]
	v_add_f64 v[72:73], v[52:53], v[72:73]
	v_mul_f64 v[52:53], v[22:23], v[96:97]
	v_fma_f64 v[48:49], v[22:23], v[94:95], -v[48:49]
	v_fma_f64 v[52:53], v[24:25], v[94:95], v[52:53]
	v_add_f64 v[110:111], v[62:63], v[48:49]
	v_mul_f64 v[48:49], v[24:25], v[36:37]
	v_add_f64 v[112:113], v[52:53], v[64:65]
	;; [unrolled: 6-line block ×3, first 2 shown]
	v_fma_f64 v[48:49], v[22:23], v[30:31], -v[48:49]
	v_mul_f64 v[22:23], v[22:23], v[32:33]
	v_add_f64 v[118:119], v[42:43], v[48:49]
	v_fma_f64 v[22:23], v[24:25], v[30:31], v[22:23]
	v_add_f64 v[120:121], v[22:23], v[46:47]
	ds_read_b128 v[22:25], v93 offset:2048
	s_waitcnt lgkmcnt(0)
	v_mul_f64 v[42:43], v[24:25], v[88:89]
	v_mul_f64 v[46:47], v[22:23], v[88:89]
	v_fma_f64 v[42:43], v[22:23], v[86:87], -v[42:43]
	v_fma_f64 v[46:47], v[24:25], v[86:87], v[46:47]
	v_add_f64 v[122:123], v[66:67], v[42:43]
	v_mul_f64 v[42:43], v[24:25], v[96:97]
	v_add_f64 v[124:125], v[46:47], v[68:69]
	v_mul_f64 v[46:47], v[22:23], v[96:97]
	v_fma_f64 v[42:43], v[22:23], v[94:95], -v[42:43]
	v_fma_f64 v[46:47], v[24:25], v[94:95], v[46:47]
	v_add_f64 v[126:127], v[56:57], v[42:43]
	v_mul_f64 v[42:43], v[24:25], v[36:37]
	v_add_f64 v[128:129], v[46:47], v[60:61]
	;; [unrolled: 6-line block ×3, first 2 shown]
	v_fma_f64 v[42:43], v[22:23], v[30:31], -v[42:43]
	v_mul_f64 v[22:23], v[22:23], v[32:33]
	v_add_f64 v[134:135], v[38:39], v[42:43]
	v_fma_f64 v[22:23], v[24:25], v[30:31], v[22:23]
	v_add_f64 v[136:137], v[22:23], v[40:41]
	ds_read_b128 v[22:25], v93 offset:3072
	s_waitcnt lgkmcnt(0)
	v_mul_f64 v[38:39], v[24:25], v[88:89]
	v_mul_f64 v[40:41], v[22:23], v[88:89]
	v_fma_f64 v[38:39], v[22:23], v[86:87], -v[38:39]
	v_fma_f64 v[40:41], v[24:25], v[86:87], v[40:41]
	v_add_f64 v[58:59], v[18:19], v[38:39]
	v_add_f64 v[60:61], v[40:41], v[20:21]
	v_mul_f64 v[18:19], v[24:25], v[96:97]
	v_mul_f64 v[20:21], v[22:23], v[96:97]
	v_fma_f64 v[18:19], v[22:23], v[94:95], -v[18:19]
	v_fma_f64 v[20:21], v[24:25], v[94:95], v[20:21]
	v_add_f64 v[54:55], v[14:15], v[18:19]
	v_add_f64 v[56:57], v[20:21], v[16:17]
	v_mul_f64 v[14:15], v[24:25], v[36:37]
	v_mul_f64 v[16:17], v[22:23], v[36:37]
	ds_read_b128 v[18:21], v92 offset:1280
	v_fma_f64 v[14:15], v[22:23], v[34:35], -v[14:15]
	v_fma_f64 v[16:17], v[24:25], v[34:35], v[16:17]
	v_add_f64 v[50:51], v[10:11], v[14:15]
	v_add_f64 v[52:53], v[16:17], v[12:13]
	v_mul_f64 v[10:11], v[24:25], v[32:33]
	v_mul_f64 v[12:13], v[22:23], v[32:33]
	ds_read_b128 v[14:17], v92 offset:1536
	v_fma_f64 v[10:11], v[22:23], v[30:31], -v[10:11]
	v_fma_f64 v[12:13], v[24:25], v[30:31], v[12:13]
	ds_read_b128 v[22:25], v92 offset:1024
	v_add_f64 v[46:47], v[74:75], v[10:11]
	v_add_f64 v[48:49], v[12:13], v[76:77]
	s_waitcnt lgkmcnt(0)
	v_mul_f64 v[10:11], v[84:85], v[24:25]
	v_mul_f64 v[12:13], v[82:83], v[24:25]
	ds_read_b128 v[74:77], v93 offset:1040
	v_fma_f64 v[10:11], v[82:83], v[22:23], -v[10:11]
	v_fma_f64 v[12:13], v[84:85], v[22:23], v[12:13]
	s_waitcnt lgkmcnt(0)
	v_mul_f64 v[62:63], v[76:77], v[24:25]
	v_mul_f64 v[64:65], v[74:75], v[24:25]
	;; [unrolled: 1-line block ×4, first 2 shown]
	v_add_f64 v[42:43], v[98:99], v[10:11]
	v_add_f64 v[44:45], v[12:13], v[100:101]
	v_mul_f64 v[10:11], v[84:85], v[20:21]
	v_mul_f64 v[12:13], v[82:83], v[20:21]
	v_fma_f64 v[62:63], v[74:75], v[22:23], -v[62:63]
	v_fma_f64 v[64:65], v[76:77], v[22:23], v[64:65]
	v_fma_f64 v[66:67], v[74:75], v[18:19], -v[66:67]
	v_fma_f64 v[68:69], v[76:77], v[18:19], v[68:69]
	;; [unrolled: 2-line block ×3, first 2 shown]
	v_add_f64 v[62:63], v[70:71], v[62:63]
	v_mul_f64 v[70:71], v[76:77], v[16:17]
	v_add_f64 v[64:65], v[64:65], v[72:73]
	v_mul_f64 v[72:73], v[74:75], v[16:17]
	v_add_f64 v[66:67], v[110:111], v[66:67]
	v_add_f64 v[68:69], v[68:69], v[112:113]
	;; [unrolled: 1-line block ×4, first 2 shown]
	v_mul_f64 v[10:11], v[84:85], v[16:17]
	v_mul_f64 v[12:13], v[82:83], v[16:17]
	v_fma_f64 v[70:71], v[74:75], v[14:15], -v[70:71]
	v_fma_f64 v[72:73], v[76:77], v[14:15], v[72:73]
	v_fma_f64 v[10:11], v[82:83], v[14:15], -v[10:11]
	v_fma_f64 v[12:13], v[84:85], v[14:15], v[12:13]
	v_add_f64 v[70:71], v[114:115], v[70:71]
	v_add_f64 v[72:73], v[72:73], v[116:117]
	;; [unrolled: 1-line block ×4, first 2 shown]
	ds_read_b128 v[10:13], v92 offset:1792
	s_waitcnt lgkmcnt(0)
	v_mul_f64 v[30:31], v[84:85], v[12:13]
	v_mul_f64 v[32:33], v[82:83], v[12:13]
	v_fma_f64 v[30:31], v[82:83], v[10:11], -v[30:31]
	v_fma_f64 v[32:33], v[84:85], v[10:11], v[32:33]
	v_add_f64 v[30:31], v[78:79], v[30:31]
	v_mul_f64 v[78:79], v[76:77], v[12:13]
	v_add_f64 v[32:33], v[32:33], v[80:81]
	v_fma_f64 v[78:79], v[74:75], v[10:11], -v[78:79]
	v_mul_f64 v[74:75], v[74:75], v[12:13]
	v_fma_f64 v[76:77], v[76:77], v[10:11], v[74:75]
	v_add_f64 v[74:75], v[118:119], v[78:79]
	ds_read_b128 v[78:81], v93 offset:2064
	s_waitcnt lgkmcnt(0)
	v_mul_f64 v[82:83], v[80:81], v[24:25]
	v_mul_f64 v[86:87], v[80:81], v[20:21]
	;; [unrolled: 1-line block ×7, first 2 shown]
	v_add_f64 v[76:77], v[76:77], v[120:121]
	v_fma_f64 v[82:83], v[78:79], v[22:23], -v[82:83]
	v_fma_f64 v[86:87], v[78:79], v[18:19], -v[86:87]
	;; [unrolled: 1-line block ×4, first 2 shown]
	v_mul_f64 v[78:79], v[78:79], v[12:13]
	v_fma_f64 v[84:85], v[80:81], v[22:23], v[84:85]
	v_fma_f64 v[88:89], v[80:81], v[18:19], v[88:89]
	;; [unrolled: 1-line block ×3, first 2 shown]
	v_add_f64 v[82:83], v[122:123], v[82:83]
	v_add_f64 v[86:87], v[126:127], v[86:87]
	;; [unrolled: 1-line block ×4, first 2 shown]
	v_fma_f64 v[78:79], v[80:81], v[10:11], v[78:79]
	v_add_f64 v[84:85], v[84:85], v[124:125]
	v_add_f64 v[88:89], v[88:89], v[128:129]
	;; [unrolled: 1-line block ×4, first 2 shown]
	ds_read_b128 v[78:81], v93 offset:3088
	s_waitcnt lgkmcnt(0)
	v_mul_f64 v[102:103], v[80:81], v[24:25]
	v_mul_f64 v[24:25], v[78:79], v[24:25]
	v_fma_f64 v[102:103], v[78:79], v[22:23], -v[102:103]
	v_fma_f64 v[22:23], v[80:81], v[22:23], v[24:25]
	v_add_f64 v[58:59], v[58:59], v[102:103]
	v_add_f64 v[60:61], v[22:23], v[60:61]
	v_mul_f64 v[22:23], v[80:81], v[20:21]
	v_mul_f64 v[20:21], v[78:79], v[20:21]
	v_fma_f64 v[22:23], v[78:79], v[18:19], -v[22:23]
	v_fma_f64 v[18:19], v[80:81], v[18:19], v[20:21]
	v_add_f64 v[54:55], v[54:55], v[22:23]
	v_add_f64 v[56:57], v[18:19], v[56:57]
	;; [unrolled: 6-line block ×4, first 2 shown]
	ds_read_b128 v[10:13], v92 offset:2048
	s_waitcnt lgkmcnt(0)
	v_mul_f64 v[14:15], v[8:9], v[12:13]
	v_mul_f64 v[16:17], v[6:7], v[12:13]
	v_fma_f64 v[14:15], v[6:7], v[10:11], -v[14:15]
	v_fma_f64 v[16:17], v[8:9], v[10:11], v[16:17]
	v_add_f64 v[42:43], v[42:43], v[14:15]
	v_add_f64 v[44:45], v[16:17], v[44:45]
	ds_read_b128 v[14:17], v92 offset:2304
	s_waitcnt lgkmcnt(0)
	v_mul_f64 v[18:19], v[8:9], v[16:17]
	v_mul_f64 v[20:21], v[6:7], v[16:17]
	v_fma_f64 v[18:19], v[6:7], v[14:15], -v[18:19]
	v_fma_f64 v[20:21], v[8:9], v[14:15], v[20:21]
	v_add_f64 v[38:39], v[38:39], v[18:19]
	v_add_f64 v[40:41], v[20:21], v[40:41]
	ds_read_b128 v[18:21], v92 offset:2560
	s_waitcnt lgkmcnt(0)
	v_mul_f64 v[22:23], v[8:9], v[20:21]
	v_mul_f64 v[24:25], v[6:7], v[20:21]
	v_fma_f64 v[22:23], v[6:7], v[18:19], -v[22:23]
	v_fma_f64 v[24:25], v[8:9], v[18:19], v[24:25]
	v_add_f64 v[102:103], v[34:35], v[22:23]
	v_add_f64 v[104:105], v[24:25], v[36:37]
	ds_read_b128 v[22:25], v92 offset:2816
	s_waitcnt lgkmcnt(0)
	v_mul_f64 v[34:35], v[8:9], v[24:25]
	v_fma_f64 v[34:35], v[6:7], v[22:23], -v[34:35]
	v_mul_f64 v[6:7], v[6:7], v[24:25]
	v_add_f64 v[106:107], v[30:31], v[34:35]
	v_fma_f64 v[6:7], v[8:9], v[22:23], v[6:7]
	v_add_f64 v[108:109], v[6:7], v[32:33]
	ds_read_b128 v[6:9], v93 offset:1056
	s_waitcnt lgkmcnt(0)
	v_mul_f64 v[30:31], v[8:9], v[12:13]
	v_mul_f64 v[32:33], v[6:7], v[12:13]
	v_fma_f64 v[30:31], v[6:7], v[10:11], -v[30:31]
	v_fma_f64 v[32:33], v[8:9], v[10:11], v[32:33]
	v_add_f64 v[62:63], v[62:63], v[30:31]
	v_mul_f64 v[30:31], v[8:9], v[16:17]
	v_add_f64 v[64:65], v[32:33], v[64:65]
	v_mul_f64 v[32:33], v[6:7], v[16:17]
	v_fma_f64 v[30:31], v[6:7], v[14:15], -v[30:31]
	v_fma_f64 v[32:33], v[8:9], v[14:15], v[32:33]
	v_add_f64 v[66:67], v[66:67], v[30:31]
	v_mul_f64 v[30:31], v[8:9], v[20:21]
	v_add_f64 v[68:69], v[32:33], v[68:69]
	;; [unrolled: 6-line block ×3, first 2 shown]
	v_fma_f64 v[30:31], v[6:7], v[22:23], -v[30:31]
	v_mul_f64 v[6:7], v[6:7], v[24:25]
	v_add_f64 v[114:115], v[74:75], v[30:31]
	v_fma_f64 v[6:7], v[8:9], v[22:23], v[6:7]
	v_add_f64 v[116:117], v[6:7], v[76:77]
	ds_read_b128 v[6:9], v93 offset:2080
	s_waitcnt lgkmcnt(0)
	v_mul_f64 v[30:31], v[8:9], v[12:13]
	v_mul_f64 v[32:33], v[6:7], v[12:13]
	v_fma_f64 v[30:31], v[6:7], v[10:11], -v[30:31]
	v_fma_f64 v[32:33], v[8:9], v[10:11], v[32:33]
	v_add_f64 v[118:119], v[82:83], v[30:31]
	v_mul_f64 v[30:31], v[8:9], v[16:17]
	v_add_f64 v[120:121], v[32:33], v[84:85]
	v_mul_f64 v[32:33], v[6:7], v[16:17]
	v_fma_f64 v[30:31], v[6:7], v[14:15], -v[30:31]
	v_fma_f64 v[32:33], v[8:9], v[14:15], v[32:33]
	v_add_f64 v[122:123], v[86:87], v[30:31]
	v_mul_f64 v[30:31], v[8:9], v[20:21]
	v_add_f64 v[124:125], v[32:33], v[88:89]
	;; [unrolled: 6-line block ×3, first 2 shown]
	v_fma_f64 v[30:31], v[6:7], v[22:23], -v[30:31]
	v_mul_f64 v[6:7], v[6:7], v[24:25]
	v_add_f64 v[98:99], v[98:99], v[30:31]
	v_fma_f64 v[6:7], v[8:9], v[22:23], v[6:7]
	v_add_f64 v[100:101], v[6:7], v[100:101]
	ds_read_b128 v[6:9], v93 offset:3104
	s_waitcnt lgkmcnt(0)
	v_mul_f64 v[30:31], v[8:9], v[12:13]
	v_mul_f64 v[12:13], v[6:7], v[12:13]
	v_fma_f64 v[30:31], v[6:7], v[10:11], -v[30:31]
	v_fma_f64 v[10:11], v[8:9], v[10:11], v[12:13]
	v_mul_f64 v[12:13], v[6:7], v[16:17]
	v_add_f64 v[86:87], v[58:59], v[30:31]
	v_add_f64 v[88:89], v[10:11], v[60:61]
	v_mul_f64 v[10:11], v[8:9], v[16:17]
	v_fma_f64 v[12:13], v[8:9], v[14:15], v[12:13]
	v_fma_f64 v[10:11], v[6:7], v[14:15], -v[10:11]
	v_add_f64 v[84:85], v[12:13], v[56:57]
	v_mul_f64 v[12:13], v[6:7], v[20:21]
	ds_read_b128 v[14:17], v92 offset:3328
	v_add_f64 v[82:83], v[54:55], v[10:11]
	v_mul_f64 v[10:11], v[8:9], v[20:21]
	v_fma_f64 v[12:13], v[8:9], v[18:19], v[12:13]
	v_fma_f64 v[10:11], v[6:7], v[18:19], -v[10:11]
	ds_read_b128 v[18:21], v92 offset:3072
	v_add_f64 v[80:81], v[12:13], v[52:53]
	v_add_f64 v[78:79], v[50:51], v[10:11]
	v_mul_f64 v[10:11], v[8:9], v[24:25]
	v_fma_f64 v[10:11], v[6:7], v[22:23], -v[10:11]
	v_mul_f64 v[6:7], v[6:7], v[24:25]
	v_add_f64 v[74:75], v[46:47], v[10:11]
	v_fma_f64 v[6:7], v[8:9], v[22:23], v[6:7]
	s_waitcnt lgkmcnt(0)
	v_mul_f64 v[8:9], v[2:3], v[20:21]
	ds_read_b128 v[10:13], v92 offset:3584
	v_add_f64 v[76:77], v[6:7], v[48:49]
	v_mul_f64 v[6:7], v[4:5], v[20:21]
	v_fma_f64 v[8:9], v[4:5], v[18:19], v[8:9]
	v_fma_f64 v[6:7], v[2:3], v[18:19], -v[6:7]
	v_add_f64 v[52:53], v[8:9], v[44:45]
	v_mul_f64 v[8:9], v[2:3], v[16:17]
	v_add_f64 v[48:49], v[42:43], v[6:7]
	v_mul_f64 v[6:7], v[4:5], v[16:17]
	v_fma_f64 v[8:9], v[4:5], v[14:15], v[8:9]
	v_fma_f64 v[6:7], v[2:3], v[14:15], -v[6:7]
	v_add_f64 v[36:37], v[8:9], v[40:41]
	s_waitcnt lgkmcnt(0)
	v_mul_f64 v[8:9], v[2:3], v[12:13]
	v_add_f64 v[34:35], v[38:39], v[6:7]
	v_mul_f64 v[6:7], v[4:5], v[12:13]
	v_fma_f64 v[8:9], v[4:5], v[10:11], v[8:9]
	v_fma_f64 v[6:7], v[2:3], v[10:11], -v[6:7]
	v_add_f64 v[32:33], v[8:9], v[104:105]
	v_add_f64 v[30:31], v[102:103], v[6:7]
	ds_read_b128 v[6:9], v92 offset:3840
	s_waitcnt lgkmcnt(0)
	v_mul_f64 v[22:23], v[4:5], v[8:9]
	v_fma_f64 v[22:23], v[2:3], v[6:7], -v[22:23]
	v_mul_f64 v[2:3], v[2:3], v[8:9]
	v_add_f64 v[22:23], v[106:107], v[22:23]
	v_fma_f64 v[2:3], v[4:5], v[6:7], v[2:3]
	v_add_f64 v[24:25], v[2:3], v[108:109]
	ds_read_b128 v[2:5], v93 offset:1072
	s_waitcnt lgkmcnt(0)
	v_mul_f64 v[38:39], v[4:5], v[20:21]
	v_mul_f64 v[40:41], v[2:3], v[20:21]
	v_fma_f64 v[38:39], v[2:3], v[18:19], -v[38:39]
	v_fma_f64 v[40:41], v[4:5], v[18:19], v[40:41]
	v_add_f64 v[70:71], v[62:63], v[38:39]
	v_mul_f64 v[38:39], v[4:5], v[16:17]
	v_add_f64 v[72:73], v[40:41], v[64:65]
	v_mul_f64 v[40:41], v[2:3], v[16:17]
	v_fma_f64 v[38:39], v[2:3], v[14:15], -v[38:39]
	v_fma_f64 v[40:41], v[4:5], v[14:15], v[40:41]
	v_add_f64 v[62:63], v[66:67], v[38:39]
	v_mul_f64 v[38:39], v[4:5], v[12:13]
	v_add_f64 v[64:65], v[40:41], v[68:69]
	;; [unrolled: 6-line block ×3, first 2 shown]
	v_fma_f64 v[38:39], v[2:3], v[6:7], -v[38:39]
	v_mul_f64 v[2:3], v[2:3], v[8:9]
	v_add_f64 v[42:43], v[114:115], v[38:39]
	v_fma_f64 v[2:3], v[4:5], v[6:7], v[2:3]
	v_add_f64 v[46:47], v[2:3], v[116:117]
	ds_read_b128 v[2:5], v93 offset:2096
	s_waitcnt lgkmcnt(0)
	v_mul_f64 v[38:39], v[4:5], v[20:21]
	v_mul_f64 v[40:41], v[2:3], v[20:21]
	v_fma_f64 v[38:39], v[2:3], v[18:19], -v[38:39]
	v_fma_f64 v[40:41], v[4:5], v[18:19], v[40:41]
	v_add_f64 v[66:67], v[118:119], v[38:39]
	v_mul_f64 v[38:39], v[4:5], v[16:17]
	v_add_f64 v[68:69], v[40:41], v[120:121]
	v_mul_f64 v[40:41], v[2:3], v[16:17]
	v_fma_f64 v[38:39], v[2:3], v[14:15], -v[38:39]
	v_fma_f64 v[40:41], v[4:5], v[14:15], v[40:41]
	v_add_f64 v[56:57], v[122:123], v[38:39]
	v_mul_f64 v[38:39], v[4:5], v[12:13]
	v_add_f64 v[60:61], v[40:41], v[124:125]
	;; [unrolled: 6-line block ×3, first 2 shown]
	v_fma_f64 v[38:39], v[2:3], v[6:7], -v[38:39]
	v_mul_f64 v[2:3], v[2:3], v[8:9]
	v_add_f64 v[38:39], v[98:99], v[38:39]
	v_fma_f64 v[2:3], v[4:5], v[6:7], v[2:3]
	v_add_f64 v[40:41], v[2:3], v[100:101]
	ds_read_b128 v[2:5], v93 offset:3120
	s_waitcnt lgkmcnt(0)
	s_barrier
	buffer_gl0_inv
	v_mul_f64 v[94:95], v[4:5], v[20:21]
	v_mul_f64 v[20:21], v[2:3], v[20:21]
	v_fma_f64 v[94:95], v[2:3], v[18:19], -v[94:95]
	v_fma_f64 v[20:21], v[4:5], v[18:19], v[20:21]
	v_add_f64 v[18:19], v[86:87], v[94:95]
	v_mul_f64 v[86:87], v[4:5], v[16:17]
	v_mul_f64 v[16:17], v[2:3], v[16:17]
	v_add_f64 v[20:21], v[20:21], v[88:89]
	v_fma_f64 v[86:87], v[2:3], v[14:15], -v[86:87]
	v_fma_f64 v[16:17], v[4:5], v[14:15], v[16:17]
	v_add_f64 v[14:15], v[82:83], v[86:87]
	v_mul_f64 v[82:83], v[4:5], v[12:13]
	v_mul_f64 v[12:13], v[2:3], v[12:13]
	v_add_f64 v[16:17], v[16:17], v[84:85]
	v_fma_f64 v[82:83], v[2:3], v[10:11], -v[82:83]
	v_fma_f64 v[12:13], v[4:5], v[10:11], v[12:13]
	v_add_f64 v[10:11], v[78:79], v[82:83]
	v_mul_f64 v[78:79], v[4:5], v[8:9]
	v_add_f64 v[12:13], v[12:13], v[80:81]
	v_fma_f64 v[78:79], v[2:3], v[6:7], -v[78:79]
	v_mul_f64 v[2:3], v[2:3], v[8:9]
	v_add_f64 v[74:75], v[74:75], v[78:79]
	v_fma_f64 v[2:3], v[4:5], v[6:7], v[2:3]
	v_add_f64 v[76:77], v[2:3], v[76:77]
	s_cbranch_vccnz .LBB251_2
	s_branch .LBB251_4
.LBB251_3:
	v_mov_b32_e32 v48, 0
	v_mov_b32_e32 v52, 0
	v_mov_b32_e32 v34, 0
	v_mov_b32_e32 v36, 0
	v_mov_b32_e32 v30, 0
	v_mov_b32_e32 v32, 0
	v_mov_b32_e32 v22, 0
	v_mov_b32_e32 v24, 0
	v_mov_b32_e32 v70, 0
	v_mov_b32_e32 v72, 0
	v_mov_b32_e32 v62, 0
	v_mov_b32_e32 v64, 0
	v_mov_b32_e32 v54, 0
	v_mov_b32_e32 v58, 0
	v_mov_b32_e32 v42, 0
	v_mov_b32_e32 v46, 0
	v_mov_b32_e32 v66, 0
	v_mov_b32_e32 v68, 0
	v_mov_b32_e32 v56, 0
	v_mov_b32_e32 v60, 0
	v_mov_b32_e32 v44, 0
	v_mov_b32_e32 v50, 0
	v_mov_b32_e32 v38, 0
	v_mov_b32_e32 v40, 0
	v_mov_b32_e32 v18, 0
	v_mov_b32_e32 v20, 0
	v_mov_b32_e32 v14, 0
	v_mov_b32_e32 v16, 0
	v_mov_b32_e32 v10, 0
	v_mov_b32_e32 v12, 0
	v_mov_b32_e32 v74, 0
	v_mov_b32_e32 v76, 0
	v_mov_b32_e32 v49, 0
	v_mov_b32_e32 v53, 0
	v_mov_b32_e32 v35, 0
	v_mov_b32_e32 v37, 0
	v_mov_b32_e32 v31, 0
	v_mov_b32_e32 v33, 0
	v_mov_b32_e32 v23, 0
	v_mov_b32_e32 v25, 0
	v_mov_b32_e32 v71, 0
	v_mov_b32_e32 v73, 0
	v_mov_b32_e32 v63, 0
	v_mov_b32_e32 v65, 0
	v_mov_b32_e32 v55, 0
	v_mov_b32_e32 v59, 0
	v_mov_b32_e32 v43, 0
	v_mov_b32_e32 v47, 0
	v_mov_b32_e32 v67, 0
	v_mov_b32_e32 v69, 0
	v_mov_b32_e32 v57, 0
	v_mov_b32_e32 v61, 0
	v_mov_b32_e32 v45, 0
	v_mov_b32_e32 v51, 0
	v_mov_b32_e32 v39, 0
	v_mov_b32_e32 v41, 0
	v_mov_b32_e32 v19, 0
	v_mov_b32_e32 v21, 0
	v_mov_b32_e32 v15, 0
	v_mov_b32_e32 v17, 0
	v_mov_b32_e32 v11, 0
	v_mov_b32_e32 v13, 0
	v_mov_b32_e32 v75, 0
	v_mov_b32_e32 v77, 0
.LBB251_4:
	s_load_dwordx2 s[4:5], s[4:5], 0x90
	v_cmp_neq_f64_e64 s10, s[14:15], 0
	v_cmp_neq_f64_e64 s11, s[16:17], 0
	v_add_co_u32 v6, s8, s8, v1
	v_add_co_ci_u32_e64 v7, null, s9, 0, s8
	s_waitcnt lgkmcnt(0)
	s_lshl_b64 s[4:5], s[4:5], 4
	s_add_u32 s4, s2, s4
	s_addc_u32 s5, s3, s5
	v_add_co_u32 v0, s3, s6, v0
	v_add_co_ci_u32_e64 v1, null, s7, 0, s3
	s_or_b32 s2, s10, s11
	s_and_b32 vcc_lo, exec_lo, s2
	s_cbranch_vccnz .LBB251_6
; %bb.5:
	v_mul_f64 v[4:5], s[40:41], v[52:53]
	v_mul_f64 v[8:9], s[38:39], v[52:53]
	v_mul_lo_u32 v78, v7, s26
	v_mul_lo_u32 v79, v6, s27
	v_mad_u64_u32 v[2:3], null, v6, s26, 0
	v_mul_f64 v[26:27], s[40:41], v[36:37]
	v_mul_f64 v[28:29], s[38:39], v[36:37]
	;; [unrolled: 1-line block ×6, first 2 shown]
	v_add3_u32 v3, v3, v79, v78
	v_mul_f64 v[78:79], s[40:41], v[32:33]
	v_mul_f64 v[88:89], s[38:39], v[72:73]
	;; [unrolled: 1-line block ×4, first 2 shown]
	v_lshlrev_b64 v[2:3], 4, v[2:3]
	v_mul_f64 v[94:95], s[40:41], v[58:59]
	v_mul_f64 v[96:97], s[38:39], v[58:59]
	;; [unrolled: 1-line block ×4, first 2 shown]
	s_lshl_b64 s[2:3], s[26:27], 8
	v_add_co_u32 v104, vcc_lo, s4, v2
	v_add_co_ci_u32_e64 v105, null, s5, v3, vcc_lo
	v_fma_f64 v[2:3], s[38:39], v[48:49], -v[4:5]
	v_fma_f64 v[4:5], s[40:41], v[48:49], v[8:9]
	v_lshlrev_b64 v[8:9], 4, v[0:1]
	v_fma_f64 v[26:27], s[38:39], v[34:35], -v[26:27]
	v_fma_f64 v[28:29], s[40:41], v[34:35], v[28:29]
	v_fma_f64 v[80:81], s[40:41], v[30:31], v[80:81]
	v_fma_f64 v[82:83], s[38:39], v[22:23], -v[82:83]
	v_fma_f64 v[84:85], s[40:41], v[22:23], v[84:85]
	v_add_co_u32 v102, vcc_lo, v104, v8
	v_fma_f64 v[78:79], s[38:39], v[30:31], -v[78:79]
	v_add_co_ci_u32_e64 v103, null, v105, v9, vcc_lo
	v_fma_f64 v[86:87], s[38:39], v[70:71], -v[86:87]
	v_fma_f64 v[88:89], s[40:41], v[70:71], v[88:89]
	v_fma_f64 v[90:91], s[38:39], v[62:63], -v[90:91]
	v_fma_f64 v[92:93], s[40:41], v[62:63], v[92:93]
	;; [unrolled: 2-line block ×3, first 2 shown]
	v_add_co_u32 v106, vcc_lo, v104, s2
	v_add_co_ci_u32_e64 v107, null, s3, v105, vcc_lo
	flat_store_dwordx4 v[102:103], v[2:5]
	v_fma_f64 v[2:3], s[38:39], v[42:43], -v[98:99]
	v_fma_f64 v[4:5], s[40:41], v[42:43], v[100:101]
	v_add_co_u32 v104, vcc_lo, v106, v8
	v_add_co_ci_u32_e64 v105, null, v107, v9, vcc_lo
	flat_store_dwordx4 v[102:103], v[26:29] offset:256
	flat_store_dwordx4 v[102:103], v[78:81] offset:512
	;; [unrolled: 1-line block ×3, first 2 shown]
	flat_store_dwordx4 v[104:105], v[86:89]
	flat_store_dwordx4 v[104:105], v[90:93] offset:256
	flat_store_dwordx4 v[104:105], v[94:97] offset:512
	v_mul_f64 v[26:27], s[40:41], v[68:69]
	v_mul_f64 v[28:29], s[38:39], v[68:69]
	;; [unrolled: 1-line block ×12, first 2 shown]
	flat_store_dwordx4 v[104:105], v[2:5] offset:768
	v_mul_f64 v[2:3], s[40:41], v[76:77]
	v_mul_f64 v[4:5], s[38:39], v[76:77]
	;; [unrolled: 1-line block ×4, first 2 shown]
	v_add_co_u32 v104, vcc_lo, v106, s2
	v_add_co_ci_u32_e64 v105, null, s3, v107, vcc_lo
	v_fma_f64 v[26:27], s[38:39], v[66:67], -v[26:27]
	v_fma_f64 v[28:29], s[40:41], v[66:67], v[28:29]
	v_fma_f64 v[78:79], s[38:39], v[56:57], -v[78:79]
	v_fma_f64 v[80:81], s[40:41], v[56:57], v[80:81]
	;; [unrolled: 2-line block ×6, first 2 shown]
	v_add_co_u32 v106, vcc_lo, v104, s2
	v_fma_f64 v[102:103], s[38:39], v[74:75], -v[2:3]
	v_fma_f64 v[2:3], s[40:41], v[74:75], v[4:5]
	v_fma_f64 v[98:99], s[38:39], v[10:11], -v[98:99]
	v_fma_f64 v[100:101], s[40:41], v[10:11], v[100:101]
	v_add_co_ci_u32_e64 v107, null, s3, v105, vcc_lo
	v_add_co_u32 v4, vcc_lo, v104, v8
	v_add_co_ci_u32_e64 v5, null, v105, v9, vcc_lo
	v_add_co_u32 v8, vcc_lo, v106, v8
	v_add_co_ci_u32_e64 v9, null, v107, v9, vcc_lo
	flat_store_dwordx4 v[4:5], v[26:29]
	flat_store_dwordx4 v[4:5], v[78:81] offset:256
	flat_store_dwordx4 v[4:5], v[82:85] offset:512
	;; [unrolled: 1-line block ×3, first 2 shown]
	flat_store_dwordx4 v[8:9], v[90:93]
	v_add_co_u32 v4, vcc_lo, 0x300, v8
	v_add_co_ci_u32_e64 v5, null, 0, v9, vcc_lo
	flat_store_dwordx4 v[8:9], v[94:97] offset:256
	flat_store_dwordx4 v[8:9], v[98:101] offset:512
	flat_store_dwordx2 v[8:9], v[102:103] offset:768
	s_cbranch_execz .LBB251_7
	s_branch .LBB251_8
.LBB251_6:
                                        ; implicit-def: $vgpr2_vgpr3
                                        ; implicit-def: $vgpr4_vgpr5
.LBB251_7:
	v_mul_lo_u32 v4, v7, s20
	v_mul_lo_u32 v5, v6, s21
	v_mad_u64_u32 v[2:3], null, v6, s20, 0
	s_lshl_b64 s[2:3], s[22:23], 4
	v_mul_f64 v[26:27], s[40:41], v[52:53]
	s_add_u32 s0, s0, s2
	s_addc_u32 s1, s1, s3
	v_mul_f64 v[28:29], s[38:39], v[52:53]
	s_lshl_b64 s[2:3], s[26:27], 8
	v_add3_u32 v3, v3, v5, v4
	v_lshlrev_b64 v[4:5], 4, v[0:1]
	v_lshlrev_b64 v[2:3], 4, v[2:3]
	v_add_co_u32 v78, vcc_lo, s0, v2
	v_add_co_ci_u32_e64 v79, null, s1, v3, vcc_lo
	s_lshl_b64 s[0:1], s[20:21], 8
	v_add_co_u32 v8, vcc_lo, v78, v4
	v_add_co_ci_u32_e64 v9, null, v79, v5, vcc_lo
	v_fma_f64 v[26:27], s[38:39], v[48:49], -v[26:27]
	v_fma_f64 v[28:29], s[40:41], v[48:49], v[28:29]
	flat_load_dwordx4 v[0:3], v[8:9]
	s_waitcnt vmcnt(0) lgkmcnt(0)
	v_mul_f64 v[52:53], s[16:17], v[2:3]
	v_mul_f64 v[2:3], s[14:15], v[2:3]
	v_fma_f64 v[48:49], s[14:15], v[0:1], -v[52:53]
	v_fma_f64 v[2:3], s[16:17], v[0:1], v[2:3]
	v_mul_lo_u32 v0, v7, s26
	v_mul_lo_u32 v1, v6, s27
	v_mad_u64_u32 v[6:7], null, v6, s26, 0
	v_add3_u32 v7, v7, v1, v0
	v_lshlrev_b64 v[6:7], 4, v[6:7]
	v_add_f64 v[0:1], v[26:27], v[48:49]
	v_add_f64 v[2:3], v[28:29], v[2:3]
	v_add_co_u32 v48, vcc_lo, s4, v6
	v_add_co_ci_u32_e64 v49, null, s5, v7, vcc_lo
	v_mul_f64 v[26:27], s[40:41], v[36:37]
	v_add_co_u32 v6, vcc_lo, v48, v4
	v_add_co_ci_u32_e64 v7, null, v49, v5, vcc_lo
	v_mul_f64 v[28:29], s[38:39], v[36:37]
	flat_store_dwordx4 v[6:7], v[0:3]
	flat_load_dwordx4 v[0:3], v[8:9] offset:256
	v_fma_f64 v[26:27], s[38:39], v[34:35], -v[26:27]
	v_fma_f64 v[28:29], s[40:41], v[34:35], v[28:29]
	s_waitcnt vmcnt(0) lgkmcnt(0)
	v_mul_f64 v[36:37], s[16:17], v[2:3]
	v_mul_f64 v[2:3], s[14:15], v[2:3]
	v_fma_f64 v[34:35], s[14:15], v[0:1], -v[36:37]
	v_fma_f64 v[2:3], s[16:17], v[0:1], v[2:3]
	v_add_f64 v[0:1], v[26:27], v[34:35]
	v_add_f64 v[2:3], v[28:29], v[2:3]
	v_mul_f64 v[26:27], s[40:41], v[32:33]
	v_mul_f64 v[28:29], s[38:39], v[32:33]
	flat_store_dwordx4 v[6:7], v[0:3] offset:256
	flat_load_dwordx4 v[0:3], v[8:9] offset:512
	v_fma_f64 v[26:27], s[38:39], v[30:31], -v[26:27]
	v_fma_f64 v[28:29], s[40:41], v[30:31], v[28:29]
	s_waitcnt vmcnt(0) lgkmcnt(0)
	v_mul_f64 v[32:33], s[16:17], v[2:3]
	v_mul_f64 v[2:3], s[14:15], v[2:3]
	v_fma_f64 v[30:31], s[14:15], v[0:1], -v[32:33]
	v_fma_f64 v[2:3], s[16:17], v[0:1], v[2:3]
	v_add_f64 v[0:1], v[26:27], v[30:31]
	v_add_f64 v[2:3], v[28:29], v[2:3]
	v_add_co_u32 v28, vcc_lo, v78, s0
	v_add_co_ci_u32_e64 v29, null, s1, v79, vcc_lo
	flat_store_dwordx4 v[6:7], v[0:3] offset:512
	flat_load_dwordx4 v[0:3], v[8:9] offset:768
	v_mul_f64 v[8:9], s[40:41], v[24:25]
	v_mul_f64 v[24:25], s[38:39], v[24:25]
	v_fma_f64 v[8:9], s[38:39], v[22:23], -v[8:9]
	v_fma_f64 v[22:23], s[40:41], v[22:23], v[24:25]
	s_waitcnt vmcnt(0) lgkmcnt(0)
	v_mul_f64 v[26:27], s[16:17], v[2:3]
	v_mul_f64 v[2:3], s[14:15], v[2:3]
	v_fma_f64 v[24:25], s[14:15], v[0:1], -v[26:27]
	v_fma_f64 v[2:3], s[16:17], v[0:1], v[2:3]
	v_add_f64 v[0:1], v[8:9], v[24:25]
	v_add_f64 v[2:3], v[22:23], v[2:3]
	v_add_co_u32 v8, vcc_lo, v28, v4
	v_add_co_ci_u32_e64 v9, null, v29, v5, vcc_lo
	v_mul_f64 v[22:23], s[38:39], v[72:73]
	v_add_co_u32 v30, vcc_lo, v48, s2
	v_add_co_ci_u32_e64 v31, null, s3, v49, vcc_lo
	flat_store_dwordx4 v[6:7], v[0:3] offset:768
	flat_load_dwordx4 v[0:3], v[8:9]
	v_mul_f64 v[6:7], s[40:41], v[72:73]
	v_fma_f64 v[22:23], s[40:41], v[70:71], v[22:23]
	v_fma_f64 v[6:7], s[38:39], v[70:71], -v[6:7]
	s_waitcnt vmcnt(0) lgkmcnt(0)
	v_mul_f64 v[24:25], s[16:17], v[2:3]
	v_mul_f64 v[2:3], s[14:15], v[2:3]
	v_fma_f64 v[24:25], s[14:15], v[0:1], -v[24:25]
	v_fma_f64 v[2:3], s[16:17], v[0:1], v[2:3]
	v_add_f64 v[0:1], v[6:7], v[24:25]
	v_add_f64 v[2:3], v[22:23], v[2:3]
	v_add_co_u32 v6, vcc_lo, v30, v4
	v_add_co_ci_u32_e64 v7, null, v31, v5, vcc_lo
	v_mul_f64 v[22:23], s[40:41], v[64:65]
	v_mul_f64 v[24:25], s[38:39], v[64:65]
	v_add_co_u32 v28, vcc_lo, v28, s0
	v_add_co_ci_u32_e64 v29, null, s1, v29, vcc_lo
	flat_store_dwordx4 v[6:7], v[0:3]
	flat_load_dwordx4 v[0:3], v[8:9] offset:256
	v_fma_f64 v[22:23], s[38:39], v[62:63], -v[22:23]
	v_fma_f64 v[24:25], s[40:41], v[62:63], v[24:25]
	s_waitcnt vmcnt(0) lgkmcnt(0)
	v_mul_f64 v[26:27], s[16:17], v[2:3]
	v_mul_f64 v[2:3], s[14:15], v[2:3]
	v_fma_f64 v[26:27], s[14:15], v[0:1], -v[26:27]
	v_fma_f64 v[2:3], s[16:17], v[0:1], v[2:3]
	v_add_f64 v[0:1], v[22:23], v[26:27]
	v_add_f64 v[2:3], v[24:25], v[2:3]
	v_mul_f64 v[22:23], s[40:41], v[58:59]
	v_mul_f64 v[24:25], s[38:39], v[58:59]
	flat_store_dwordx4 v[6:7], v[0:3] offset:256
	flat_load_dwordx4 v[0:3], v[8:9] offset:512
	v_fma_f64 v[22:23], s[38:39], v[54:55], -v[22:23]
	v_fma_f64 v[24:25], s[40:41], v[54:55], v[24:25]
	s_waitcnt vmcnt(0) lgkmcnt(0)
	v_mul_f64 v[26:27], s[16:17], v[2:3]
	v_mul_f64 v[2:3], s[14:15], v[2:3]
	v_fma_f64 v[26:27], s[14:15], v[0:1], -v[26:27]
	v_fma_f64 v[2:3], s[16:17], v[0:1], v[2:3]
	v_add_f64 v[0:1], v[22:23], v[26:27]
	v_add_f64 v[2:3], v[24:25], v[2:3]
	v_mul_f64 v[22:23], s[38:39], v[46:47]
	flat_store_dwordx4 v[6:7], v[0:3] offset:512
	flat_load_dwordx4 v[0:3], v[8:9] offset:768
	v_mul_f64 v[8:9], s[40:41], v[46:47]
	v_fma_f64 v[22:23], s[40:41], v[42:43], v[22:23]
	v_fma_f64 v[8:9], s[38:39], v[42:43], -v[8:9]
	s_waitcnt vmcnt(0) lgkmcnt(0)
	v_mul_f64 v[24:25], s[16:17], v[2:3]
	v_mul_f64 v[2:3], s[14:15], v[2:3]
	v_fma_f64 v[24:25], s[14:15], v[0:1], -v[24:25]
	v_fma_f64 v[2:3], s[16:17], v[0:1], v[2:3]
	v_add_f64 v[0:1], v[8:9], v[24:25]
	v_add_f64 v[2:3], v[22:23], v[2:3]
	v_add_co_u32 v8, vcc_lo, v28, v4
	v_add_co_ci_u32_e64 v9, null, v29, v5, vcc_lo
	v_mul_f64 v[22:23], s[38:39], v[68:69]
	v_add_co_u32 v30, vcc_lo, v30, s2
	v_add_co_ci_u32_e64 v31, null, s3, v31, vcc_lo
	flat_store_dwordx4 v[6:7], v[0:3] offset:768
	flat_load_dwordx4 v[0:3], v[8:9]
	v_mul_f64 v[6:7], s[40:41], v[68:69]
	v_fma_f64 v[22:23], s[40:41], v[66:67], v[22:23]
	v_fma_f64 v[6:7], s[38:39], v[66:67], -v[6:7]
	s_waitcnt vmcnt(0) lgkmcnt(0)
	v_mul_f64 v[24:25], s[16:17], v[2:3]
	v_mul_f64 v[2:3], s[14:15], v[2:3]
	v_fma_f64 v[24:25], s[14:15], v[0:1], -v[24:25]
	v_fma_f64 v[2:3], s[16:17], v[0:1], v[2:3]
	v_add_f64 v[0:1], v[6:7], v[24:25]
	v_add_f64 v[2:3], v[22:23], v[2:3]
	v_add_co_u32 v6, vcc_lo, v30, v4
	v_add_co_ci_u32_e64 v7, null, v31, v5, vcc_lo
	v_mul_f64 v[22:23], s[40:41], v[60:61]
	v_mul_f64 v[24:25], s[38:39], v[60:61]
	flat_store_dwordx4 v[6:7], v[0:3]
	flat_load_dwordx4 v[0:3], v[8:9] offset:256
	v_fma_f64 v[22:23], s[38:39], v[56:57], -v[22:23]
	v_fma_f64 v[24:25], s[40:41], v[56:57], v[24:25]
	s_waitcnt vmcnt(0) lgkmcnt(0)
	v_mul_f64 v[26:27], s[16:17], v[2:3]
	v_mul_f64 v[2:3], s[14:15], v[2:3]
	v_fma_f64 v[26:27], s[14:15], v[0:1], -v[26:27]
	v_fma_f64 v[2:3], s[16:17], v[0:1], v[2:3]
	v_add_f64 v[0:1], v[22:23], v[26:27]
	v_add_f64 v[2:3], v[24:25], v[2:3]
	v_mul_f64 v[22:23], s[40:41], v[50:51]
	v_mul_f64 v[24:25], s[38:39], v[50:51]
	flat_store_dwordx4 v[6:7], v[0:3] offset:256
	flat_load_dwordx4 v[0:3], v[8:9] offset:512
	v_fma_f64 v[22:23], s[38:39], v[44:45], -v[22:23]
	v_fma_f64 v[24:25], s[40:41], v[44:45], v[24:25]
	s_waitcnt vmcnt(0) lgkmcnt(0)
	v_mul_f64 v[26:27], s[16:17], v[2:3]
	v_mul_f64 v[2:3], s[14:15], v[2:3]
	v_fma_f64 v[26:27], s[14:15], v[0:1], -v[26:27]
	v_fma_f64 v[2:3], s[16:17], v[0:1], v[2:3]
	v_add_f64 v[0:1], v[22:23], v[26:27]
	v_add_f64 v[2:3], v[24:25], v[2:3]
	v_mul_f64 v[22:23], s[38:39], v[40:41]
	flat_store_dwordx4 v[6:7], v[0:3] offset:512
	flat_load_dwordx4 v[0:3], v[8:9] offset:768
	v_mul_f64 v[8:9], s[40:41], v[40:41]
	v_fma_f64 v[22:23], s[40:41], v[38:39], v[22:23]
	v_fma_f64 v[8:9], s[38:39], v[38:39], -v[8:9]
	s_waitcnt vmcnt(0) lgkmcnt(0)
	v_mul_f64 v[24:25], s[16:17], v[2:3]
	v_mul_f64 v[2:3], s[14:15], v[2:3]
	v_fma_f64 v[24:25], s[14:15], v[0:1], -v[24:25]
	v_fma_f64 v[2:3], s[16:17], v[0:1], v[2:3]
	v_add_f64 v[0:1], v[8:9], v[24:25]
	v_add_f64 v[2:3], v[22:23], v[2:3]
	v_add_co_u32 v8, vcc_lo, v28, s0
	v_add_co_ci_u32_e64 v9, null, s1, v29, vcc_lo
	v_add_co_u32 v8, vcc_lo, v8, v4
	v_add_co_ci_u32_e64 v9, null, v9, v5, vcc_lo
	flat_store_dwordx4 v[6:7], v[0:3] offset:768
	flat_load_dwordx4 v[0:3], v[8:9]
	v_mul_f64 v[6:7], s[40:41], v[20:21]
	v_mul_f64 v[20:21], s[38:39], v[20:21]
	v_fma_f64 v[6:7], s[38:39], v[18:19], -v[6:7]
	v_fma_f64 v[18:19], s[40:41], v[18:19], v[20:21]
	s_waitcnt vmcnt(0) lgkmcnt(0)
	v_mul_f64 v[22:23], s[16:17], v[2:3]
	v_mul_f64 v[2:3], s[14:15], v[2:3]
	v_fma_f64 v[20:21], s[14:15], v[0:1], -v[22:23]
	v_fma_f64 v[2:3], s[16:17], v[0:1], v[2:3]
	v_add_f64 v[0:1], v[6:7], v[20:21]
	v_add_f64 v[2:3], v[18:19], v[2:3]
	v_add_co_u32 v6, vcc_lo, v30, s2
	v_add_co_ci_u32_e64 v7, null, s3, v31, vcc_lo
	v_add_co_u32 v6, vcc_lo, v6, v4
	v_add_co_ci_u32_e64 v7, null, v7, v5, vcc_lo
	v_mul_f64 v[4:5], s[40:41], v[16:17]
	v_mul_f64 v[16:17], s[38:39], v[16:17]
	flat_store_dwordx4 v[6:7], v[0:3]
	flat_load_dwordx4 v[0:3], v[8:9] offset:256
	v_fma_f64 v[4:5], s[38:39], v[14:15], -v[4:5]
	v_fma_f64 v[14:15], s[40:41], v[14:15], v[16:17]
	s_waitcnt vmcnt(0) lgkmcnt(0)
	v_mul_f64 v[18:19], s[16:17], v[2:3]
	v_mul_f64 v[2:3], s[14:15], v[2:3]
	v_fma_f64 v[16:17], s[14:15], v[0:1], -v[18:19]
	v_fma_f64 v[2:3], s[16:17], v[0:1], v[2:3]
	v_add_f64 v[0:1], v[4:5], v[16:17]
	v_add_f64 v[2:3], v[14:15], v[2:3]
	v_mul_f64 v[4:5], s[40:41], v[12:13]
	v_mul_f64 v[12:13], s[38:39], v[12:13]
	flat_store_dwordx4 v[6:7], v[0:3] offset:256
	flat_load_dwordx4 v[0:3], v[8:9] offset:512
	v_fma_f64 v[4:5], s[38:39], v[10:11], -v[4:5]
	v_fma_f64 v[10:11], s[40:41], v[10:11], v[12:13]
	s_waitcnt vmcnt(0) lgkmcnt(0)
	v_mul_f64 v[14:15], s[16:17], v[2:3]
	v_mul_f64 v[2:3], s[14:15], v[2:3]
	v_fma_f64 v[12:13], s[14:15], v[0:1], -v[14:15]
	v_fma_f64 v[2:3], s[16:17], v[0:1], v[2:3]
	v_add_f64 v[0:1], v[4:5], v[12:13]
	v_add_f64 v[2:3], v[10:11], v[2:3]
	v_mul_f64 v[4:5], s[40:41], v[76:77]
	flat_store_dwordx4 v[6:7], v[0:3] offset:512
	flat_load_dwordx4 v[0:3], v[8:9] offset:768
	v_mul_f64 v[8:9], s[38:39], v[76:77]
	v_fma_f64 v[4:5], s[38:39], v[74:75], -v[4:5]
	v_fma_f64 v[8:9], s[40:41], v[74:75], v[8:9]
	s_waitcnt vmcnt(0) lgkmcnt(0)
	v_mul_f64 v[10:11], s[16:17], v[2:3]
	v_mul_f64 v[2:3], s[14:15], v[2:3]
	v_fma_f64 v[10:11], s[14:15], v[0:1], -v[10:11]
	v_fma_f64 v[0:1], s[16:17], v[0:1], v[2:3]
	v_add_f64 v[10:11], v[4:5], v[10:11]
	v_add_f64 v[2:3], v[8:9], v[0:1]
	v_add_co_u32 v4, vcc_lo, 0x300, v6
	v_add_co_ci_u32_e64 v5, null, 0, v7, vcc_lo
	flat_store_dwordx2 v[6:7], v[10:11] offset:768
.LBB251_8:
	flat_store_dwordx2 v[4:5], v[2:3] offset:8
	s_endpgm
	.section	.rodata,"a",@progbits
	.p2align	6, 0x0
	.amdhsa_kernel _ZN12_GLOBAL__N_127rocblas_gemm_batched_kernelI19rocblas_complex_numIdELi16ELi16ELi64ELi64ELi4ELi64ELi4ELi4ELi64ELc78ELc78EKPKS2_S5_KPS2_EEvlllT_PT11_llSA_llS8_PT12_llPT13_lli
		.amdhsa_group_segment_fixed_size 8192
		.amdhsa_private_segment_fixed_size 0
		.amdhsa_kernarg_size 156
		.amdhsa_user_sgpr_count 6
		.amdhsa_user_sgpr_private_segment_buffer 1
		.amdhsa_user_sgpr_dispatch_ptr 0
		.amdhsa_user_sgpr_queue_ptr 0
		.amdhsa_user_sgpr_kernarg_segment_ptr 1
		.amdhsa_user_sgpr_dispatch_id 0
		.amdhsa_user_sgpr_flat_scratch_init 0
		.amdhsa_user_sgpr_private_segment_size 0
		.amdhsa_wavefront_size32 1
		.amdhsa_uses_dynamic_stack 0
		.amdhsa_system_sgpr_private_segment_wavefront_offset 0
		.amdhsa_system_sgpr_workgroup_id_x 1
		.amdhsa_system_sgpr_workgroup_id_y 1
		.amdhsa_system_sgpr_workgroup_id_z 1
		.amdhsa_system_sgpr_workgroup_info 0
		.amdhsa_system_vgpr_workitem_id 1
		.amdhsa_next_free_vgpr 138
		.amdhsa_next_free_sgpr 52
		.amdhsa_reserve_vcc 1
		.amdhsa_reserve_flat_scratch 0
		.amdhsa_float_round_mode_32 0
		.amdhsa_float_round_mode_16_64 0
		.amdhsa_float_denorm_mode_32 3
		.amdhsa_float_denorm_mode_16_64 3
		.amdhsa_dx10_clamp 1
		.amdhsa_ieee_mode 1
		.amdhsa_fp16_overflow 0
		.amdhsa_workgroup_processor_mode 1
		.amdhsa_memory_ordered 1
		.amdhsa_forward_progress 1
		.amdhsa_shared_vgpr_count 0
		.amdhsa_exception_fp_ieee_invalid_op 0
		.amdhsa_exception_fp_denorm_src 0
		.amdhsa_exception_fp_ieee_div_zero 0
		.amdhsa_exception_fp_ieee_overflow 0
		.amdhsa_exception_fp_ieee_underflow 0
		.amdhsa_exception_fp_ieee_inexact 0
		.amdhsa_exception_int_div_zero 0
	.end_amdhsa_kernel
	.section	.text._ZN12_GLOBAL__N_127rocblas_gemm_batched_kernelI19rocblas_complex_numIdELi16ELi16ELi64ELi64ELi4ELi64ELi4ELi4ELi64ELc78ELc78EKPKS2_S5_KPS2_EEvlllT_PT11_llSA_llS8_PT12_llPT13_lli,"axG",@progbits,_ZN12_GLOBAL__N_127rocblas_gemm_batched_kernelI19rocblas_complex_numIdELi16ELi16ELi64ELi64ELi4ELi64ELi4ELi4ELi64ELc78ELc78EKPKS2_S5_KPS2_EEvlllT_PT11_llSA_llS8_PT12_llPT13_lli,comdat
.Lfunc_end251:
	.size	_ZN12_GLOBAL__N_127rocblas_gemm_batched_kernelI19rocblas_complex_numIdELi16ELi16ELi64ELi64ELi4ELi64ELi4ELi4ELi64ELc78ELc78EKPKS2_S5_KPS2_EEvlllT_PT11_llSA_llS8_PT12_llPT13_lli, .Lfunc_end251-_ZN12_GLOBAL__N_127rocblas_gemm_batched_kernelI19rocblas_complex_numIdELi16ELi16ELi64ELi64ELi4ELi64ELi4ELi4ELi64ELc78ELc78EKPKS2_S5_KPS2_EEvlllT_PT11_llSA_llS8_PT12_llPT13_lli
                                        ; -- End function
	.set _ZN12_GLOBAL__N_127rocblas_gemm_batched_kernelI19rocblas_complex_numIdELi16ELi16ELi64ELi64ELi4ELi64ELi4ELi4ELi64ELc78ELc78EKPKS2_S5_KPS2_EEvlllT_PT11_llSA_llS8_PT12_llPT13_lli.num_vgpr, 138
	.set _ZN12_GLOBAL__N_127rocblas_gemm_batched_kernelI19rocblas_complex_numIdELi16ELi16ELi64ELi64ELi4ELi64ELi4ELi4ELi64ELc78ELc78EKPKS2_S5_KPS2_EEvlllT_PT11_llSA_llS8_PT12_llPT13_lli.num_agpr, 0
	.set _ZN12_GLOBAL__N_127rocblas_gemm_batched_kernelI19rocblas_complex_numIdELi16ELi16ELi64ELi64ELi4ELi64ELi4ELi4ELi64ELc78ELc78EKPKS2_S5_KPS2_EEvlllT_PT11_llSA_llS8_PT12_llPT13_lli.numbered_sgpr, 52
	.set _ZN12_GLOBAL__N_127rocblas_gemm_batched_kernelI19rocblas_complex_numIdELi16ELi16ELi64ELi64ELi4ELi64ELi4ELi4ELi64ELc78ELc78EKPKS2_S5_KPS2_EEvlllT_PT11_llSA_llS8_PT12_llPT13_lli.num_named_barrier, 0
	.set _ZN12_GLOBAL__N_127rocblas_gemm_batched_kernelI19rocblas_complex_numIdELi16ELi16ELi64ELi64ELi4ELi64ELi4ELi4ELi64ELc78ELc78EKPKS2_S5_KPS2_EEvlllT_PT11_llSA_llS8_PT12_llPT13_lli.private_seg_size, 0
	.set _ZN12_GLOBAL__N_127rocblas_gemm_batched_kernelI19rocblas_complex_numIdELi16ELi16ELi64ELi64ELi4ELi64ELi4ELi4ELi64ELc78ELc78EKPKS2_S5_KPS2_EEvlllT_PT11_llSA_llS8_PT12_llPT13_lli.uses_vcc, 1
	.set _ZN12_GLOBAL__N_127rocblas_gemm_batched_kernelI19rocblas_complex_numIdELi16ELi16ELi64ELi64ELi4ELi64ELi4ELi4ELi64ELc78ELc78EKPKS2_S5_KPS2_EEvlllT_PT11_llSA_llS8_PT12_llPT13_lli.uses_flat_scratch, 0
	.set _ZN12_GLOBAL__N_127rocblas_gemm_batched_kernelI19rocblas_complex_numIdELi16ELi16ELi64ELi64ELi4ELi64ELi4ELi4ELi64ELc78ELc78EKPKS2_S5_KPS2_EEvlllT_PT11_llSA_llS8_PT12_llPT13_lli.has_dyn_sized_stack, 0
	.set _ZN12_GLOBAL__N_127rocblas_gemm_batched_kernelI19rocblas_complex_numIdELi16ELi16ELi64ELi64ELi4ELi64ELi4ELi4ELi64ELc78ELc78EKPKS2_S5_KPS2_EEvlllT_PT11_llSA_llS8_PT12_llPT13_lli.has_recursion, 0
	.set _ZN12_GLOBAL__N_127rocblas_gemm_batched_kernelI19rocblas_complex_numIdELi16ELi16ELi64ELi64ELi4ELi64ELi4ELi4ELi64ELc78ELc78EKPKS2_S5_KPS2_EEvlllT_PT11_llSA_llS8_PT12_llPT13_lli.has_indirect_call, 0
	.section	.AMDGPU.csdata,"",@progbits
; Kernel info:
; codeLenInByte = 7388
; TotalNumSgprs: 54
; NumVgprs: 138
; ScratchSize: 0
; MemoryBound: 0
; FloatMode: 240
; IeeeMode: 1
; LDSByteSize: 8192 bytes/workgroup (compile time only)
; SGPRBlocks: 0
; VGPRBlocks: 17
; NumSGPRsForWavesPerEU: 54
; NumVGPRsForWavesPerEU: 138
; Occupancy: 7
; WaveLimiterHint : 1
; COMPUTE_PGM_RSRC2:SCRATCH_EN: 0
; COMPUTE_PGM_RSRC2:USER_SGPR: 6
; COMPUTE_PGM_RSRC2:TRAP_HANDLER: 0
; COMPUTE_PGM_RSRC2:TGID_X_EN: 1
; COMPUTE_PGM_RSRC2:TGID_Y_EN: 1
; COMPUTE_PGM_RSRC2:TGID_Z_EN: 1
; COMPUTE_PGM_RSRC2:TIDIG_COMP_CNT: 1
	.section	.text._ZN12_GLOBAL__N_127rocblas_gemm_batched_kernelI19rocblas_complex_numIdELi16ELi16ELi64ELi64ELi4ELi64ELi4ELi4ELi64ELc84ELc78EKPKS2_S5_KPS2_EEvlllT_PT11_llSA_llS8_PT12_llPT13_lli,"axG",@progbits,_ZN12_GLOBAL__N_127rocblas_gemm_batched_kernelI19rocblas_complex_numIdELi16ELi16ELi64ELi64ELi4ELi64ELi4ELi4ELi64ELc84ELc78EKPKS2_S5_KPS2_EEvlllT_PT11_llSA_llS8_PT12_llPT13_lli,comdat
	.globl	_ZN12_GLOBAL__N_127rocblas_gemm_batched_kernelI19rocblas_complex_numIdELi16ELi16ELi64ELi64ELi4ELi64ELi4ELi4ELi64ELc84ELc78EKPKS2_S5_KPS2_EEvlllT_PT11_llSA_llS8_PT12_llPT13_lli ; -- Begin function _ZN12_GLOBAL__N_127rocblas_gemm_batched_kernelI19rocblas_complex_numIdELi16ELi16ELi64ELi64ELi4ELi64ELi4ELi4ELi64ELc84ELc78EKPKS2_S5_KPS2_EEvlllT_PT11_llSA_llS8_PT12_llPT13_lli
	.p2align	8
	.type	_ZN12_GLOBAL__N_127rocblas_gemm_batched_kernelI19rocblas_complex_numIdELi16ELi16ELi64ELi64ELi4ELi64ELi4ELi4ELi64ELc84ELc78EKPKS2_S5_KPS2_EEvlllT_PT11_llSA_llS8_PT12_llPT13_lli,@function
_ZN12_GLOBAL__N_127rocblas_gemm_batched_kernelI19rocblas_complex_numIdELi16ELi16ELi64ELi64ELi4ELi64ELi4ELi4ELi64ELc84ELc78EKPKS2_S5_KPS2_EEvlllT_PT11_llSA_llS8_PT12_llPT13_lli: ; @_ZN12_GLOBAL__N_127rocblas_gemm_batched_kernelI19rocblas_complex_numIdELi16ELi16ELi64ELi64ELi4ELi64ELi4ELi4ELi64ELc84ELc78EKPKS2_S5_KPS2_EEvlllT_PT11_llSA_llS8_PT12_llPT13_lli
; %bb.0:
	s_clause 0x1
	s_load_dwordx16 s[12:27], s[4:5], 0x50
	s_load_dwordx16 s[36:51], s[4:5], 0x10
	s_mov_b32 s9, 0
	s_mov_b32 s28, s7
	s_lshl_b64 s[10:11], s[8:9], 3
	s_waitcnt lgkmcnt(0)
	s_add_u32 s0, s18, s10
	s_addc_u32 s1, s19, s11
	s_add_u32 s2, s24, s10
	s_addc_u32 s3, s25, s11
	s_load_dwordx2 s[0:1], s[0:1], 0x0
	s_load_dwordx2 s[2:3], s[2:3], 0x0
	v_cmp_lt_i64_e64 s8, s[36:37], 1
	s_ashr_i32 s7, s6, 31
	s_ashr_i32 s29, s28, 31
	s_lshl_b64 s[6:7], s[6:7], 6
	s_and_b32 vcc_lo, exec_lo, s8
	s_lshl_b64 s[8:9], s[28:29], 6
	s_cbranch_vccnz .LBB252_3
; %bb.1:
	v_lshl_add_u32 v4, v1, 4, v0
	v_and_b32_e32 v2, 3, v0
	s_add_u32 s18, s42, s10
	s_addc_u32 s19, s43, s11
	s_add_u32 s10, s48, s10
	v_and_b32_e32 v5, 63, v4
	v_lshrrev_b32_e32 v7, 2, v4
	v_lshlrev_b32_e32 v8, 4, v2
	v_lshrrev_b32_e32 v12, 6, v4
	s_load_dwordx2 s[18:19], s[18:19], 0x0
	v_add_co_u32 v3, s24, s6, v5
	v_add_co_ci_u32_e64 v6, null, s7, 0, s24
	v_add_co_u32 v10, s24, v7, s8
	v_mul_lo_u32 v9, s45, v3
	v_mul_lo_u32 v6, s44, v6
	v_mad_u64_u32 v[2:3], null, s44, v3, 0
	v_add_co_ci_u32_e64 v11, null, 0, s9, s24
	v_lshlrev_b32_e32 v13, 4, v5
	v_mad_u64_u32 v[4:5], null, s50, v10, 0
	s_addc_u32 s11, s49, s11
	v_add3_u32 v3, v3, v6, v9
	v_mul_lo_u32 v6, s51, v10
	v_mul_lo_u32 v9, s50, v11
	v_lshl_or_b32 v7, v7, 6, v8
	s_load_dwordx2 s[10:11], s[10:11], 0x0
	v_lshlrev_b64 v[2:3], 4, v[2:3]
	s_lshl_b64 s[24:25], s[46:47], 4
	s_lshl_b64 s[12:13], s[12:13], 4
	v_add_nc_u32_e32 v91, 0x1000, v7
	v_lshlrev_b32_e32 v7, 4, v12
	v_add3_u32 v5, v5, v9, v6
	v_add_co_u32 v6, vcc_lo, v2, s24
	v_add_co_ci_u32_e64 v9, null, s25, v3, vcc_lo
	v_lshlrev_b64 v[2:3], 4, v[4:5]
	v_add_co_u32 v4, vcc_lo, v6, v7
	v_add_co_ci_u32_e64 v5, null, 0, v9, vcc_lo
	v_lshl_or_b32 v90, v12, 10, v13
	v_add_co_u32 v2, vcc_lo, v2, s12
	v_add_co_ci_u32_e64 v3, null, s13, v3, vcc_lo
	s_waitcnt lgkmcnt(0)
	v_add_co_u32 v26, vcc_lo, s18, v4
	v_add_co_ci_u32_e64 v27, null, s19, v5, vcc_lo
	v_add_co_u32 v2, vcc_lo, v2, v8
	v_add_co_ci_u32_e64 v3, null, 0, v3, vcc_lo
	v_mov_b32_e32 v76, 0
	v_add_co_u32 v28, vcc_lo, s10, v2
	v_mov_b32_e32 v74, 0
	v_mov_b32_e32 v12, 0
	;; [unrolled: 1-line block ×31, first 2 shown]
	v_lshlrev_b32_e32 v92, 4, v0
	v_lshl_add_u32 v93, v1, 6, 0x1000
	v_mov_b32_e32 v77, 0
	v_mov_b32_e32 v75, 0
	;; [unrolled: 1-line block ×32, first 2 shown]
	v_add_co_ci_u32_e64 v29, null, s11, v3, vcc_lo
	s_mov_b64 s[10:11], 0
.LBB252_2:                              ; =>This Inner Loop Header: Depth=1
	flat_load_dwordx4 v[2:5], v[26:27]
	s_add_u32 s10, s10, 4
	s_addc_u32 s11, s11, 0
	v_add_co_u32 v26, vcc_lo, v26, 64
	v_cmp_lt_i64_e64 s12, s[10:11], s[36:37]
	v_add_co_ci_u32_e64 v27, null, 0, v27, vcc_lo
	s_waitcnt vmcnt(0) lgkmcnt(0)
	ds_write2_b64 v90, v[2:3], v[4:5] offset1:1
	flat_load_dwordx4 v[2:5], v[28:29]
	v_add_co_u32 v28, vcc_lo, v28, 64
	v_add_co_ci_u32_e64 v29, null, 0, v29, vcc_lo
	s_and_b32 vcc_lo, exec_lo, s12
	s_waitcnt vmcnt(0) lgkmcnt(0)
	ds_write2_b64 v91, v[2:3], v[4:5] offset1:1
	s_waitcnt lgkmcnt(0)
	s_barrier
	buffer_gl0_inv
	ds_read_b128 v[78:81], v93
	ds_read_b128 v[82:85], v93 offset:16
	ds_read_b128 v[6:9], v93 offset:32
	;; [unrolled: 1-line block ×3, first 2 shown]
	ds_read_b128 v[86:89], v92
	s_waitcnt lgkmcnt(0)
	v_mul_f64 v[94:95], v[80:81], v[88:89]
	v_mul_f64 v[96:97], v[78:79], v[88:89]
	v_fma_f64 v[94:95], v[78:79], v[86:87], -v[94:95]
	v_fma_f64 v[96:97], v[80:81], v[86:87], v[96:97]
	v_add_f64 v[98:99], v[48:49], v[94:95]
	v_add_f64 v[100:101], v[96:97], v[52:53]
	ds_read_b128 v[94:97], v92 offset:256
	s_waitcnt lgkmcnt(0)
	v_mul_f64 v[48:49], v[80:81], v[96:97]
	v_mul_f64 v[52:53], v[78:79], v[96:97]
	v_fma_f64 v[48:49], v[78:79], v[94:95], -v[48:49]
	v_fma_f64 v[52:53], v[80:81], v[94:95], v[52:53]
	v_add_f64 v[102:103], v[34:35], v[48:49]
	v_add_f64 v[104:105], v[52:53], v[36:37]
	ds_read_b128 v[34:37], v92 offset:512
	;; [unrolled: 8-line block ×4, first 2 shown]
	s_waitcnt lgkmcnt(0)
	v_mul_f64 v[48:49], v[24:25], v[88:89]
	v_mul_f64 v[52:53], v[22:23], v[88:89]
	v_fma_f64 v[48:49], v[22:23], v[86:87], -v[48:49]
	v_fma_f64 v[52:53], v[24:25], v[86:87], v[52:53]
	v_add_f64 v[70:71], v[70:71], v[48:49]
	v_mul_f64 v[48:49], v[24:25], v[96:97]
	v_add_f64 v[72:73], v[52:53], v[72:73]
	v_mul_f64 v[52:53], v[22:23], v[96:97]
	v_fma_f64 v[48:49], v[22:23], v[94:95], -v[48:49]
	v_fma_f64 v[52:53], v[24:25], v[94:95], v[52:53]
	v_add_f64 v[110:111], v[62:63], v[48:49]
	v_mul_f64 v[48:49], v[24:25], v[36:37]
	v_add_f64 v[112:113], v[52:53], v[64:65]
	;; [unrolled: 6-line block ×3, first 2 shown]
	v_fma_f64 v[48:49], v[22:23], v[30:31], -v[48:49]
	v_mul_f64 v[22:23], v[22:23], v[32:33]
	v_add_f64 v[118:119], v[42:43], v[48:49]
	v_fma_f64 v[22:23], v[24:25], v[30:31], v[22:23]
	v_add_f64 v[120:121], v[22:23], v[46:47]
	ds_read_b128 v[22:25], v93 offset:2048
	s_waitcnt lgkmcnt(0)
	v_mul_f64 v[42:43], v[24:25], v[88:89]
	v_mul_f64 v[46:47], v[22:23], v[88:89]
	v_fma_f64 v[42:43], v[22:23], v[86:87], -v[42:43]
	v_fma_f64 v[46:47], v[24:25], v[86:87], v[46:47]
	v_add_f64 v[122:123], v[66:67], v[42:43]
	v_mul_f64 v[42:43], v[24:25], v[96:97]
	v_add_f64 v[124:125], v[46:47], v[68:69]
	v_mul_f64 v[46:47], v[22:23], v[96:97]
	v_fma_f64 v[42:43], v[22:23], v[94:95], -v[42:43]
	v_fma_f64 v[46:47], v[24:25], v[94:95], v[46:47]
	v_add_f64 v[126:127], v[56:57], v[42:43]
	v_mul_f64 v[42:43], v[24:25], v[36:37]
	v_add_f64 v[128:129], v[46:47], v[60:61]
	;; [unrolled: 6-line block ×3, first 2 shown]
	v_fma_f64 v[42:43], v[22:23], v[30:31], -v[42:43]
	v_mul_f64 v[22:23], v[22:23], v[32:33]
	v_add_f64 v[134:135], v[38:39], v[42:43]
	v_fma_f64 v[22:23], v[24:25], v[30:31], v[22:23]
	v_add_f64 v[136:137], v[22:23], v[40:41]
	ds_read_b128 v[22:25], v93 offset:3072
	s_waitcnt lgkmcnt(0)
	v_mul_f64 v[38:39], v[24:25], v[88:89]
	v_mul_f64 v[40:41], v[22:23], v[88:89]
	v_fma_f64 v[38:39], v[22:23], v[86:87], -v[38:39]
	v_fma_f64 v[40:41], v[24:25], v[86:87], v[40:41]
	v_add_f64 v[58:59], v[18:19], v[38:39]
	v_add_f64 v[60:61], v[40:41], v[20:21]
	v_mul_f64 v[18:19], v[24:25], v[96:97]
	v_mul_f64 v[20:21], v[22:23], v[96:97]
	v_fma_f64 v[18:19], v[22:23], v[94:95], -v[18:19]
	v_fma_f64 v[20:21], v[24:25], v[94:95], v[20:21]
	v_add_f64 v[54:55], v[14:15], v[18:19]
	v_add_f64 v[56:57], v[20:21], v[16:17]
	v_mul_f64 v[14:15], v[24:25], v[36:37]
	v_mul_f64 v[16:17], v[22:23], v[36:37]
	ds_read_b128 v[18:21], v92 offset:1280
	v_fma_f64 v[14:15], v[22:23], v[34:35], -v[14:15]
	v_fma_f64 v[16:17], v[24:25], v[34:35], v[16:17]
	v_add_f64 v[50:51], v[10:11], v[14:15]
	v_add_f64 v[52:53], v[16:17], v[12:13]
	v_mul_f64 v[10:11], v[24:25], v[32:33]
	v_mul_f64 v[12:13], v[22:23], v[32:33]
	ds_read_b128 v[14:17], v92 offset:1536
	v_fma_f64 v[10:11], v[22:23], v[30:31], -v[10:11]
	v_fma_f64 v[12:13], v[24:25], v[30:31], v[12:13]
	ds_read_b128 v[22:25], v92 offset:1024
	v_add_f64 v[46:47], v[74:75], v[10:11]
	v_add_f64 v[48:49], v[12:13], v[76:77]
	s_waitcnt lgkmcnt(0)
	v_mul_f64 v[10:11], v[84:85], v[24:25]
	v_mul_f64 v[12:13], v[82:83], v[24:25]
	ds_read_b128 v[74:77], v93 offset:1040
	v_fma_f64 v[10:11], v[82:83], v[22:23], -v[10:11]
	v_fma_f64 v[12:13], v[84:85], v[22:23], v[12:13]
	s_waitcnt lgkmcnt(0)
	v_mul_f64 v[62:63], v[76:77], v[24:25]
	v_mul_f64 v[64:65], v[74:75], v[24:25]
	;; [unrolled: 1-line block ×4, first 2 shown]
	v_add_f64 v[42:43], v[98:99], v[10:11]
	v_add_f64 v[44:45], v[12:13], v[100:101]
	v_mul_f64 v[10:11], v[84:85], v[20:21]
	v_mul_f64 v[12:13], v[82:83], v[20:21]
	v_fma_f64 v[62:63], v[74:75], v[22:23], -v[62:63]
	v_fma_f64 v[64:65], v[76:77], v[22:23], v[64:65]
	v_fma_f64 v[66:67], v[74:75], v[18:19], -v[66:67]
	v_fma_f64 v[68:69], v[76:77], v[18:19], v[68:69]
	;; [unrolled: 2-line block ×3, first 2 shown]
	v_add_f64 v[62:63], v[70:71], v[62:63]
	v_mul_f64 v[70:71], v[76:77], v[16:17]
	v_add_f64 v[64:65], v[64:65], v[72:73]
	v_mul_f64 v[72:73], v[74:75], v[16:17]
	v_add_f64 v[66:67], v[110:111], v[66:67]
	v_add_f64 v[68:69], v[68:69], v[112:113]
	;; [unrolled: 1-line block ×4, first 2 shown]
	v_mul_f64 v[10:11], v[84:85], v[16:17]
	v_mul_f64 v[12:13], v[82:83], v[16:17]
	v_fma_f64 v[70:71], v[74:75], v[14:15], -v[70:71]
	v_fma_f64 v[72:73], v[76:77], v[14:15], v[72:73]
	v_fma_f64 v[10:11], v[82:83], v[14:15], -v[10:11]
	v_fma_f64 v[12:13], v[84:85], v[14:15], v[12:13]
	v_add_f64 v[70:71], v[114:115], v[70:71]
	v_add_f64 v[72:73], v[72:73], v[116:117]
	;; [unrolled: 1-line block ×4, first 2 shown]
	ds_read_b128 v[10:13], v92 offset:1792
	s_waitcnt lgkmcnt(0)
	v_mul_f64 v[30:31], v[84:85], v[12:13]
	v_mul_f64 v[32:33], v[82:83], v[12:13]
	v_fma_f64 v[30:31], v[82:83], v[10:11], -v[30:31]
	v_fma_f64 v[32:33], v[84:85], v[10:11], v[32:33]
	v_add_f64 v[30:31], v[78:79], v[30:31]
	v_mul_f64 v[78:79], v[76:77], v[12:13]
	v_add_f64 v[32:33], v[32:33], v[80:81]
	v_fma_f64 v[78:79], v[74:75], v[10:11], -v[78:79]
	v_mul_f64 v[74:75], v[74:75], v[12:13]
	v_fma_f64 v[76:77], v[76:77], v[10:11], v[74:75]
	v_add_f64 v[74:75], v[118:119], v[78:79]
	ds_read_b128 v[78:81], v93 offset:2064
	s_waitcnt lgkmcnt(0)
	v_mul_f64 v[82:83], v[80:81], v[24:25]
	v_mul_f64 v[86:87], v[80:81], v[20:21]
	;; [unrolled: 1-line block ×7, first 2 shown]
	v_add_f64 v[76:77], v[76:77], v[120:121]
	v_fma_f64 v[82:83], v[78:79], v[22:23], -v[82:83]
	v_fma_f64 v[86:87], v[78:79], v[18:19], -v[86:87]
	;; [unrolled: 1-line block ×4, first 2 shown]
	v_mul_f64 v[78:79], v[78:79], v[12:13]
	v_fma_f64 v[84:85], v[80:81], v[22:23], v[84:85]
	v_fma_f64 v[88:89], v[80:81], v[18:19], v[88:89]
	;; [unrolled: 1-line block ×3, first 2 shown]
	v_add_f64 v[82:83], v[122:123], v[82:83]
	v_add_f64 v[86:87], v[126:127], v[86:87]
	;; [unrolled: 1-line block ×4, first 2 shown]
	v_fma_f64 v[78:79], v[80:81], v[10:11], v[78:79]
	v_add_f64 v[84:85], v[84:85], v[124:125]
	v_add_f64 v[88:89], v[88:89], v[128:129]
	;; [unrolled: 1-line block ×4, first 2 shown]
	ds_read_b128 v[78:81], v93 offset:3088
	s_waitcnt lgkmcnt(0)
	v_mul_f64 v[102:103], v[80:81], v[24:25]
	v_mul_f64 v[24:25], v[78:79], v[24:25]
	v_fma_f64 v[102:103], v[78:79], v[22:23], -v[102:103]
	v_fma_f64 v[22:23], v[80:81], v[22:23], v[24:25]
	v_add_f64 v[58:59], v[58:59], v[102:103]
	v_add_f64 v[60:61], v[22:23], v[60:61]
	v_mul_f64 v[22:23], v[80:81], v[20:21]
	v_mul_f64 v[20:21], v[78:79], v[20:21]
	v_fma_f64 v[22:23], v[78:79], v[18:19], -v[22:23]
	v_fma_f64 v[18:19], v[80:81], v[18:19], v[20:21]
	v_add_f64 v[54:55], v[54:55], v[22:23]
	v_add_f64 v[56:57], v[18:19], v[56:57]
	;; [unrolled: 6-line block ×4, first 2 shown]
	ds_read_b128 v[10:13], v92 offset:2048
	s_waitcnt lgkmcnt(0)
	v_mul_f64 v[14:15], v[8:9], v[12:13]
	v_mul_f64 v[16:17], v[6:7], v[12:13]
	v_fma_f64 v[14:15], v[6:7], v[10:11], -v[14:15]
	v_fma_f64 v[16:17], v[8:9], v[10:11], v[16:17]
	v_add_f64 v[42:43], v[42:43], v[14:15]
	v_add_f64 v[44:45], v[16:17], v[44:45]
	ds_read_b128 v[14:17], v92 offset:2304
	s_waitcnt lgkmcnt(0)
	v_mul_f64 v[18:19], v[8:9], v[16:17]
	v_mul_f64 v[20:21], v[6:7], v[16:17]
	v_fma_f64 v[18:19], v[6:7], v[14:15], -v[18:19]
	v_fma_f64 v[20:21], v[8:9], v[14:15], v[20:21]
	v_add_f64 v[38:39], v[38:39], v[18:19]
	v_add_f64 v[40:41], v[20:21], v[40:41]
	;; [unrolled: 8-line block ×3, first 2 shown]
	ds_read_b128 v[22:25], v92 offset:2816
	s_waitcnt lgkmcnt(0)
	v_mul_f64 v[34:35], v[8:9], v[24:25]
	v_fma_f64 v[34:35], v[6:7], v[22:23], -v[34:35]
	v_mul_f64 v[6:7], v[6:7], v[24:25]
	v_add_f64 v[106:107], v[30:31], v[34:35]
	v_fma_f64 v[6:7], v[8:9], v[22:23], v[6:7]
	v_add_f64 v[108:109], v[6:7], v[32:33]
	ds_read_b128 v[6:9], v93 offset:1056
	s_waitcnt lgkmcnt(0)
	v_mul_f64 v[30:31], v[8:9], v[12:13]
	v_mul_f64 v[32:33], v[6:7], v[12:13]
	v_fma_f64 v[30:31], v[6:7], v[10:11], -v[30:31]
	v_fma_f64 v[32:33], v[8:9], v[10:11], v[32:33]
	v_add_f64 v[62:63], v[62:63], v[30:31]
	v_mul_f64 v[30:31], v[8:9], v[16:17]
	v_add_f64 v[64:65], v[32:33], v[64:65]
	v_mul_f64 v[32:33], v[6:7], v[16:17]
	v_fma_f64 v[30:31], v[6:7], v[14:15], -v[30:31]
	v_fma_f64 v[32:33], v[8:9], v[14:15], v[32:33]
	v_add_f64 v[66:67], v[66:67], v[30:31]
	v_mul_f64 v[30:31], v[8:9], v[20:21]
	v_add_f64 v[68:69], v[32:33], v[68:69]
	;; [unrolled: 6-line block ×3, first 2 shown]
	v_fma_f64 v[30:31], v[6:7], v[22:23], -v[30:31]
	v_mul_f64 v[6:7], v[6:7], v[24:25]
	v_add_f64 v[114:115], v[74:75], v[30:31]
	v_fma_f64 v[6:7], v[8:9], v[22:23], v[6:7]
	v_add_f64 v[116:117], v[6:7], v[76:77]
	ds_read_b128 v[6:9], v93 offset:2080
	s_waitcnt lgkmcnt(0)
	v_mul_f64 v[30:31], v[8:9], v[12:13]
	v_mul_f64 v[32:33], v[6:7], v[12:13]
	v_fma_f64 v[30:31], v[6:7], v[10:11], -v[30:31]
	v_fma_f64 v[32:33], v[8:9], v[10:11], v[32:33]
	v_add_f64 v[118:119], v[82:83], v[30:31]
	v_mul_f64 v[30:31], v[8:9], v[16:17]
	v_add_f64 v[120:121], v[32:33], v[84:85]
	v_mul_f64 v[32:33], v[6:7], v[16:17]
	v_fma_f64 v[30:31], v[6:7], v[14:15], -v[30:31]
	v_fma_f64 v[32:33], v[8:9], v[14:15], v[32:33]
	v_add_f64 v[122:123], v[86:87], v[30:31]
	v_mul_f64 v[30:31], v[8:9], v[20:21]
	v_add_f64 v[124:125], v[32:33], v[88:89]
	;; [unrolled: 6-line block ×3, first 2 shown]
	v_fma_f64 v[30:31], v[6:7], v[22:23], -v[30:31]
	v_mul_f64 v[6:7], v[6:7], v[24:25]
	v_add_f64 v[98:99], v[98:99], v[30:31]
	v_fma_f64 v[6:7], v[8:9], v[22:23], v[6:7]
	v_add_f64 v[100:101], v[6:7], v[100:101]
	ds_read_b128 v[6:9], v93 offset:3104
	s_waitcnt lgkmcnt(0)
	v_mul_f64 v[30:31], v[8:9], v[12:13]
	v_mul_f64 v[12:13], v[6:7], v[12:13]
	v_fma_f64 v[30:31], v[6:7], v[10:11], -v[30:31]
	v_fma_f64 v[10:11], v[8:9], v[10:11], v[12:13]
	v_mul_f64 v[12:13], v[6:7], v[16:17]
	v_add_f64 v[86:87], v[58:59], v[30:31]
	v_add_f64 v[88:89], v[10:11], v[60:61]
	v_mul_f64 v[10:11], v[8:9], v[16:17]
	v_fma_f64 v[12:13], v[8:9], v[14:15], v[12:13]
	v_fma_f64 v[10:11], v[6:7], v[14:15], -v[10:11]
	v_add_f64 v[84:85], v[12:13], v[56:57]
	v_mul_f64 v[12:13], v[6:7], v[20:21]
	ds_read_b128 v[14:17], v92 offset:3328
	v_add_f64 v[82:83], v[54:55], v[10:11]
	v_mul_f64 v[10:11], v[8:9], v[20:21]
	v_fma_f64 v[12:13], v[8:9], v[18:19], v[12:13]
	v_fma_f64 v[10:11], v[6:7], v[18:19], -v[10:11]
	ds_read_b128 v[18:21], v92 offset:3072
	v_add_f64 v[80:81], v[12:13], v[52:53]
	v_add_f64 v[78:79], v[50:51], v[10:11]
	v_mul_f64 v[10:11], v[8:9], v[24:25]
	v_fma_f64 v[10:11], v[6:7], v[22:23], -v[10:11]
	v_mul_f64 v[6:7], v[6:7], v[24:25]
	v_add_f64 v[74:75], v[46:47], v[10:11]
	v_fma_f64 v[6:7], v[8:9], v[22:23], v[6:7]
	s_waitcnt lgkmcnt(0)
	v_mul_f64 v[8:9], v[2:3], v[20:21]
	ds_read_b128 v[10:13], v92 offset:3584
	v_add_f64 v[76:77], v[6:7], v[48:49]
	v_mul_f64 v[6:7], v[4:5], v[20:21]
	v_fma_f64 v[8:9], v[4:5], v[18:19], v[8:9]
	v_fma_f64 v[6:7], v[2:3], v[18:19], -v[6:7]
	v_add_f64 v[52:53], v[8:9], v[44:45]
	v_mul_f64 v[8:9], v[2:3], v[16:17]
	v_add_f64 v[48:49], v[42:43], v[6:7]
	v_mul_f64 v[6:7], v[4:5], v[16:17]
	v_fma_f64 v[8:9], v[4:5], v[14:15], v[8:9]
	v_fma_f64 v[6:7], v[2:3], v[14:15], -v[6:7]
	v_add_f64 v[36:37], v[8:9], v[40:41]
	s_waitcnt lgkmcnt(0)
	v_mul_f64 v[8:9], v[2:3], v[12:13]
	v_add_f64 v[34:35], v[38:39], v[6:7]
	v_mul_f64 v[6:7], v[4:5], v[12:13]
	v_fma_f64 v[8:9], v[4:5], v[10:11], v[8:9]
	v_fma_f64 v[6:7], v[2:3], v[10:11], -v[6:7]
	v_add_f64 v[32:33], v[8:9], v[104:105]
	v_add_f64 v[30:31], v[102:103], v[6:7]
	ds_read_b128 v[6:9], v92 offset:3840
	s_waitcnt lgkmcnt(0)
	v_mul_f64 v[22:23], v[4:5], v[8:9]
	v_fma_f64 v[22:23], v[2:3], v[6:7], -v[22:23]
	v_mul_f64 v[2:3], v[2:3], v[8:9]
	v_add_f64 v[22:23], v[106:107], v[22:23]
	v_fma_f64 v[2:3], v[4:5], v[6:7], v[2:3]
	v_add_f64 v[24:25], v[2:3], v[108:109]
	ds_read_b128 v[2:5], v93 offset:1072
	s_waitcnt lgkmcnt(0)
	v_mul_f64 v[38:39], v[4:5], v[20:21]
	v_mul_f64 v[40:41], v[2:3], v[20:21]
	v_fma_f64 v[38:39], v[2:3], v[18:19], -v[38:39]
	v_fma_f64 v[40:41], v[4:5], v[18:19], v[40:41]
	v_add_f64 v[70:71], v[62:63], v[38:39]
	v_mul_f64 v[38:39], v[4:5], v[16:17]
	v_add_f64 v[72:73], v[40:41], v[64:65]
	v_mul_f64 v[40:41], v[2:3], v[16:17]
	v_fma_f64 v[38:39], v[2:3], v[14:15], -v[38:39]
	v_fma_f64 v[40:41], v[4:5], v[14:15], v[40:41]
	v_add_f64 v[62:63], v[66:67], v[38:39]
	v_mul_f64 v[38:39], v[4:5], v[12:13]
	v_add_f64 v[64:65], v[40:41], v[68:69]
	;; [unrolled: 6-line block ×3, first 2 shown]
	v_fma_f64 v[38:39], v[2:3], v[6:7], -v[38:39]
	v_mul_f64 v[2:3], v[2:3], v[8:9]
	v_add_f64 v[42:43], v[114:115], v[38:39]
	v_fma_f64 v[2:3], v[4:5], v[6:7], v[2:3]
	v_add_f64 v[46:47], v[2:3], v[116:117]
	ds_read_b128 v[2:5], v93 offset:2096
	s_waitcnt lgkmcnt(0)
	v_mul_f64 v[38:39], v[4:5], v[20:21]
	v_mul_f64 v[40:41], v[2:3], v[20:21]
	v_fma_f64 v[38:39], v[2:3], v[18:19], -v[38:39]
	v_fma_f64 v[40:41], v[4:5], v[18:19], v[40:41]
	v_add_f64 v[66:67], v[118:119], v[38:39]
	v_mul_f64 v[38:39], v[4:5], v[16:17]
	v_add_f64 v[68:69], v[40:41], v[120:121]
	v_mul_f64 v[40:41], v[2:3], v[16:17]
	v_fma_f64 v[38:39], v[2:3], v[14:15], -v[38:39]
	v_fma_f64 v[40:41], v[4:5], v[14:15], v[40:41]
	v_add_f64 v[56:57], v[122:123], v[38:39]
	v_mul_f64 v[38:39], v[4:5], v[12:13]
	v_add_f64 v[60:61], v[40:41], v[124:125]
	;; [unrolled: 6-line block ×3, first 2 shown]
	v_fma_f64 v[38:39], v[2:3], v[6:7], -v[38:39]
	v_mul_f64 v[2:3], v[2:3], v[8:9]
	v_add_f64 v[38:39], v[98:99], v[38:39]
	v_fma_f64 v[2:3], v[4:5], v[6:7], v[2:3]
	v_add_f64 v[40:41], v[2:3], v[100:101]
	ds_read_b128 v[2:5], v93 offset:3120
	s_waitcnt lgkmcnt(0)
	s_barrier
	buffer_gl0_inv
	v_mul_f64 v[94:95], v[4:5], v[20:21]
	v_mul_f64 v[20:21], v[2:3], v[20:21]
	v_fma_f64 v[94:95], v[2:3], v[18:19], -v[94:95]
	v_fma_f64 v[20:21], v[4:5], v[18:19], v[20:21]
	v_add_f64 v[18:19], v[86:87], v[94:95]
	v_mul_f64 v[86:87], v[4:5], v[16:17]
	v_mul_f64 v[16:17], v[2:3], v[16:17]
	v_add_f64 v[20:21], v[20:21], v[88:89]
	v_fma_f64 v[86:87], v[2:3], v[14:15], -v[86:87]
	v_fma_f64 v[16:17], v[4:5], v[14:15], v[16:17]
	v_add_f64 v[14:15], v[82:83], v[86:87]
	v_mul_f64 v[82:83], v[4:5], v[12:13]
	v_mul_f64 v[12:13], v[2:3], v[12:13]
	v_add_f64 v[16:17], v[16:17], v[84:85]
	v_fma_f64 v[82:83], v[2:3], v[10:11], -v[82:83]
	v_fma_f64 v[12:13], v[4:5], v[10:11], v[12:13]
	v_add_f64 v[10:11], v[78:79], v[82:83]
	v_mul_f64 v[78:79], v[4:5], v[8:9]
	v_add_f64 v[12:13], v[12:13], v[80:81]
	v_fma_f64 v[78:79], v[2:3], v[6:7], -v[78:79]
	v_mul_f64 v[2:3], v[2:3], v[8:9]
	v_add_f64 v[74:75], v[74:75], v[78:79]
	v_fma_f64 v[2:3], v[4:5], v[6:7], v[2:3]
	v_add_f64 v[76:77], v[2:3], v[76:77]
	s_cbranch_vccnz .LBB252_2
	s_branch .LBB252_4
.LBB252_3:
	v_mov_b32_e32 v48, 0
	v_mov_b32_e32 v52, 0
	;; [unrolled: 1-line block ×64, first 2 shown]
.LBB252_4:
	s_load_dwordx2 s[4:5], s[4:5], 0x90
	v_cmp_neq_f64_e64 s10, s[14:15], 0
	v_cmp_neq_f64_e64 s11, s[16:17], 0
	v_add_co_u32 v6, s8, s8, v1
	v_add_co_ci_u32_e64 v7, null, s9, 0, s8
	s_waitcnt lgkmcnt(0)
	s_lshl_b64 s[4:5], s[4:5], 4
	s_add_u32 s4, s2, s4
	s_addc_u32 s5, s3, s5
	v_add_co_u32 v0, s3, s6, v0
	v_add_co_ci_u32_e64 v1, null, s7, 0, s3
	s_or_b32 s2, s10, s11
	s_and_b32 vcc_lo, exec_lo, s2
	s_cbranch_vccnz .LBB252_6
; %bb.5:
	v_mul_f64 v[4:5], s[40:41], v[52:53]
	v_mul_f64 v[8:9], s[38:39], v[52:53]
	v_mul_lo_u32 v78, v7, s26
	v_mul_lo_u32 v79, v6, s27
	v_mad_u64_u32 v[2:3], null, v6, s26, 0
	v_mul_f64 v[26:27], s[40:41], v[36:37]
	v_mul_f64 v[28:29], s[38:39], v[36:37]
	;; [unrolled: 1-line block ×6, first 2 shown]
	v_add3_u32 v3, v3, v79, v78
	v_mul_f64 v[78:79], s[40:41], v[32:33]
	v_mul_f64 v[88:89], s[38:39], v[72:73]
	;; [unrolled: 1-line block ×4, first 2 shown]
	v_lshlrev_b64 v[2:3], 4, v[2:3]
	v_mul_f64 v[94:95], s[40:41], v[58:59]
	v_mul_f64 v[96:97], s[38:39], v[58:59]
	;; [unrolled: 1-line block ×4, first 2 shown]
	s_lshl_b64 s[2:3], s[26:27], 8
	v_add_co_u32 v104, vcc_lo, s4, v2
	v_add_co_ci_u32_e64 v105, null, s5, v3, vcc_lo
	v_fma_f64 v[2:3], s[38:39], v[48:49], -v[4:5]
	v_fma_f64 v[4:5], s[40:41], v[48:49], v[8:9]
	v_lshlrev_b64 v[8:9], 4, v[0:1]
	v_fma_f64 v[26:27], s[38:39], v[34:35], -v[26:27]
	v_fma_f64 v[28:29], s[40:41], v[34:35], v[28:29]
	v_fma_f64 v[80:81], s[40:41], v[30:31], v[80:81]
	v_fma_f64 v[82:83], s[38:39], v[22:23], -v[82:83]
	v_fma_f64 v[84:85], s[40:41], v[22:23], v[84:85]
	v_add_co_u32 v102, vcc_lo, v104, v8
	v_fma_f64 v[78:79], s[38:39], v[30:31], -v[78:79]
	v_add_co_ci_u32_e64 v103, null, v105, v9, vcc_lo
	v_fma_f64 v[86:87], s[38:39], v[70:71], -v[86:87]
	v_fma_f64 v[88:89], s[40:41], v[70:71], v[88:89]
	v_fma_f64 v[90:91], s[38:39], v[62:63], -v[90:91]
	v_fma_f64 v[92:93], s[40:41], v[62:63], v[92:93]
	;; [unrolled: 2-line block ×3, first 2 shown]
	v_add_co_u32 v106, vcc_lo, v104, s2
	v_add_co_ci_u32_e64 v107, null, s3, v105, vcc_lo
	flat_store_dwordx4 v[102:103], v[2:5]
	v_fma_f64 v[2:3], s[38:39], v[42:43], -v[98:99]
	v_fma_f64 v[4:5], s[40:41], v[42:43], v[100:101]
	v_add_co_u32 v104, vcc_lo, v106, v8
	v_add_co_ci_u32_e64 v105, null, v107, v9, vcc_lo
	flat_store_dwordx4 v[102:103], v[26:29] offset:256
	flat_store_dwordx4 v[102:103], v[78:81] offset:512
	;; [unrolled: 1-line block ×3, first 2 shown]
	flat_store_dwordx4 v[104:105], v[86:89]
	flat_store_dwordx4 v[104:105], v[90:93] offset:256
	flat_store_dwordx4 v[104:105], v[94:97] offset:512
	v_mul_f64 v[26:27], s[40:41], v[68:69]
	v_mul_f64 v[28:29], s[38:39], v[68:69]
	;; [unrolled: 1-line block ×12, first 2 shown]
	flat_store_dwordx4 v[104:105], v[2:5] offset:768
	v_mul_f64 v[2:3], s[40:41], v[76:77]
	v_mul_f64 v[4:5], s[38:39], v[76:77]
	;; [unrolled: 1-line block ×4, first 2 shown]
	v_add_co_u32 v104, vcc_lo, v106, s2
	v_add_co_ci_u32_e64 v105, null, s3, v107, vcc_lo
	v_fma_f64 v[26:27], s[38:39], v[66:67], -v[26:27]
	v_fma_f64 v[28:29], s[40:41], v[66:67], v[28:29]
	v_fma_f64 v[78:79], s[38:39], v[56:57], -v[78:79]
	v_fma_f64 v[80:81], s[40:41], v[56:57], v[80:81]
	;; [unrolled: 2-line block ×6, first 2 shown]
	v_add_co_u32 v106, vcc_lo, v104, s2
	v_fma_f64 v[102:103], s[38:39], v[74:75], -v[2:3]
	v_fma_f64 v[2:3], s[40:41], v[74:75], v[4:5]
	v_fma_f64 v[98:99], s[38:39], v[10:11], -v[98:99]
	v_fma_f64 v[100:101], s[40:41], v[10:11], v[100:101]
	v_add_co_ci_u32_e64 v107, null, s3, v105, vcc_lo
	v_add_co_u32 v4, vcc_lo, v104, v8
	v_add_co_ci_u32_e64 v5, null, v105, v9, vcc_lo
	v_add_co_u32 v8, vcc_lo, v106, v8
	v_add_co_ci_u32_e64 v9, null, v107, v9, vcc_lo
	flat_store_dwordx4 v[4:5], v[26:29]
	flat_store_dwordx4 v[4:5], v[78:81] offset:256
	flat_store_dwordx4 v[4:5], v[82:85] offset:512
	;; [unrolled: 1-line block ×3, first 2 shown]
	flat_store_dwordx4 v[8:9], v[90:93]
	v_add_co_u32 v4, vcc_lo, 0x300, v8
	v_add_co_ci_u32_e64 v5, null, 0, v9, vcc_lo
	flat_store_dwordx4 v[8:9], v[94:97] offset:256
	flat_store_dwordx4 v[8:9], v[98:101] offset:512
	flat_store_dwordx2 v[8:9], v[102:103] offset:768
	s_cbranch_execz .LBB252_7
	s_branch .LBB252_8
.LBB252_6:
                                        ; implicit-def: $vgpr2_vgpr3
                                        ; implicit-def: $vgpr4_vgpr5
.LBB252_7:
	v_mul_lo_u32 v4, v7, s20
	v_mul_lo_u32 v5, v6, s21
	v_mad_u64_u32 v[2:3], null, v6, s20, 0
	s_lshl_b64 s[2:3], s[22:23], 4
	v_mul_f64 v[26:27], s[40:41], v[52:53]
	s_add_u32 s0, s0, s2
	s_addc_u32 s1, s1, s3
	v_mul_f64 v[28:29], s[38:39], v[52:53]
	s_lshl_b64 s[2:3], s[26:27], 8
	v_add3_u32 v3, v3, v5, v4
	v_lshlrev_b64 v[4:5], 4, v[0:1]
	v_lshlrev_b64 v[2:3], 4, v[2:3]
	v_add_co_u32 v78, vcc_lo, s0, v2
	v_add_co_ci_u32_e64 v79, null, s1, v3, vcc_lo
	s_lshl_b64 s[0:1], s[20:21], 8
	v_add_co_u32 v8, vcc_lo, v78, v4
	v_add_co_ci_u32_e64 v9, null, v79, v5, vcc_lo
	v_fma_f64 v[26:27], s[38:39], v[48:49], -v[26:27]
	v_fma_f64 v[28:29], s[40:41], v[48:49], v[28:29]
	flat_load_dwordx4 v[0:3], v[8:9]
	s_waitcnt vmcnt(0) lgkmcnt(0)
	v_mul_f64 v[52:53], s[16:17], v[2:3]
	v_mul_f64 v[2:3], s[14:15], v[2:3]
	v_fma_f64 v[48:49], s[14:15], v[0:1], -v[52:53]
	v_fma_f64 v[2:3], s[16:17], v[0:1], v[2:3]
	v_mul_lo_u32 v0, v7, s26
	v_mul_lo_u32 v1, v6, s27
	v_mad_u64_u32 v[6:7], null, v6, s26, 0
	v_add3_u32 v7, v7, v1, v0
	v_lshlrev_b64 v[6:7], 4, v[6:7]
	v_add_f64 v[0:1], v[26:27], v[48:49]
	v_add_f64 v[2:3], v[28:29], v[2:3]
	v_add_co_u32 v48, vcc_lo, s4, v6
	v_add_co_ci_u32_e64 v49, null, s5, v7, vcc_lo
	v_mul_f64 v[26:27], s[40:41], v[36:37]
	v_add_co_u32 v6, vcc_lo, v48, v4
	v_add_co_ci_u32_e64 v7, null, v49, v5, vcc_lo
	v_mul_f64 v[28:29], s[38:39], v[36:37]
	flat_store_dwordx4 v[6:7], v[0:3]
	flat_load_dwordx4 v[0:3], v[8:9] offset:256
	v_fma_f64 v[26:27], s[38:39], v[34:35], -v[26:27]
	v_fma_f64 v[28:29], s[40:41], v[34:35], v[28:29]
	s_waitcnt vmcnt(0) lgkmcnt(0)
	v_mul_f64 v[36:37], s[16:17], v[2:3]
	v_mul_f64 v[2:3], s[14:15], v[2:3]
	v_fma_f64 v[34:35], s[14:15], v[0:1], -v[36:37]
	v_fma_f64 v[2:3], s[16:17], v[0:1], v[2:3]
	v_add_f64 v[0:1], v[26:27], v[34:35]
	v_add_f64 v[2:3], v[28:29], v[2:3]
	v_mul_f64 v[26:27], s[40:41], v[32:33]
	v_mul_f64 v[28:29], s[38:39], v[32:33]
	flat_store_dwordx4 v[6:7], v[0:3] offset:256
	flat_load_dwordx4 v[0:3], v[8:9] offset:512
	v_fma_f64 v[26:27], s[38:39], v[30:31], -v[26:27]
	v_fma_f64 v[28:29], s[40:41], v[30:31], v[28:29]
	s_waitcnt vmcnt(0) lgkmcnt(0)
	v_mul_f64 v[32:33], s[16:17], v[2:3]
	v_mul_f64 v[2:3], s[14:15], v[2:3]
	v_fma_f64 v[30:31], s[14:15], v[0:1], -v[32:33]
	v_fma_f64 v[2:3], s[16:17], v[0:1], v[2:3]
	v_add_f64 v[0:1], v[26:27], v[30:31]
	v_add_f64 v[2:3], v[28:29], v[2:3]
	v_add_co_u32 v28, vcc_lo, v78, s0
	v_add_co_ci_u32_e64 v29, null, s1, v79, vcc_lo
	flat_store_dwordx4 v[6:7], v[0:3] offset:512
	flat_load_dwordx4 v[0:3], v[8:9] offset:768
	v_mul_f64 v[8:9], s[40:41], v[24:25]
	v_mul_f64 v[24:25], s[38:39], v[24:25]
	v_fma_f64 v[8:9], s[38:39], v[22:23], -v[8:9]
	v_fma_f64 v[22:23], s[40:41], v[22:23], v[24:25]
	s_waitcnt vmcnt(0) lgkmcnt(0)
	v_mul_f64 v[26:27], s[16:17], v[2:3]
	v_mul_f64 v[2:3], s[14:15], v[2:3]
	v_fma_f64 v[24:25], s[14:15], v[0:1], -v[26:27]
	v_fma_f64 v[2:3], s[16:17], v[0:1], v[2:3]
	v_add_f64 v[0:1], v[8:9], v[24:25]
	v_add_f64 v[2:3], v[22:23], v[2:3]
	v_add_co_u32 v8, vcc_lo, v28, v4
	v_add_co_ci_u32_e64 v9, null, v29, v5, vcc_lo
	v_mul_f64 v[22:23], s[38:39], v[72:73]
	v_add_co_u32 v30, vcc_lo, v48, s2
	v_add_co_ci_u32_e64 v31, null, s3, v49, vcc_lo
	flat_store_dwordx4 v[6:7], v[0:3] offset:768
	flat_load_dwordx4 v[0:3], v[8:9]
	v_mul_f64 v[6:7], s[40:41], v[72:73]
	v_fma_f64 v[22:23], s[40:41], v[70:71], v[22:23]
	v_fma_f64 v[6:7], s[38:39], v[70:71], -v[6:7]
	s_waitcnt vmcnt(0) lgkmcnt(0)
	v_mul_f64 v[24:25], s[16:17], v[2:3]
	v_mul_f64 v[2:3], s[14:15], v[2:3]
	v_fma_f64 v[24:25], s[14:15], v[0:1], -v[24:25]
	v_fma_f64 v[2:3], s[16:17], v[0:1], v[2:3]
	v_add_f64 v[0:1], v[6:7], v[24:25]
	v_add_f64 v[2:3], v[22:23], v[2:3]
	v_add_co_u32 v6, vcc_lo, v30, v4
	v_add_co_ci_u32_e64 v7, null, v31, v5, vcc_lo
	v_mul_f64 v[22:23], s[40:41], v[64:65]
	v_mul_f64 v[24:25], s[38:39], v[64:65]
	v_add_co_u32 v28, vcc_lo, v28, s0
	v_add_co_ci_u32_e64 v29, null, s1, v29, vcc_lo
	flat_store_dwordx4 v[6:7], v[0:3]
	flat_load_dwordx4 v[0:3], v[8:9] offset:256
	v_fma_f64 v[22:23], s[38:39], v[62:63], -v[22:23]
	v_fma_f64 v[24:25], s[40:41], v[62:63], v[24:25]
	s_waitcnt vmcnt(0) lgkmcnt(0)
	v_mul_f64 v[26:27], s[16:17], v[2:3]
	v_mul_f64 v[2:3], s[14:15], v[2:3]
	v_fma_f64 v[26:27], s[14:15], v[0:1], -v[26:27]
	v_fma_f64 v[2:3], s[16:17], v[0:1], v[2:3]
	v_add_f64 v[0:1], v[22:23], v[26:27]
	v_add_f64 v[2:3], v[24:25], v[2:3]
	v_mul_f64 v[22:23], s[40:41], v[58:59]
	v_mul_f64 v[24:25], s[38:39], v[58:59]
	flat_store_dwordx4 v[6:7], v[0:3] offset:256
	flat_load_dwordx4 v[0:3], v[8:9] offset:512
	v_fma_f64 v[22:23], s[38:39], v[54:55], -v[22:23]
	v_fma_f64 v[24:25], s[40:41], v[54:55], v[24:25]
	s_waitcnt vmcnt(0) lgkmcnt(0)
	v_mul_f64 v[26:27], s[16:17], v[2:3]
	v_mul_f64 v[2:3], s[14:15], v[2:3]
	v_fma_f64 v[26:27], s[14:15], v[0:1], -v[26:27]
	v_fma_f64 v[2:3], s[16:17], v[0:1], v[2:3]
	v_add_f64 v[0:1], v[22:23], v[26:27]
	v_add_f64 v[2:3], v[24:25], v[2:3]
	v_mul_f64 v[22:23], s[38:39], v[46:47]
	flat_store_dwordx4 v[6:7], v[0:3] offset:512
	flat_load_dwordx4 v[0:3], v[8:9] offset:768
	v_mul_f64 v[8:9], s[40:41], v[46:47]
	v_fma_f64 v[22:23], s[40:41], v[42:43], v[22:23]
	v_fma_f64 v[8:9], s[38:39], v[42:43], -v[8:9]
	s_waitcnt vmcnt(0) lgkmcnt(0)
	v_mul_f64 v[24:25], s[16:17], v[2:3]
	v_mul_f64 v[2:3], s[14:15], v[2:3]
	v_fma_f64 v[24:25], s[14:15], v[0:1], -v[24:25]
	v_fma_f64 v[2:3], s[16:17], v[0:1], v[2:3]
	v_add_f64 v[0:1], v[8:9], v[24:25]
	v_add_f64 v[2:3], v[22:23], v[2:3]
	v_add_co_u32 v8, vcc_lo, v28, v4
	v_add_co_ci_u32_e64 v9, null, v29, v5, vcc_lo
	v_mul_f64 v[22:23], s[38:39], v[68:69]
	v_add_co_u32 v30, vcc_lo, v30, s2
	v_add_co_ci_u32_e64 v31, null, s3, v31, vcc_lo
	flat_store_dwordx4 v[6:7], v[0:3] offset:768
	flat_load_dwordx4 v[0:3], v[8:9]
	v_mul_f64 v[6:7], s[40:41], v[68:69]
	v_fma_f64 v[22:23], s[40:41], v[66:67], v[22:23]
	v_fma_f64 v[6:7], s[38:39], v[66:67], -v[6:7]
	s_waitcnt vmcnt(0) lgkmcnt(0)
	v_mul_f64 v[24:25], s[16:17], v[2:3]
	v_mul_f64 v[2:3], s[14:15], v[2:3]
	v_fma_f64 v[24:25], s[14:15], v[0:1], -v[24:25]
	v_fma_f64 v[2:3], s[16:17], v[0:1], v[2:3]
	v_add_f64 v[0:1], v[6:7], v[24:25]
	v_add_f64 v[2:3], v[22:23], v[2:3]
	v_add_co_u32 v6, vcc_lo, v30, v4
	v_add_co_ci_u32_e64 v7, null, v31, v5, vcc_lo
	v_mul_f64 v[22:23], s[40:41], v[60:61]
	v_mul_f64 v[24:25], s[38:39], v[60:61]
	flat_store_dwordx4 v[6:7], v[0:3]
	flat_load_dwordx4 v[0:3], v[8:9] offset:256
	v_fma_f64 v[22:23], s[38:39], v[56:57], -v[22:23]
	v_fma_f64 v[24:25], s[40:41], v[56:57], v[24:25]
	s_waitcnt vmcnt(0) lgkmcnt(0)
	v_mul_f64 v[26:27], s[16:17], v[2:3]
	v_mul_f64 v[2:3], s[14:15], v[2:3]
	v_fma_f64 v[26:27], s[14:15], v[0:1], -v[26:27]
	v_fma_f64 v[2:3], s[16:17], v[0:1], v[2:3]
	v_add_f64 v[0:1], v[22:23], v[26:27]
	v_add_f64 v[2:3], v[24:25], v[2:3]
	v_mul_f64 v[22:23], s[40:41], v[50:51]
	v_mul_f64 v[24:25], s[38:39], v[50:51]
	flat_store_dwordx4 v[6:7], v[0:3] offset:256
	flat_load_dwordx4 v[0:3], v[8:9] offset:512
	v_fma_f64 v[22:23], s[38:39], v[44:45], -v[22:23]
	v_fma_f64 v[24:25], s[40:41], v[44:45], v[24:25]
	s_waitcnt vmcnt(0) lgkmcnt(0)
	v_mul_f64 v[26:27], s[16:17], v[2:3]
	v_mul_f64 v[2:3], s[14:15], v[2:3]
	v_fma_f64 v[26:27], s[14:15], v[0:1], -v[26:27]
	v_fma_f64 v[2:3], s[16:17], v[0:1], v[2:3]
	v_add_f64 v[0:1], v[22:23], v[26:27]
	v_add_f64 v[2:3], v[24:25], v[2:3]
	v_mul_f64 v[22:23], s[38:39], v[40:41]
	flat_store_dwordx4 v[6:7], v[0:3] offset:512
	flat_load_dwordx4 v[0:3], v[8:9] offset:768
	v_mul_f64 v[8:9], s[40:41], v[40:41]
	v_fma_f64 v[22:23], s[40:41], v[38:39], v[22:23]
	v_fma_f64 v[8:9], s[38:39], v[38:39], -v[8:9]
	s_waitcnt vmcnt(0) lgkmcnt(0)
	v_mul_f64 v[24:25], s[16:17], v[2:3]
	v_mul_f64 v[2:3], s[14:15], v[2:3]
	v_fma_f64 v[24:25], s[14:15], v[0:1], -v[24:25]
	v_fma_f64 v[2:3], s[16:17], v[0:1], v[2:3]
	v_add_f64 v[0:1], v[8:9], v[24:25]
	v_add_f64 v[2:3], v[22:23], v[2:3]
	v_add_co_u32 v8, vcc_lo, v28, s0
	v_add_co_ci_u32_e64 v9, null, s1, v29, vcc_lo
	v_add_co_u32 v8, vcc_lo, v8, v4
	v_add_co_ci_u32_e64 v9, null, v9, v5, vcc_lo
	flat_store_dwordx4 v[6:7], v[0:3] offset:768
	flat_load_dwordx4 v[0:3], v[8:9]
	v_mul_f64 v[6:7], s[40:41], v[20:21]
	v_mul_f64 v[20:21], s[38:39], v[20:21]
	v_fma_f64 v[6:7], s[38:39], v[18:19], -v[6:7]
	v_fma_f64 v[18:19], s[40:41], v[18:19], v[20:21]
	s_waitcnt vmcnt(0) lgkmcnt(0)
	v_mul_f64 v[22:23], s[16:17], v[2:3]
	v_mul_f64 v[2:3], s[14:15], v[2:3]
	v_fma_f64 v[20:21], s[14:15], v[0:1], -v[22:23]
	v_fma_f64 v[2:3], s[16:17], v[0:1], v[2:3]
	v_add_f64 v[0:1], v[6:7], v[20:21]
	v_add_f64 v[2:3], v[18:19], v[2:3]
	v_add_co_u32 v6, vcc_lo, v30, s2
	v_add_co_ci_u32_e64 v7, null, s3, v31, vcc_lo
	v_add_co_u32 v6, vcc_lo, v6, v4
	v_add_co_ci_u32_e64 v7, null, v7, v5, vcc_lo
	v_mul_f64 v[4:5], s[40:41], v[16:17]
	v_mul_f64 v[16:17], s[38:39], v[16:17]
	flat_store_dwordx4 v[6:7], v[0:3]
	flat_load_dwordx4 v[0:3], v[8:9] offset:256
	v_fma_f64 v[4:5], s[38:39], v[14:15], -v[4:5]
	v_fma_f64 v[14:15], s[40:41], v[14:15], v[16:17]
	s_waitcnt vmcnt(0) lgkmcnt(0)
	v_mul_f64 v[18:19], s[16:17], v[2:3]
	v_mul_f64 v[2:3], s[14:15], v[2:3]
	v_fma_f64 v[16:17], s[14:15], v[0:1], -v[18:19]
	v_fma_f64 v[2:3], s[16:17], v[0:1], v[2:3]
	v_add_f64 v[0:1], v[4:5], v[16:17]
	v_add_f64 v[2:3], v[14:15], v[2:3]
	v_mul_f64 v[4:5], s[40:41], v[12:13]
	v_mul_f64 v[12:13], s[38:39], v[12:13]
	flat_store_dwordx4 v[6:7], v[0:3] offset:256
	flat_load_dwordx4 v[0:3], v[8:9] offset:512
	v_fma_f64 v[4:5], s[38:39], v[10:11], -v[4:5]
	v_fma_f64 v[10:11], s[40:41], v[10:11], v[12:13]
	s_waitcnt vmcnt(0) lgkmcnt(0)
	v_mul_f64 v[14:15], s[16:17], v[2:3]
	v_mul_f64 v[2:3], s[14:15], v[2:3]
	v_fma_f64 v[12:13], s[14:15], v[0:1], -v[14:15]
	v_fma_f64 v[2:3], s[16:17], v[0:1], v[2:3]
	v_add_f64 v[0:1], v[4:5], v[12:13]
	v_add_f64 v[2:3], v[10:11], v[2:3]
	v_mul_f64 v[4:5], s[40:41], v[76:77]
	flat_store_dwordx4 v[6:7], v[0:3] offset:512
	flat_load_dwordx4 v[0:3], v[8:9] offset:768
	v_mul_f64 v[8:9], s[38:39], v[76:77]
	v_fma_f64 v[4:5], s[38:39], v[74:75], -v[4:5]
	v_fma_f64 v[8:9], s[40:41], v[74:75], v[8:9]
	s_waitcnt vmcnt(0) lgkmcnt(0)
	v_mul_f64 v[10:11], s[16:17], v[2:3]
	v_mul_f64 v[2:3], s[14:15], v[2:3]
	v_fma_f64 v[10:11], s[14:15], v[0:1], -v[10:11]
	v_fma_f64 v[0:1], s[16:17], v[0:1], v[2:3]
	v_add_f64 v[10:11], v[4:5], v[10:11]
	v_add_f64 v[2:3], v[8:9], v[0:1]
	v_add_co_u32 v4, vcc_lo, 0x300, v6
	v_add_co_ci_u32_e64 v5, null, 0, v7, vcc_lo
	flat_store_dwordx2 v[6:7], v[10:11] offset:768
.LBB252_8:
	flat_store_dwordx2 v[4:5], v[2:3] offset:8
	s_endpgm
	.section	.rodata,"a",@progbits
	.p2align	6, 0x0
	.amdhsa_kernel _ZN12_GLOBAL__N_127rocblas_gemm_batched_kernelI19rocblas_complex_numIdELi16ELi16ELi64ELi64ELi4ELi64ELi4ELi4ELi64ELc84ELc78EKPKS2_S5_KPS2_EEvlllT_PT11_llSA_llS8_PT12_llPT13_lli
		.amdhsa_group_segment_fixed_size 8192
		.amdhsa_private_segment_fixed_size 0
		.amdhsa_kernarg_size 156
		.amdhsa_user_sgpr_count 6
		.amdhsa_user_sgpr_private_segment_buffer 1
		.amdhsa_user_sgpr_dispatch_ptr 0
		.amdhsa_user_sgpr_queue_ptr 0
		.amdhsa_user_sgpr_kernarg_segment_ptr 1
		.amdhsa_user_sgpr_dispatch_id 0
		.amdhsa_user_sgpr_flat_scratch_init 0
		.amdhsa_user_sgpr_private_segment_size 0
		.amdhsa_wavefront_size32 1
		.amdhsa_uses_dynamic_stack 0
		.amdhsa_system_sgpr_private_segment_wavefront_offset 0
		.amdhsa_system_sgpr_workgroup_id_x 1
		.amdhsa_system_sgpr_workgroup_id_y 1
		.amdhsa_system_sgpr_workgroup_id_z 1
		.amdhsa_system_sgpr_workgroup_info 0
		.amdhsa_system_vgpr_workitem_id 1
		.amdhsa_next_free_vgpr 138
		.amdhsa_next_free_sgpr 52
		.amdhsa_reserve_vcc 1
		.amdhsa_reserve_flat_scratch 0
		.amdhsa_float_round_mode_32 0
		.amdhsa_float_round_mode_16_64 0
		.amdhsa_float_denorm_mode_32 3
		.amdhsa_float_denorm_mode_16_64 3
		.amdhsa_dx10_clamp 1
		.amdhsa_ieee_mode 1
		.amdhsa_fp16_overflow 0
		.amdhsa_workgroup_processor_mode 1
		.amdhsa_memory_ordered 1
		.amdhsa_forward_progress 1
		.amdhsa_shared_vgpr_count 0
		.amdhsa_exception_fp_ieee_invalid_op 0
		.amdhsa_exception_fp_denorm_src 0
		.amdhsa_exception_fp_ieee_div_zero 0
		.amdhsa_exception_fp_ieee_overflow 0
		.amdhsa_exception_fp_ieee_underflow 0
		.amdhsa_exception_fp_ieee_inexact 0
		.amdhsa_exception_int_div_zero 0
	.end_amdhsa_kernel
	.section	.text._ZN12_GLOBAL__N_127rocblas_gemm_batched_kernelI19rocblas_complex_numIdELi16ELi16ELi64ELi64ELi4ELi64ELi4ELi4ELi64ELc84ELc78EKPKS2_S5_KPS2_EEvlllT_PT11_llSA_llS8_PT12_llPT13_lli,"axG",@progbits,_ZN12_GLOBAL__N_127rocblas_gemm_batched_kernelI19rocblas_complex_numIdELi16ELi16ELi64ELi64ELi4ELi64ELi4ELi4ELi64ELc84ELc78EKPKS2_S5_KPS2_EEvlllT_PT11_llSA_llS8_PT12_llPT13_lli,comdat
.Lfunc_end252:
	.size	_ZN12_GLOBAL__N_127rocblas_gemm_batched_kernelI19rocblas_complex_numIdELi16ELi16ELi64ELi64ELi4ELi64ELi4ELi4ELi64ELc84ELc78EKPKS2_S5_KPS2_EEvlllT_PT11_llSA_llS8_PT12_llPT13_lli, .Lfunc_end252-_ZN12_GLOBAL__N_127rocblas_gemm_batched_kernelI19rocblas_complex_numIdELi16ELi16ELi64ELi64ELi4ELi64ELi4ELi4ELi64ELc84ELc78EKPKS2_S5_KPS2_EEvlllT_PT11_llSA_llS8_PT12_llPT13_lli
                                        ; -- End function
	.set _ZN12_GLOBAL__N_127rocblas_gemm_batched_kernelI19rocblas_complex_numIdELi16ELi16ELi64ELi64ELi4ELi64ELi4ELi4ELi64ELc84ELc78EKPKS2_S5_KPS2_EEvlllT_PT11_llSA_llS8_PT12_llPT13_lli.num_vgpr, 138
	.set _ZN12_GLOBAL__N_127rocblas_gemm_batched_kernelI19rocblas_complex_numIdELi16ELi16ELi64ELi64ELi4ELi64ELi4ELi4ELi64ELc84ELc78EKPKS2_S5_KPS2_EEvlllT_PT11_llSA_llS8_PT12_llPT13_lli.num_agpr, 0
	.set _ZN12_GLOBAL__N_127rocblas_gemm_batched_kernelI19rocblas_complex_numIdELi16ELi16ELi64ELi64ELi4ELi64ELi4ELi4ELi64ELc84ELc78EKPKS2_S5_KPS2_EEvlllT_PT11_llSA_llS8_PT12_llPT13_lli.numbered_sgpr, 52
	.set _ZN12_GLOBAL__N_127rocblas_gemm_batched_kernelI19rocblas_complex_numIdELi16ELi16ELi64ELi64ELi4ELi64ELi4ELi4ELi64ELc84ELc78EKPKS2_S5_KPS2_EEvlllT_PT11_llSA_llS8_PT12_llPT13_lli.num_named_barrier, 0
	.set _ZN12_GLOBAL__N_127rocblas_gemm_batched_kernelI19rocblas_complex_numIdELi16ELi16ELi64ELi64ELi4ELi64ELi4ELi4ELi64ELc84ELc78EKPKS2_S5_KPS2_EEvlllT_PT11_llSA_llS8_PT12_llPT13_lli.private_seg_size, 0
	.set _ZN12_GLOBAL__N_127rocblas_gemm_batched_kernelI19rocblas_complex_numIdELi16ELi16ELi64ELi64ELi4ELi64ELi4ELi4ELi64ELc84ELc78EKPKS2_S5_KPS2_EEvlllT_PT11_llSA_llS8_PT12_llPT13_lli.uses_vcc, 1
	.set _ZN12_GLOBAL__N_127rocblas_gemm_batched_kernelI19rocblas_complex_numIdELi16ELi16ELi64ELi64ELi4ELi64ELi4ELi4ELi64ELc84ELc78EKPKS2_S5_KPS2_EEvlllT_PT11_llSA_llS8_PT12_llPT13_lli.uses_flat_scratch, 0
	.set _ZN12_GLOBAL__N_127rocblas_gemm_batched_kernelI19rocblas_complex_numIdELi16ELi16ELi64ELi64ELi4ELi64ELi4ELi4ELi64ELc84ELc78EKPKS2_S5_KPS2_EEvlllT_PT11_llSA_llS8_PT12_llPT13_lli.has_dyn_sized_stack, 0
	.set _ZN12_GLOBAL__N_127rocblas_gemm_batched_kernelI19rocblas_complex_numIdELi16ELi16ELi64ELi64ELi4ELi64ELi4ELi4ELi64ELc84ELc78EKPKS2_S5_KPS2_EEvlllT_PT11_llSA_llS8_PT12_llPT13_lli.has_recursion, 0
	.set _ZN12_GLOBAL__N_127rocblas_gemm_batched_kernelI19rocblas_complex_numIdELi16ELi16ELi64ELi64ELi4ELi64ELi4ELi4ELi64ELc84ELc78EKPKS2_S5_KPS2_EEvlllT_PT11_llSA_llS8_PT12_llPT13_lli.has_indirect_call, 0
	.section	.AMDGPU.csdata,"",@progbits
; Kernel info:
; codeLenInByte = 7428
; TotalNumSgprs: 54
; NumVgprs: 138
; ScratchSize: 0
; MemoryBound: 0
; FloatMode: 240
; IeeeMode: 1
; LDSByteSize: 8192 bytes/workgroup (compile time only)
; SGPRBlocks: 0
; VGPRBlocks: 17
; NumSGPRsForWavesPerEU: 54
; NumVGPRsForWavesPerEU: 138
; Occupancy: 7
; WaveLimiterHint : 1
; COMPUTE_PGM_RSRC2:SCRATCH_EN: 0
; COMPUTE_PGM_RSRC2:USER_SGPR: 6
; COMPUTE_PGM_RSRC2:TRAP_HANDLER: 0
; COMPUTE_PGM_RSRC2:TGID_X_EN: 1
; COMPUTE_PGM_RSRC2:TGID_Y_EN: 1
; COMPUTE_PGM_RSRC2:TGID_Z_EN: 1
; COMPUTE_PGM_RSRC2:TIDIG_COMP_CNT: 1
	.section	.text._ZN12_GLOBAL__N_127rocblas_gemm_batched_kernelI19rocblas_complex_numIdELi16ELi16ELi64ELi64ELi4ELi64ELi4ELi4ELi64ELc78ELc84EKPKS2_S5_KPS2_EEvlllT_PT11_llSA_llS8_PT12_llPT13_lli,"axG",@progbits,_ZN12_GLOBAL__N_127rocblas_gemm_batched_kernelI19rocblas_complex_numIdELi16ELi16ELi64ELi64ELi4ELi64ELi4ELi4ELi64ELc78ELc84EKPKS2_S5_KPS2_EEvlllT_PT11_llSA_llS8_PT12_llPT13_lli,comdat
	.globl	_ZN12_GLOBAL__N_127rocblas_gemm_batched_kernelI19rocblas_complex_numIdELi16ELi16ELi64ELi64ELi4ELi64ELi4ELi4ELi64ELc78ELc84EKPKS2_S5_KPS2_EEvlllT_PT11_llSA_llS8_PT12_llPT13_lli ; -- Begin function _ZN12_GLOBAL__N_127rocblas_gemm_batched_kernelI19rocblas_complex_numIdELi16ELi16ELi64ELi64ELi4ELi64ELi4ELi4ELi64ELc78ELc84EKPKS2_S5_KPS2_EEvlllT_PT11_llSA_llS8_PT12_llPT13_lli
	.p2align	8
	.type	_ZN12_GLOBAL__N_127rocblas_gemm_batched_kernelI19rocblas_complex_numIdELi16ELi16ELi64ELi64ELi4ELi64ELi4ELi4ELi64ELc78ELc84EKPKS2_S5_KPS2_EEvlllT_PT11_llSA_llS8_PT12_llPT13_lli,@function
_ZN12_GLOBAL__N_127rocblas_gemm_batched_kernelI19rocblas_complex_numIdELi16ELi16ELi64ELi64ELi4ELi64ELi4ELi4ELi64ELc78ELc84EKPKS2_S5_KPS2_EEvlllT_PT11_llSA_llS8_PT12_llPT13_lli: ; @_ZN12_GLOBAL__N_127rocblas_gemm_batched_kernelI19rocblas_complex_numIdELi16ELi16ELi64ELi64ELi4ELi64ELi4ELi4ELi64ELc78ELc84EKPKS2_S5_KPS2_EEvlllT_PT11_llSA_llS8_PT12_llPT13_lli
; %bb.0:
	s_clause 0x1
	s_load_dwordx16 s[12:27], s[4:5], 0x50
	s_load_dwordx16 s[36:51], s[4:5], 0x10
	s_mov_b32 s9, 0
	s_mov_b32 s28, s7
	s_lshl_b64 s[10:11], s[8:9], 3
	s_waitcnt lgkmcnt(0)
	s_add_u32 s0, s18, s10
	s_addc_u32 s1, s19, s11
	s_add_u32 s2, s24, s10
	s_addc_u32 s3, s25, s11
	s_load_dwordx2 s[0:1], s[0:1], 0x0
	s_load_dwordx2 s[2:3], s[2:3], 0x0
	v_cmp_lt_i64_e64 s8, s[36:37], 1
	s_ashr_i32 s7, s6, 31
	s_ashr_i32 s29, s28, 31
	s_lshl_b64 s[6:7], s[6:7], 6
	s_and_b32 vcc_lo, exec_lo, s8
	s_lshl_b64 s[8:9], s[28:29], 6
	s_cbranch_vccnz .LBB253_3
; %bb.1:
	v_lshl_add_u32 v6, v1, 4, v0
	v_and_b32_e32 v8, 3, v0
	s_add_u32 s18, s42, s10
	s_addc_u32 s19, s43, s11
	s_add_u32 s10, s48, s10
	v_lshrrev_b32_e32 v10, 2, v6
	v_lshrrev_b32_e32 v9, 6, v6
	s_load_dwordx2 s[18:19], s[18:19], 0x0
	s_addc_u32 s11, s49, s11
	v_and_b32_e32 v11, 63, v6
	v_add_co_u32 v4, s24, v10, s8
	v_add_co_ci_u32_e64 v5, null, 0, s9, s24
	v_mad_u64_u32 v[2:3], null, s44, v9, s[6:7]
	s_load_dwordx2 s[24:25], s[10:11], 0x0
	v_mad_u64_u32 v[4:5], null, s50, v8, v[4:5]
	v_lshlrev_b32_e32 v12, 4, v8
	s_lshl_b64 s[10:11], s[46:47], 4
	v_mov_b32_e32 v76, 0
	v_mov_b32_e32 v74, 0
	;; [unrolled: 1-line block ×3, first 2 shown]
	v_lshl_or_b32 v10, v10, 6, v12
	v_mad_u64_u32 v[6:7], null, s45, v9, v[3:4]
	v_mov_b32_e32 v3, v5
	v_add_co_u32 v5, vcc_lo, v2, v11
	v_lshlrev_b32_e32 v7, 4, v11
	s_waitcnt lgkmcnt(0)
	s_add_u32 s10, s18, s10
	v_mad_u64_u32 v[2:3], null, s51, v8, v[3:4]
	v_add_co_ci_u32_e64 v6, null, 0, v6, vcc_lo
	v_lshl_or_b32 v92, v9, 10, v7
	s_addc_u32 s11, s19, s11
	s_lshl_b64 s[12:13], s[12:13], 4
	v_lshlrev_b64 v[6:7], 4, v[5:6]
	v_mov_b32_e32 v5, v2
	v_add_nc_u32_e32 v93, 0x1000, v10
	v_mov_b32_e32 v12, 0
	v_mov_b32_e32 v10, 0
	;; [unrolled: 1-line block ×3, first 2 shown]
	v_lshlrev_b64 v[2:3], 4, v[4:5]
	v_add_co_u32 v26, vcc_lo, s10, v6
	v_add_co_ci_u32_e64 v27, null, s11, v7, vcc_lo
	s_lshl_b64 s[10:11], s[44:45], 6
	s_add_u32 s12, s24, s12
	s_addc_u32 s13, s25, s13
	v_add_co_u32 v28, vcc_lo, s12, v2
	v_mov_b32_e32 v20, 0
	v_mov_b32_e32 v18, 0
	;; [unrolled: 1-line block ×26, first 2 shown]
	v_lshlrev_b32_e32 v90, 4, v0
	v_lshl_add_u32 v91, v1, 6, 0x1000
	v_mov_b32_e32 v77, 0
	v_mov_b32_e32 v75, 0
	;; [unrolled: 1-line block ×32, first 2 shown]
	v_add_co_ci_u32_e64 v29, null, s13, v3, vcc_lo
	s_lshl_b64 s[12:13], s[50:51], 6
	s_mov_b64 s[18:19], 0
.LBB253_2:                              ; =>This Inner Loop Header: Depth=1
	flat_load_dwordx4 v[2:5], v[26:27]
	s_add_u32 s18, s18, 4
	s_addc_u32 s19, s19, 0
	v_add_co_u32 v26, vcc_lo, v26, s10
	v_cmp_lt_i64_e64 s24, s[18:19], s[36:37]
	v_add_co_ci_u32_e64 v27, null, s11, v27, vcc_lo
	s_waitcnt vmcnt(0) lgkmcnt(0)
	ds_write2_b64 v92, v[2:3], v[4:5] offset1:1
	flat_load_dwordx4 v[2:5], v[28:29]
	v_add_co_u32 v28, vcc_lo, v28, s12
	v_add_co_ci_u32_e64 v29, null, s13, v29, vcc_lo
	s_and_b32 vcc_lo, exec_lo, s24
	s_waitcnt vmcnt(0) lgkmcnt(0)
	ds_write2_b64 v93, v[2:3], v[4:5] offset1:1
	s_waitcnt lgkmcnt(0)
	s_barrier
	buffer_gl0_inv
	ds_read_b128 v[78:81], v91
	ds_read_b128 v[82:85], v91 offset:16
	ds_read_b128 v[6:9], v91 offset:32
	ds_read_b128 v[2:5], v91 offset:48
	ds_read_b128 v[86:89], v90
	s_waitcnt lgkmcnt(0)
	v_mul_f64 v[94:95], v[80:81], v[88:89]
	v_mul_f64 v[96:97], v[78:79], v[88:89]
	v_fma_f64 v[94:95], v[78:79], v[86:87], -v[94:95]
	v_fma_f64 v[96:97], v[80:81], v[86:87], v[96:97]
	v_add_f64 v[98:99], v[48:49], v[94:95]
	v_add_f64 v[100:101], v[96:97], v[52:53]
	ds_read_b128 v[94:97], v90 offset:256
	s_waitcnt lgkmcnt(0)
	v_mul_f64 v[48:49], v[80:81], v[96:97]
	v_mul_f64 v[52:53], v[78:79], v[96:97]
	v_fma_f64 v[48:49], v[78:79], v[94:95], -v[48:49]
	v_fma_f64 v[52:53], v[80:81], v[94:95], v[52:53]
	v_add_f64 v[102:103], v[34:35], v[48:49]
	v_add_f64 v[104:105], v[52:53], v[36:37]
	ds_read_b128 v[34:37], v90 offset:512
	;; [unrolled: 8-line block ×4, first 2 shown]
	s_waitcnt lgkmcnt(0)
	v_mul_f64 v[48:49], v[24:25], v[88:89]
	v_mul_f64 v[52:53], v[22:23], v[88:89]
	v_fma_f64 v[48:49], v[22:23], v[86:87], -v[48:49]
	v_fma_f64 v[52:53], v[24:25], v[86:87], v[52:53]
	v_add_f64 v[70:71], v[70:71], v[48:49]
	v_mul_f64 v[48:49], v[24:25], v[96:97]
	v_add_f64 v[72:73], v[52:53], v[72:73]
	v_mul_f64 v[52:53], v[22:23], v[96:97]
	v_fma_f64 v[48:49], v[22:23], v[94:95], -v[48:49]
	v_fma_f64 v[52:53], v[24:25], v[94:95], v[52:53]
	v_add_f64 v[110:111], v[62:63], v[48:49]
	v_mul_f64 v[48:49], v[24:25], v[36:37]
	v_add_f64 v[112:113], v[52:53], v[64:65]
	v_mul_f64 v[52:53], v[22:23], v[36:37]
	v_fma_f64 v[48:49], v[22:23], v[34:35], -v[48:49]
	v_fma_f64 v[52:53], v[24:25], v[34:35], v[52:53]
	v_add_f64 v[114:115], v[54:55], v[48:49]
	v_mul_f64 v[48:49], v[24:25], v[32:33]
	v_add_f64 v[116:117], v[52:53], v[58:59]
	v_fma_f64 v[48:49], v[22:23], v[30:31], -v[48:49]
	v_mul_f64 v[22:23], v[22:23], v[32:33]
	v_add_f64 v[118:119], v[42:43], v[48:49]
	v_fma_f64 v[22:23], v[24:25], v[30:31], v[22:23]
	v_add_f64 v[120:121], v[22:23], v[46:47]
	ds_read_b128 v[22:25], v91 offset:2048
	s_waitcnt lgkmcnt(0)
	v_mul_f64 v[42:43], v[24:25], v[88:89]
	v_mul_f64 v[46:47], v[22:23], v[88:89]
	v_fma_f64 v[42:43], v[22:23], v[86:87], -v[42:43]
	v_fma_f64 v[46:47], v[24:25], v[86:87], v[46:47]
	v_add_f64 v[122:123], v[66:67], v[42:43]
	v_mul_f64 v[42:43], v[24:25], v[96:97]
	v_add_f64 v[124:125], v[46:47], v[68:69]
	v_mul_f64 v[46:47], v[22:23], v[96:97]
	v_fma_f64 v[42:43], v[22:23], v[94:95], -v[42:43]
	v_fma_f64 v[46:47], v[24:25], v[94:95], v[46:47]
	v_add_f64 v[126:127], v[56:57], v[42:43]
	v_mul_f64 v[42:43], v[24:25], v[36:37]
	v_add_f64 v[128:129], v[46:47], v[60:61]
	;; [unrolled: 6-line block ×3, first 2 shown]
	v_fma_f64 v[42:43], v[22:23], v[30:31], -v[42:43]
	v_mul_f64 v[22:23], v[22:23], v[32:33]
	v_add_f64 v[134:135], v[38:39], v[42:43]
	v_fma_f64 v[22:23], v[24:25], v[30:31], v[22:23]
	v_add_f64 v[136:137], v[22:23], v[40:41]
	ds_read_b128 v[22:25], v91 offset:3072
	s_waitcnt lgkmcnt(0)
	v_mul_f64 v[38:39], v[24:25], v[88:89]
	v_mul_f64 v[40:41], v[22:23], v[88:89]
	v_fma_f64 v[38:39], v[22:23], v[86:87], -v[38:39]
	v_fma_f64 v[40:41], v[24:25], v[86:87], v[40:41]
	v_add_f64 v[58:59], v[18:19], v[38:39]
	v_add_f64 v[60:61], v[40:41], v[20:21]
	v_mul_f64 v[18:19], v[24:25], v[96:97]
	v_mul_f64 v[20:21], v[22:23], v[96:97]
	v_fma_f64 v[18:19], v[22:23], v[94:95], -v[18:19]
	v_fma_f64 v[20:21], v[24:25], v[94:95], v[20:21]
	v_add_f64 v[54:55], v[14:15], v[18:19]
	v_add_f64 v[56:57], v[20:21], v[16:17]
	v_mul_f64 v[14:15], v[24:25], v[36:37]
	v_mul_f64 v[16:17], v[22:23], v[36:37]
	ds_read_b128 v[18:21], v90 offset:1280
	v_fma_f64 v[14:15], v[22:23], v[34:35], -v[14:15]
	v_fma_f64 v[16:17], v[24:25], v[34:35], v[16:17]
	v_add_f64 v[50:51], v[10:11], v[14:15]
	v_add_f64 v[52:53], v[16:17], v[12:13]
	v_mul_f64 v[10:11], v[24:25], v[32:33]
	v_mul_f64 v[12:13], v[22:23], v[32:33]
	ds_read_b128 v[14:17], v90 offset:1536
	v_fma_f64 v[10:11], v[22:23], v[30:31], -v[10:11]
	v_fma_f64 v[12:13], v[24:25], v[30:31], v[12:13]
	ds_read_b128 v[22:25], v90 offset:1024
	v_add_f64 v[46:47], v[74:75], v[10:11]
	v_add_f64 v[48:49], v[12:13], v[76:77]
	s_waitcnt lgkmcnt(0)
	v_mul_f64 v[10:11], v[84:85], v[24:25]
	v_mul_f64 v[12:13], v[82:83], v[24:25]
	ds_read_b128 v[74:77], v91 offset:1040
	v_fma_f64 v[10:11], v[82:83], v[22:23], -v[10:11]
	v_fma_f64 v[12:13], v[84:85], v[22:23], v[12:13]
	s_waitcnt lgkmcnt(0)
	v_mul_f64 v[62:63], v[76:77], v[24:25]
	v_mul_f64 v[64:65], v[74:75], v[24:25]
	;; [unrolled: 1-line block ×4, first 2 shown]
	v_add_f64 v[42:43], v[98:99], v[10:11]
	v_add_f64 v[44:45], v[12:13], v[100:101]
	v_mul_f64 v[10:11], v[84:85], v[20:21]
	v_mul_f64 v[12:13], v[82:83], v[20:21]
	v_fma_f64 v[62:63], v[74:75], v[22:23], -v[62:63]
	v_fma_f64 v[64:65], v[76:77], v[22:23], v[64:65]
	v_fma_f64 v[66:67], v[74:75], v[18:19], -v[66:67]
	v_fma_f64 v[68:69], v[76:77], v[18:19], v[68:69]
	;; [unrolled: 2-line block ×3, first 2 shown]
	v_add_f64 v[62:63], v[70:71], v[62:63]
	v_mul_f64 v[70:71], v[76:77], v[16:17]
	v_add_f64 v[64:65], v[64:65], v[72:73]
	v_mul_f64 v[72:73], v[74:75], v[16:17]
	v_add_f64 v[66:67], v[110:111], v[66:67]
	v_add_f64 v[68:69], v[68:69], v[112:113]
	;; [unrolled: 1-line block ×4, first 2 shown]
	v_mul_f64 v[10:11], v[84:85], v[16:17]
	v_mul_f64 v[12:13], v[82:83], v[16:17]
	v_fma_f64 v[70:71], v[74:75], v[14:15], -v[70:71]
	v_fma_f64 v[72:73], v[76:77], v[14:15], v[72:73]
	v_fma_f64 v[10:11], v[82:83], v[14:15], -v[10:11]
	v_fma_f64 v[12:13], v[84:85], v[14:15], v[12:13]
	v_add_f64 v[70:71], v[114:115], v[70:71]
	v_add_f64 v[72:73], v[72:73], v[116:117]
	;; [unrolled: 1-line block ×4, first 2 shown]
	ds_read_b128 v[10:13], v90 offset:1792
	s_waitcnt lgkmcnt(0)
	v_mul_f64 v[30:31], v[84:85], v[12:13]
	v_mul_f64 v[32:33], v[82:83], v[12:13]
	v_fma_f64 v[30:31], v[82:83], v[10:11], -v[30:31]
	v_fma_f64 v[32:33], v[84:85], v[10:11], v[32:33]
	v_add_f64 v[30:31], v[78:79], v[30:31]
	v_mul_f64 v[78:79], v[76:77], v[12:13]
	v_add_f64 v[32:33], v[32:33], v[80:81]
	v_fma_f64 v[78:79], v[74:75], v[10:11], -v[78:79]
	v_mul_f64 v[74:75], v[74:75], v[12:13]
	v_fma_f64 v[76:77], v[76:77], v[10:11], v[74:75]
	v_add_f64 v[74:75], v[118:119], v[78:79]
	ds_read_b128 v[78:81], v91 offset:2064
	s_waitcnt lgkmcnt(0)
	v_mul_f64 v[82:83], v[80:81], v[24:25]
	v_mul_f64 v[86:87], v[80:81], v[20:21]
	;; [unrolled: 1-line block ×7, first 2 shown]
	v_add_f64 v[76:77], v[76:77], v[120:121]
	v_fma_f64 v[82:83], v[78:79], v[22:23], -v[82:83]
	v_fma_f64 v[86:87], v[78:79], v[18:19], -v[86:87]
	;; [unrolled: 1-line block ×4, first 2 shown]
	v_mul_f64 v[78:79], v[78:79], v[12:13]
	v_fma_f64 v[84:85], v[80:81], v[22:23], v[84:85]
	v_fma_f64 v[88:89], v[80:81], v[18:19], v[88:89]
	;; [unrolled: 1-line block ×3, first 2 shown]
	v_add_f64 v[82:83], v[122:123], v[82:83]
	v_add_f64 v[86:87], v[126:127], v[86:87]
	;; [unrolled: 1-line block ×4, first 2 shown]
	v_fma_f64 v[78:79], v[80:81], v[10:11], v[78:79]
	v_add_f64 v[84:85], v[84:85], v[124:125]
	v_add_f64 v[88:89], v[88:89], v[128:129]
	;; [unrolled: 1-line block ×4, first 2 shown]
	ds_read_b128 v[78:81], v91 offset:3088
	s_waitcnt lgkmcnt(0)
	v_mul_f64 v[102:103], v[80:81], v[24:25]
	v_mul_f64 v[24:25], v[78:79], v[24:25]
	v_fma_f64 v[102:103], v[78:79], v[22:23], -v[102:103]
	v_fma_f64 v[22:23], v[80:81], v[22:23], v[24:25]
	v_add_f64 v[58:59], v[58:59], v[102:103]
	v_add_f64 v[60:61], v[22:23], v[60:61]
	v_mul_f64 v[22:23], v[80:81], v[20:21]
	v_mul_f64 v[20:21], v[78:79], v[20:21]
	v_fma_f64 v[22:23], v[78:79], v[18:19], -v[22:23]
	v_fma_f64 v[18:19], v[80:81], v[18:19], v[20:21]
	v_add_f64 v[54:55], v[54:55], v[22:23]
	v_add_f64 v[56:57], v[18:19], v[56:57]
	v_mul_f64 v[18:19], v[80:81], v[16:17]
	v_mul_f64 v[16:17], v[78:79], v[16:17]
	v_fma_f64 v[18:19], v[78:79], v[14:15], -v[18:19]
	v_fma_f64 v[14:15], v[80:81], v[14:15], v[16:17]
	v_add_f64 v[50:51], v[50:51], v[18:19]
	v_add_f64 v[52:53], v[14:15], v[52:53]
	v_mul_f64 v[14:15], v[80:81], v[12:13]
	v_mul_f64 v[12:13], v[78:79], v[12:13]
	v_fma_f64 v[14:15], v[78:79], v[10:11], -v[14:15]
	v_fma_f64 v[10:11], v[80:81], v[10:11], v[12:13]
	v_add_f64 v[46:47], v[46:47], v[14:15]
	v_add_f64 v[48:49], v[10:11], v[48:49]
	ds_read_b128 v[10:13], v90 offset:2048
	s_waitcnt lgkmcnt(0)
	v_mul_f64 v[14:15], v[8:9], v[12:13]
	v_mul_f64 v[16:17], v[6:7], v[12:13]
	v_fma_f64 v[14:15], v[6:7], v[10:11], -v[14:15]
	v_fma_f64 v[16:17], v[8:9], v[10:11], v[16:17]
	v_add_f64 v[42:43], v[42:43], v[14:15]
	v_add_f64 v[44:45], v[16:17], v[44:45]
	ds_read_b128 v[14:17], v90 offset:2304
	s_waitcnt lgkmcnt(0)
	v_mul_f64 v[18:19], v[8:9], v[16:17]
	v_mul_f64 v[20:21], v[6:7], v[16:17]
	v_fma_f64 v[18:19], v[6:7], v[14:15], -v[18:19]
	v_fma_f64 v[20:21], v[8:9], v[14:15], v[20:21]
	v_add_f64 v[38:39], v[38:39], v[18:19]
	v_add_f64 v[40:41], v[20:21], v[40:41]
	;; [unrolled: 8-line block ×3, first 2 shown]
	ds_read_b128 v[22:25], v90 offset:2816
	s_waitcnt lgkmcnt(0)
	v_mul_f64 v[34:35], v[8:9], v[24:25]
	v_fma_f64 v[34:35], v[6:7], v[22:23], -v[34:35]
	v_mul_f64 v[6:7], v[6:7], v[24:25]
	v_add_f64 v[106:107], v[30:31], v[34:35]
	v_fma_f64 v[6:7], v[8:9], v[22:23], v[6:7]
	v_add_f64 v[108:109], v[6:7], v[32:33]
	ds_read_b128 v[6:9], v91 offset:1056
	s_waitcnt lgkmcnt(0)
	v_mul_f64 v[30:31], v[8:9], v[12:13]
	v_mul_f64 v[32:33], v[6:7], v[12:13]
	v_fma_f64 v[30:31], v[6:7], v[10:11], -v[30:31]
	v_fma_f64 v[32:33], v[8:9], v[10:11], v[32:33]
	v_add_f64 v[62:63], v[62:63], v[30:31]
	v_mul_f64 v[30:31], v[8:9], v[16:17]
	v_add_f64 v[64:65], v[32:33], v[64:65]
	v_mul_f64 v[32:33], v[6:7], v[16:17]
	v_fma_f64 v[30:31], v[6:7], v[14:15], -v[30:31]
	v_fma_f64 v[32:33], v[8:9], v[14:15], v[32:33]
	v_add_f64 v[66:67], v[66:67], v[30:31]
	v_mul_f64 v[30:31], v[8:9], v[20:21]
	v_add_f64 v[68:69], v[32:33], v[68:69]
	;; [unrolled: 6-line block ×3, first 2 shown]
	v_fma_f64 v[30:31], v[6:7], v[22:23], -v[30:31]
	v_mul_f64 v[6:7], v[6:7], v[24:25]
	v_add_f64 v[114:115], v[74:75], v[30:31]
	v_fma_f64 v[6:7], v[8:9], v[22:23], v[6:7]
	v_add_f64 v[116:117], v[6:7], v[76:77]
	ds_read_b128 v[6:9], v91 offset:2080
	s_waitcnt lgkmcnt(0)
	v_mul_f64 v[30:31], v[8:9], v[12:13]
	v_mul_f64 v[32:33], v[6:7], v[12:13]
	v_fma_f64 v[30:31], v[6:7], v[10:11], -v[30:31]
	v_fma_f64 v[32:33], v[8:9], v[10:11], v[32:33]
	v_add_f64 v[118:119], v[82:83], v[30:31]
	v_mul_f64 v[30:31], v[8:9], v[16:17]
	v_add_f64 v[120:121], v[32:33], v[84:85]
	v_mul_f64 v[32:33], v[6:7], v[16:17]
	v_fma_f64 v[30:31], v[6:7], v[14:15], -v[30:31]
	v_fma_f64 v[32:33], v[8:9], v[14:15], v[32:33]
	v_add_f64 v[122:123], v[86:87], v[30:31]
	v_mul_f64 v[30:31], v[8:9], v[20:21]
	v_add_f64 v[124:125], v[32:33], v[88:89]
	;; [unrolled: 6-line block ×3, first 2 shown]
	v_fma_f64 v[30:31], v[6:7], v[22:23], -v[30:31]
	v_mul_f64 v[6:7], v[6:7], v[24:25]
	v_add_f64 v[98:99], v[98:99], v[30:31]
	v_fma_f64 v[6:7], v[8:9], v[22:23], v[6:7]
	v_add_f64 v[100:101], v[6:7], v[100:101]
	ds_read_b128 v[6:9], v91 offset:3104
	s_waitcnt lgkmcnt(0)
	v_mul_f64 v[30:31], v[8:9], v[12:13]
	v_mul_f64 v[12:13], v[6:7], v[12:13]
	v_fma_f64 v[30:31], v[6:7], v[10:11], -v[30:31]
	v_fma_f64 v[10:11], v[8:9], v[10:11], v[12:13]
	v_mul_f64 v[12:13], v[6:7], v[16:17]
	v_add_f64 v[86:87], v[58:59], v[30:31]
	v_add_f64 v[88:89], v[10:11], v[60:61]
	v_mul_f64 v[10:11], v[8:9], v[16:17]
	v_fma_f64 v[12:13], v[8:9], v[14:15], v[12:13]
	v_fma_f64 v[10:11], v[6:7], v[14:15], -v[10:11]
	v_add_f64 v[84:85], v[12:13], v[56:57]
	v_mul_f64 v[12:13], v[6:7], v[20:21]
	ds_read_b128 v[14:17], v90 offset:3328
	v_add_f64 v[82:83], v[54:55], v[10:11]
	v_mul_f64 v[10:11], v[8:9], v[20:21]
	v_fma_f64 v[12:13], v[8:9], v[18:19], v[12:13]
	v_fma_f64 v[10:11], v[6:7], v[18:19], -v[10:11]
	ds_read_b128 v[18:21], v90 offset:3072
	v_add_f64 v[80:81], v[12:13], v[52:53]
	v_add_f64 v[78:79], v[50:51], v[10:11]
	v_mul_f64 v[10:11], v[8:9], v[24:25]
	v_fma_f64 v[10:11], v[6:7], v[22:23], -v[10:11]
	v_mul_f64 v[6:7], v[6:7], v[24:25]
	v_add_f64 v[74:75], v[46:47], v[10:11]
	v_fma_f64 v[6:7], v[8:9], v[22:23], v[6:7]
	s_waitcnt lgkmcnt(0)
	v_mul_f64 v[8:9], v[2:3], v[20:21]
	ds_read_b128 v[10:13], v90 offset:3584
	v_add_f64 v[76:77], v[6:7], v[48:49]
	v_mul_f64 v[6:7], v[4:5], v[20:21]
	v_fma_f64 v[8:9], v[4:5], v[18:19], v[8:9]
	v_fma_f64 v[6:7], v[2:3], v[18:19], -v[6:7]
	v_add_f64 v[52:53], v[8:9], v[44:45]
	v_mul_f64 v[8:9], v[2:3], v[16:17]
	v_add_f64 v[48:49], v[42:43], v[6:7]
	v_mul_f64 v[6:7], v[4:5], v[16:17]
	v_fma_f64 v[8:9], v[4:5], v[14:15], v[8:9]
	v_fma_f64 v[6:7], v[2:3], v[14:15], -v[6:7]
	v_add_f64 v[36:37], v[8:9], v[40:41]
	s_waitcnt lgkmcnt(0)
	v_mul_f64 v[8:9], v[2:3], v[12:13]
	v_add_f64 v[34:35], v[38:39], v[6:7]
	v_mul_f64 v[6:7], v[4:5], v[12:13]
	v_fma_f64 v[8:9], v[4:5], v[10:11], v[8:9]
	v_fma_f64 v[6:7], v[2:3], v[10:11], -v[6:7]
	v_add_f64 v[32:33], v[8:9], v[104:105]
	v_add_f64 v[30:31], v[102:103], v[6:7]
	ds_read_b128 v[6:9], v90 offset:3840
	s_waitcnt lgkmcnt(0)
	v_mul_f64 v[22:23], v[4:5], v[8:9]
	v_fma_f64 v[22:23], v[2:3], v[6:7], -v[22:23]
	v_mul_f64 v[2:3], v[2:3], v[8:9]
	v_add_f64 v[22:23], v[106:107], v[22:23]
	v_fma_f64 v[2:3], v[4:5], v[6:7], v[2:3]
	v_add_f64 v[24:25], v[2:3], v[108:109]
	ds_read_b128 v[2:5], v91 offset:1072
	s_waitcnt lgkmcnt(0)
	v_mul_f64 v[38:39], v[4:5], v[20:21]
	v_mul_f64 v[40:41], v[2:3], v[20:21]
	v_fma_f64 v[38:39], v[2:3], v[18:19], -v[38:39]
	v_fma_f64 v[40:41], v[4:5], v[18:19], v[40:41]
	v_add_f64 v[70:71], v[62:63], v[38:39]
	v_mul_f64 v[38:39], v[4:5], v[16:17]
	v_add_f64 v[72:73], v[40:41], v[64:65]
	v_mul_f64 v[40:41], v[2:3], v[16:17]
	v_fma_f64 v[38:39], v[2:3], v[14:15], -v[38:39]
	v_fma_f64 v[40:41], v[4:5], v[14:15], v[40:41]
	v_add_f64 v[62:63], v[66:67], v[38:39]
	v_mul_f64 v[38:39], v[4:5], v[12:13]
	v_add_f64 v[64:65], v[40:41], v[68:69]
	;; [unrolled: 6-line block ×3, first 2 shown]
	v_fma_f64 v[38:39], v[2:3], v[6:7], -v[38:39]
	v_mul_f64 v[2:3], v[2:3], v[8:9]
	v_add_f64 v[42:43], v[114:115], v[38:39]
	v_fma_f64 v[2:3], v[4:5], v[6:7], v[2:3]
	v_add_f64 v[46:47], v[2:3], v[116:117]
	ds_read_b128 v[2:5], v91 offset:2096
	s_waitcnt lgkmcnt(0)
	v_mul_f64 v[38:39], v[4:5], v[20:21]
	v_mul_f64 v[40:41], v[2:3], v[20:21]
	v_fma_f64 v[38:39], v[2:3], v[18:19], -v[38:39]
	v_fma_f64 v[40:41], v[4:5], v[18:19], v[40:41]
	v_add_f64 v[66:67], v[118:119], v[38:39]
	v_mul_f64 v[38:39], v[4:5], v[16:17]
	v_add_f64 v[68:69], v[40:41], v[120:121]
	v_mul_f64 v[40:41], v[2:3], v[16:17]
	v_fma_f64 v[38:39], v[2:3], v[14:15], -v[38:39]
	v_fma_f64 v[40:41], v[4:5], v[14:15], v[40:41]
	v_add_f64 v[56:57], v[122:123], v[38:39]
	v_mul_f64 v[38:39], v[4:5], v[12:13]
	v_add_f64 v[60:61], v[40:41], v[124:125]
	;; [unrolled: 6-line block ×3, first 2 shown]
	v_fma_f64 v[38:39], v[2:3], v[6:7], -v[38:39]
	v_mul_f64 v[2:3], v[2:3], v[8:9]
	v_add_f64 v[38:39], v[98:99], v[38:39]
	v_fma_f64 v[2:3], v[4:5], v[6:7], v[2:3]
	v_add_f64 v[40:41], v[2:3], v[100:101]
	ds_read_b128 v[2:5], v91 offset:3120
	s_waitcnt lgkmcnt(0)
	s_barrier
	buffer_gl0_inv
	v_mul_f64 v[94:95], v[4:5], v[20:21]
	v_mul_f64 v[20:21], v[2:3], v[20:21]
	v_fma_f64 v[94:95], v[2:3], v[18:19], -v[94:95]
	v_fma_f64 v[20:21], v[4:5], v[18:19], v[20:21]
	v_add_f64 v[18:19], v[86:87], v[94:95]
	v_mul_f64 v[86:87], v[4:5], v[16:17]
	v_mul_f64 v[16:17], v[2:3], v[16:17]
	v_add_f64 v[20:21], v[20:21], v[88:89]
	v_fma_f64 v[86:87], v[2:3], v[14:15], -v[86:87]
	v_fma_f64 v[16:17], v[4:5], v[14:15], v[16:17]
	v_add_f64 v[14:15], v[82:83], v[86:87]
	v_mul_f64 v[82:83], v[4:5], v[12:13]
	v_mul_f64 v[12:13], v[2:3], v[12:13]
	v_add_f64 v[16:17], v[16:17], v[84:85]
	v_fma_f64 v[82:83], v[2:3], v[10:11], -v[82:83]
	v_fma_f64 v[12:13], v[4:5], v[10:11], v[12:13]
	v_add_f64 v[10:11], v[78:79], v[82:83]
	v_mul_f64 v[78:79], v[4:5], v[8:9]
	v_add_f64 v[12:13], v[12:13], v[80:81]
	v_fma_f64 v[78:79], v[2:3], v[6:7], -v[78:79]
	v_mul_f64 v[2:3], v[2:3], v[8:9]
	v_add_f64 v[74:75], v[74:75], v[78:79]
	v_fma_f64 v[2:3], v[4:5], v[6:7], v[2:3]
	v_add_f64 v[76:77], v[2:3], v[76:77]
	s_cbranch_vccnz .LBB253_2
	s_branch .LBB253_4
.LBB253_3:
	v_mov_b32_e32 v48, 0
	v_mov_b32_e32 v52, 0
	;; [unrolled: 1-line block ×64, first 2 shown]
.LBB253_4:
	s_load_dwordx2 s[4:5], s[4:5], 0x90
	v_cmp_neq_f64_e64 s10, s[14:15], 0
	v_cmp_neq_f64_e64 s11, s[16:17], 0
	v_add_co_u32 v6, s8, s8, v1
	v_add_co_ci_u32_e64 v7, null, s9, 0, s8
	s_waitcnt lgkmcnt(0)
	s_lshl_b64 s[4:5], s[4:5], 4
	s_add_u32 s4, s2, s4
	s_addc_u32 s5, s3, s5
	v_add_co_u32 v0, s3, s6, v0
	v_add_co_ci_u32_e64 v1, null, s7, 0, s3
	s_or_b32 s2, s10, s11
	s_and_b32 vcc_lo, exec_lo, s2
	s_cbranch_vccnz .LBB253_6
; %bb.5:
	v_mul_f64 v[4:5], s[40:41], v[52:53]
	v_mul_f64 v[8:9], s[38:39], v[52:53]
	v_mul_lo_u32 v78, v7, s26
	v_mul_lo_u32 v79, v6, s27
	v_mad_u64_u32 v[2:3], null, v6, s26, 0
	v_mul_f64 v[26:27], s[40:41], v[36:37]
	v_mul_f64 v[28:29], s[38:39], v[36:37]
	;; [unrolled: 1-line block ×6, first 2 shown]
	v_add3_u32 v3, v3, v79, v78
	v_mul_f64 v[78:79], s[40:41], v[32:33]
	v_mul_f64 v[88:89], s[38:39], v[72:73]
	;; [unrolled: 1-line block ×4, first 2 shown]
	v_lshlrev_b64 v[2:3], 4, v[2:3]
	v_mul_f64 v[94:95], s[40:41], v[58:59]
	v_mul_f64 v[96:97], s[38:39], v[58:59]
	;; [unrolled: 1-line block ×4, first 2 shown]
	s_lshl_b64 s[2:3], s[26:27], 8
	v_add_co_u32 v104, vcc_lo, s4, v2
	v_add_co_ci_u32_e64 v105, null, s5, v3, vcc_lo
	v_fma_f64 v[2:3], s[38:39], v[48:49], -v[4:5]
	v_fma_f64 v[4:5], s[40:41], v[48:49], v[8:9]
	v_lshlrev_b64 v[8:9], 4, v[0:1]
	v_fma_f64 v[26:27], s[38:39], v[34:35], -v[26:27]
	v_fma_f64 v[28:29], s[40:41], v[34:35], v[28:29]
	v_fma_f64 v[80:81], s[40:41], v[30:31], v[80:81]
	v_fma_f64 v[82:83], s[38:39], v[22:23], -v[82:83]
	v_fma_f64 v[84:85], s[40:41], v[22:23], v[84:85]
	v_add_co_u32 v102, vcc_lo, v104, v8
	v_fma_f64 v[78:79], s[38:39], v[30:31], -v[78:79]
	v_add_co_ci_u32_e64 v103, null, v105, v9, vcc_lo
	v_fma_f64 v[86:87], s[38:39], v[70:71], -v[86:87]
	v_fma_f64 v[88:89], s[40:41], v[70:71], v[88:89]
	v_fma_f64 v[90:91], s[38:39], v[62:63], -v[90:91]
	v_fma_f64 v[92:93], s[40:41], v[62:63], v[92:93]
	;; [unrolled: 2-line block ×3, first 2 shown]
	v_add_co_u32 v106, vcc_lo, v104, s2
	v_add_co_ci_u32_e64 v107, null, s3, v105, vcc_lo
	flat_store_dwordx4 v[102:103], v[2:5]
	v_fma_f64 v[2:3], s[38:39], v[42:43], -v[98:99]
	v_fma_f64 v[4:5], s[40:41], v[42:43], v[100:101]
	v_add_co_u32 v104, vcc_lo, v106, v8
	v_add_co_ci_u32_e64 v105, null, v107, v9, vcc_lo
	flat_store_dwordx4 v[102:103], v[26:29] offset:256
	flat_store_dwordx4 v[102:103], v[78:81] offset:512
	;; [unrolled: 1-line block ×3, first 2 shown]
	flat_store_dwordx4 v[104:105], v[86:89]
	flat_store_dwordx4 v[104:105], v[90:93] offset:256
	flat_store_dwordx4 v[104:105], v[94:97] offset:512
	v_mul_f64 v[26:27], s[40:41], v[68:69]
	v_mul_f64 v[28:29], s[38:39], v[68:69]
	;; [unrolled: 1-line block ×12, first 2 shown]
	flat_store_dwordx4 v[104:105], v[2:5] offset:768
	v_mul_f64 v[2:3], s[40:41], v[76:77]
	v_mul_f64 v[4:5], s[38:39], v[76:77]
	v_mul_f64 v[98:99], s[40:41], v[12:13]
	v_mul_f64 v[100:101], s[38:39], v[12:13]
	v_add_co_u32 v104, vcc_lo, v106, s2
	v_add_co_ci_u32_e64 v105, null, s3, v107, vcc_lo
	v_fma_f64 v[26:27], s[38:39], v[66:67], -v[26:27]
	v_fma_f64 v[28:29], s[40:41], v[66:67], v[28:29]
	v_fma_f64 v[78:79], s[38:39], v[56:57], -v[78:79]
	v_fma_f64 v[80:81], s[40:41], v[56:57], v[80:81]
	;; [unrolled: 2-line block ×6, first 2 shown]
	v_add_co_u32 v106, vcc_lo, v104, s2
	v_fma_f64 v[102:103], s[38:39], v[74:75], -v[2:3]
	v_fma_f64 v[2:3], s[40:41], v[74:75], v[4:5]
	v_fma_f64 v[98:99], s[38:39], v[10:11], -v[98:99]
	v_fma_f64 v[100:101], s[40:41], v[10:11], v[100:101]
	v_add_co_ci_u32_e64 v107, null, s3, v105, vcc_lo
	v_add_co_u32 v4, vcc_lo, v104, v8
	v_add_co_ci_u32_e64 v5, null, v105, v9, vcc_lo
	v_add_co_u32 v8, vcc_lo, v106, v8
	v_add_co_ci_u32_e64 v9, null, v107, v9, vcc_lo
	flat_store_dwordx4 v[4:5], v[26:29]
	flat_store_dwordx4 v[4:5], v[78:81] offset:256
	flat_store_dwordx4 v[4:5], v[82:85] offset:512
	;; [unrolled: 1-line block ×3, first 2 shown]
	flat_store_dwordx4 v[8:9], v[90:93]
	v_add_co_u32 v4, vcc_lo, 0x300, v8
	v_add_co_ci_u32_e64 v5, null, 0, v9, vcc_lo
	flat_store_dwordx4 v[8:9], v[94:97] offset:256
	flat_store_dwordx4 v[8:9], v[98:101] offset:512
	flat_store_dwordx2 v[8:9], v[102:103] offset:768
	s_cbranch_execz .LBB253_7
	s_branch .LBB253_8
.LBB253_6:
                                        ; implicit-def: $vgpr2_vgpr3
                                        ; implicit-def: $vgpr4_vgpr5
.LBB253_7:
	v_mul_lo_u32 v4, v7, s20
	v_mul_lo_u32 v5, v6, s21
	v_mad_u64_u32 v[2:3], null, v6, s20, 0
	s_lshl_b64 s[2:3], s[22:23], 4
	v_mul_f64 v[26:27], s[40:41], v[52:53]
	s_add_u32 s0, s0, s2
	s_addc_u32 s1, s1, s3
	v_mul_f64 v[28:29], s[38:39], v[52:53]
	s_lshl_b64 s[2:3], s[26:27], 8
	v_add3_u32 v3, v3, v5, v4
	v_lshlrev_b64 v[4:5], 4, v[0:1]
	v_lshlrev_b64 v[2:3], 4, v[2:3]
	v_add_co_u32 v78, vcc_lo, s0, v2
	v_add_co_ci_u32_e64 v79, null, s1, v3, vcc_lo
	s_lshl_b64 s[0:1], s[20:21], 8
	v_add_co_u32 v8, vcc_lo, v78, v4
	v_add_co_ci_u32_e64 v9, null, v79, v5, vcc_lo
	v_fma_f64 v[26:27], s[38:39], v[48:49], -v[26:27]
	v_fma_f64 v[28:29], s[40:41], v[48:49], v[28:29]
	flat_load_dwordx4 v[0:3], v[8:9]
	s_waitcnt vmcnt(0) lgkmcnt(0)
	v_mul_f64 v[52:53], s[16:17], v[2:3]
	v_mul_f64 v[2:3], s[14:15], v[2:3]
	v_fma_f64 v[48:49], s[14:15], v[0:1], -v[52:53]
	v_fma_f64 v[2:3], s[16:17], v[0:1], v[2:3]
	v_mul_lo_u32 v0, v7, s26
	v_mul_lo_u32 v1, v6, s27
	v_mad_u64_u32 v[6:7], null, v6, s26, 0
	v_add3_u32 v7, v7, v1, v0
	v_lshlrev_b64 v[6:7], 4, v[6:7]
	v_add_f64 v[0:1], v[26:27], v[48:49]
	v_add_f64 v[2:3], v[28:29], v[2:3]
	v_add_co_u32 v48, vcc_lo, s4, v6
	v_add_co_ci_u32_e64 v49, null, s5, v7, vcc_lo
	v_mul_f64 v[26:27], s[40:41], v[36:37]
	v_add_co_u32 v6, vcc_lo, v48, v4
	v_add_co_ci_u32_e64 v7, null, v49, v5, vcc_lo
	v_mul_f64 v[28:29], s[38:39], v[36:37]
	flat_store_dwordx4 v[6:7], v[0:3]
	flat_load_dwordx4 v[0:3], v[8:9] offset:256
	v_fma_f64 v[26:27], s[38:39], v[34:35], -v[26:27]
	v_fma_f64 v[28:29], s[40:41], v[34:35], v[28:29]
	s_waitcnt vmcnt(0) lgkmcnt(0)
	v_mul_f64 v[36:37], s[16:17], v[2:3]
	v_mul_f64 v[2:3], s[14:15], v[2:3]
	v_fma_f64 v[34:35], s[14:15], v[0:1], -v[36:37]
	v_fma_f64 v[2:3], s[16:17], v[0:1], v[2:3]
	v_add_f64 v[0:1], v[26:27], v[34:35]
	v_add_f64 v[2:3], v[28:29], v[2:3]
	v_mul_f64 v[26:27], s[40:41], v[32:33]
	v_mul_f64 v[28:29], s[38:39], v[32:33]
	flat_store_dwordx4 v[6:7], v[0:3] offset:256
	flat_load_dwordx4 v[0:3], v[8:9] offset:512
	v_fma_f64 v[26:27], s[38:39], v[30:31], -v[26:27]
	v_fma_f64 v[28:29], s[40:41], v[30:31], v[28:29]
	s_waitcnt vmcnt(0) lgkmcnt(0)
	v_mul_f64 v[32:33], s[16:17], v[2:3]
	v_mul_f64 v[2:3], s[14:15], v[2:3]
	v_fma_f64 v[30:31], s[14:15], v[0:1], -v[32:33]
	v_fma_f64 v[2:3], s[16:17], v[0:1], v[2:3]
	v_add_f64 v[0:1], v[26:27], v[30:31]
	v_add_f64 v[2:3], v[28:29], v[2:3]
	v_add_co_u32 v28, vcc_lo, v78, s0
	v_add_co_ci_u32_e64 v29, null, s1, v79, vcc_lo
	flat_store_dwordx4 v[6:7], v[0:3] offset:512
	flat_load_dwordx4 v[0:3], v[8:9] offset:768
	v_mul_f64 v[8:9], s[40:41], v[24:25]
	v_mul_f64 v[24:25], s[38:39], v[24:25]
	v_fma_f64 v[8:9], s[38:39], v[22:23], -v[8:9]
	v_fma_f64 v[22:23], s[40:41], v[22:23], v[24:25]
	s_waitcnt vmcnt(0) lgkmcnt(0)
	v_mul_f64 v[26:27], s[16:17], v[2:3]
	v_mul_f64 v[2:3], s[14:15], v[2:3]
	v_fma_f64 v[24:25], s[14:15], v[0:1], -v[26:27]
	v_fma_f64 v[2:3], s[16:17], v[0:1], v[2:3]
	v_add_f64 v[0:1], v[8:9], v[24:25]
	v_add_f64 v[2:3], v[22:23], v[2:3]
	v_add_co_u32 v8, vcc_lo, v28, v4
	v_add_co_ci_u32_e64 v9, null, v29, v5, vcc_lo
	v_mul_f64 v[22:23], s[38:39], v[72:73]
	v_add_co_u32 v30, vcc_lo, v48, s2
	v_add_co_ci_u32_e64 v31, null, s3, v49, vcc_lo
	flat_store_dwordx4 v[6:7], v[0:3] offset:768
	flat_load_dwordx4 v[0:3], v[8:9]
	v_mul_f64 v[6:7], s[40:41], v[72:73]
	v_fma_f64 v[22:23], s[40:41], v[70:71], v[22:23]
	v_fma_f64 v[6:7], s[38:39], v[70:71], -v[6:7]
	s_waitcnt vmcnt(0) lgkmcnt(0)
	v_mul_f64 v[24:25], s[16:17], v[2:3]
	v_mul_f64 v[2:3], s[14:15], v[2:3]
	v_fma_f64 v[24:25], s[14:15], v[0:1], -v[24:25]
	v_fma_f64 v[2:3], s[16:17], v[0:1], v[2:3]
	v_add_f64 v[0:1], v[6:7], v[24:25]
	v_add_f64 v[2:3], v[22:23], v[2:3]
	v_add_co_u32 v6, vcc_lo, v30, v4
	v_add_co_ci_u32_e64 v7, null, v31, v5, vcc_lo
	v_mul_f64 v[22:23], s[40:41], v[64:65]
	v_mul_f64 v[24:25], s[38:39], v[64:65]
	v_add_co_u32 v28, vcc_lo, v28, s0
	v_add_co_ci_u32_e64 v29, null, s1, v29, vcc_lo
	flat_store_dwordx4 v[6:7], v[0:3]
	flat_load_dwordx4 v[0:3], v[8:9] offset:256
	v_fma_f64 v[22:23], s[38:39], v[62:63], -v[22:23]
	v_fma_f64 v[24:25], s[40:41], v[62:63], v[24:25]
	s_waitcnt vmcnt(0) lgkmcnt(0)
	v_mul_f64 v[26:27], s[16:17], v[2:3]
	v_mul_f64 v[2:3], s[14:15], v[2:3]
	v_fma_f64 v[26:27], s[14:15], v[0:1], -v[26:27]
	v_fma_f64 v[2:3], s[16:17], v[0:1], v[2:3]
	v_add_f64 v[0:1], v[22:23], v[26:27]
	v_add_f64 v[2:3], v[24:25], v[2:3]
	v_mul_f64 v[22:23], s[40:41], v[58:59]
	v_mul_f64 v[24:25], s[38:39], v[58:59]
	flat_store_dwordx4 v[6:7], v[0:3] offset:256
	flat_load_dwordx4 v[0:3], v[8:9] offset:512
	v_fma_f64 v[22:23], s[38:39], v[54:55], -v[22:23]
	v_fma_f64 v[24:25], s[40:41], v[54:55], v[24:25]
	s_waitcnt vmcnt(0) lgkmcnt(0)
	v_mul_f64 v[26:27], s[16:17], v[2:3]
	v_mul_f64 v[2:3], s[14:15], v[2:3]
	v_fma_f64 v[26:27], s[14:15], v[0:1], -v[26:27]
	v_fma_f64 v[2:3], s[16:17], v[0:1], v[2:3]
	v_add_f64 v[0:1], v[22:23], v[26:27]
	v_add_f64 v[2:3], v[24:25], v[2:3]
	v_mul_f64 v[22:23], s[38:39], v[46:47]
	flat_store_dwordx4 v[6:7], v[0:3] offset:512
	flat_load_dwordx4 v[0:3], v[8:9] offset:768
	v_mul_f64 v[8:9], s[40:41], v[46:47]
	v_fma_f64 v[22:23], s[40:41], v[42:43], v[22:23]
	v_fma_f64 v[8:9], s[38:39], v[42:43], -v[8:9]
	s_waitcnt vmcnt(0) lgkmcnt(0)
	v_mul_f64 v[24:25], s[16:17], v[2:3]
	v_mul_f64 v[2:3], s[14:15], v[2:3]
	v_fma_f64 v[24:25], s[14:15], v[0:1], -v[24:25]
	v_fma_f64 v[2:3], s[16:17], v[0:1], v[2:3]
	v_add_f64 v[0:1], v[8:9], v[24:25]
	v_add_f64 v[2:3], v[22:23], v[2:3]
	v_add_co_u32 v8, vcc_lo, v28, v4
	v_add_co_ci_u32_e64 v9, null, v29, v5, vcc_lo
	v_mul_f64 v[22:23], s[38:39], v[68:69]
	v_add_co_u32 v30, vcc_lo, v30, s2
	v_add_co_ci_u32_e64 v31, null, s3, v31, vcc_lo
	flat_store_dwordx4 v[6:7], v[0:3] offset:768
	flat_load_dwordx4 v[0:3], v[8:9]
	v_mul_f64 v[6:7], s[40:41], v[68:69]
	v_fma_f64 v[22:23], s[40:41], v[66:67], v[22:23]
	v_fma_f64 v[6:7], s[38:39], v[66:67], -v[6:7]
	s_waitcnt vmcnt(0) lgkmcnt(0)
	v_mul_f64 v[24:25], s[16:17], v[2:3]
	v_mul_f64 v[2:3], s[14:15], v[2:3]
	v_fma_f64 v[24:25], s[14:15], v[0:1], -v[24:25]
	v_fma_f64 v[2:3], s[16:17], v[0:1], v[2:3]
	v_add_f64 v[0:1], v[6:7], v[24:25]
	v_add_f64 v[2:3], v[22:23], v[2:3]
	v_add_co_u32 v6, vcc_lo, v30, v4
	v_add_co_ci_u32_e64 v7, null, v31, v5, vcc_lo
	v_mul_f64 v[22:23], s[40:41], v[60:61]
	v_mul_f64 v[24:25], s[38:39], v[60:61]
	flat_store_dwordx4 v[6:7], v[0:3]
	flat_load_dwordx4 v[0:3], v[8:9] offset:256
	v_fma_f64 v[22:23], s[38:39], v[56:57], -v[22:23]
	v_fma_f64 v[24:25], s[40:41], v[56:57], v[24:25]
	s_waitcnt vmcnt(0) lgkmcnt(0)
	v_mul_f64 v[26:27], s[16:17], v[2:3]
	v_mul_f64 v[2:3], s[14:15], v[2:3]
	v_fma_f64 v[26:27], s[14:15], v[0:1], -v[26:27]
	v_fma_f64 v[2:3], s[16:17], v[0:1], v[2:3]
	v_add_f64 v[0:1], v[22:23], v[26:27]
	v_add_f64 v[2:3], v[24:25], v[2:3]
	v_mul_f64 v[22:23], s[40:41], v[50:51]
	v_mul_f64 v[24:25], s[38:39], v[50:51]
	flat_store_dwordx4 v[6:7], v[0:3] offset:256
	flat_load_dwordx4 v[0:3], v[8:9] offset:512
	v_fma_f64 v[22:23], s[38:39], v[44:45], -v[22:23]
	v_fma_f64 v[24:25], s[40:41], v[44:45], v[24:25]
	s_waitcnt vmcnt(0) lgkmcnt(0)
	v_mul_f64 v[26:27], s[16:17], v[2:3]
	v_mul_f64 v[2:3], s[14:15], v[2:3]
	v_fma_f64 v[26:27], s[14:15], v[0:1], -v[26:27]
	v_fma_f64 v[2:3], s[16:17], v[0:1], v[2:3]
	v_add_f64 v[0:1], v[22:23], v[26:27]
	v_add_f64 v[2:3], v[24:25], v[2:3]
	v_mul_f64 v[22:23], s[38:39], v[40:41]
	flat_store_dwordx4 v[6:7], v[0:3] offset:512
	flat_load_dwordx4 v[0:3], v[8:9] offset:768
	v_mul_f64 v[8:9], s[40:41], v[40:41]
	v_fma_f64 v[22:23], s[40:41], v[38:39], v[22:23]
	v_fma_f64 v[8:9], s[38:39], v[38:39], -v[8:9]
	s_waitcnt vmcnt(0) lgkmcnt(0)
	v_mul_f64 v[24:25], s[16:17], v[2:3]
	v_mul_f64 v[2:3], s[14:15], v[2:3]
	v_fma_f64 v[24:25], s[14:15], v[0:1], -v[24:25]
	v_fma_f64 v[2:3], s[16:17], v[0:1], v[2:3]
	v_add_f64 v[0:1], v[8:9], v[24:25]
	v_add_f64 v[2:3], v[22:23], v[2:3]
	v_add_co_u32 v8, vcc_lo, v28, s0
	v_add_co_ci_u32_e64 v9, null, s1, v29, vcc_lo
	v_add_co_u32 v8, vcc_lo, v8, v4
	v_add_co_ci_u32_e64 v9, null, v9, v5, vcc_lo
	flat_store_dwordx4 v[6:7], v[0:3] offset:768
	flat_load_dwordx4 v[0:3], v[8:9]
	v_mul_f64 v[6:7], s[40:41], v[20:21]
	v_mul_f64 v[20:21], s[38:39], v[20:21]
	v_fma_f64 v[6:7], s[38:39], v[18:19], -v[6:7]
	v_fma_f64 v[18:19], s[40:41], v[18:19], v[20:21]
	s_waitcnt vmcnt(0) lgkmcnt(0)
	v_mul_f64 v[22:23], s[16:17], v[2:3]
	v_mul_f64 v[2:3], s[14:15], v[2:3]
	v_fma_f64 v[20:21], s[14:15], v[0:1], -v[22:23]
	v_fma_f64 v[2:3], s[16:17], v[0:1], v[2:3]
	v_add_f64 v[0:1], v[6:7], v[20:21]
	v_add_f64 v[2:3], v[18:19], v[2:3]
	v_add_co_u32 v6, vcc_lo, v30, s2
	v_add_co_ci_u32_e64 v7, null, s3, v31, vcc_lo
	v_add_co_u32 v6, vcc_lo, v6, v4
	v_add_co_ci_u32_e64 v7, null, v7, v5, vcc_lo
	v_mul_f64 v[4:5], s[40:41], v[16:17]
	v_mul_f64 v[16:17], s[38:39], v[16:17]
	flat_store_dwordx4 v[6:7], v[0:3]
	flat_load_dwordx4 v[0:3], v[8:9] offset:256
	v_fma_f64 v[4:5], s[38:39], v[14:15], -v[4:5]
	v_fma_f64 v[14:15], s[40:41], v[14:15], v[16:17]
	s_waitcnt vmcnt(0) lgkmcnt(0)
	v_mul_f64 v[18:19], s[16:17], v[2:3]
	v_mul_f64 v[2:3], s[14:15], v[2:3]
	v_fma_f64 v[16:17], s[14:15], v[0:1], -v[18:19]
	v_fma_f64 v[2:3], s[16:17], v[0:1], v[2:3]
	v_add_f64 v[0:1], v[4:5], v[16:17]
	v_add_f64 v[2:3], v[14:15], v[2:3]
	v_mul_f64 v[4:5], s[40:41], v[12:13]
	v_mul_f64 v[12:13], s[38:39], v[12:13]
	flat_store_dwordx4 v[6:7], v[0:3] offset:256
	flat_load_dwordx4 v[0:3], v[8:9] offset:512
	v_fma_f64 v[4:5], s[38:39], v[10:11], -v[4:5]
	v_fma_f64 v[10:11], s[40:41], v[10:11], v[12:13]
	s_waitcnt vmcnt(0) lgkmcnt(0)
	v_mul_f64 v[14:15], s[16:17], v[2:3]
	v_mul_f64 v[2:3], s[14:15], v[2:3]
	v_fma_f64 v[12:13], s[14:15], v[0:1], -v[14:15]
	v_fma_f64 v[2:3], s[16:17], v[0:1], v[2:3]
	v_add_f64 v[0:1], v[4:5], v[12:13]
	v_add_f64 v[2:3], v[10:11], v[2:3]
	v_mul_f64 v[4:5], s[40:41], v[76:77]
	flat_store_dwordx4 v[6:7], v[0:3] offset:512
	flat_load_dwordx4 v[0:3], v[8:9] offset:768
	v_mul_f64 v[8:9], s[38:39], v[76:77]
	v_fma_f64 v[4:5], s[38:39], v[74:75], -v[4:5]
	v_fma_f64 v[8:9], s[40:41], v[74:75], v[8:9]
	s_waitcnt vmcnt(0) lgkmcnt(0)
	v_mul_f64 v[10:11], s[16:17], v[2:3]
	v_mul_f64 v[2:3], s[14:15], v[2:3]
	v_fma_f64 v[10:11], s[14:15], v[0:1], -v[10:11]
	v_fma_f64 v[0:1], s[16:17], v[0:1], v[2:3]
	v_add_f64 v[10:11], v[4:5], v[10:11]
	v_add_f64 v[2:3], v[8:9], v[0:1]
	v_add_co_u32 v4, vcc_lo, 0x300, v6
	v_add_co_ci_u32_e64 v5, null, 0, v7, vcc_lo
	flat_store_dwordx2 v[6:7], v[10:11] offset:768
.LBB253_8:
	flat_store_dwordx2 v[4:5], v[2:3] offset:8
	s_endpgm
	.section	.rodata,"a",@progbits
	.p2align	6, 0x0
	.amdhsa_kernel _ZN12_GLOBAL__N_127rocblas_gemm_batched_kernelI19rocblas_complex_numIdELi16ELi16ELi64ELi64ELi4ELi64ELi4ELi4ELi64ELc78ELc84EKPKS2_S5_KPS2_EEvlllT_PT11_llSA_llS8_PT12_llPT13_lli
		.amdhsa_group_segment_fixed_size 8192
		.amdhsa_private_segment_fixed_size 0
		.amdhsa_kernarg_size 156
		.amdhsa_user_sgpr_count 6
		.amdhsa_user_sgpr_private_segment_buffer 1
		.amdhsa_user_sgpr_dispatch_ptr 0
		.amdhsa_user_sgpr_queue_ptr 0
		.amdhsa_user_sgpr_kernarg_segment_ptr 1
		.amdhsa_user_sgpr_dispatch_id 0
		.amdhsa_user_sgpr_flat_scratch_init 0
		.amdhsa_user_sgpr_private_segment_size 0
		.amdhsa_wavefront_size32 1
		.amdhsa_uses_dynamic_stack 0
		.amdhsa_system_sgpr_private_segment_wavefront_offset 0
		.amdhsa_system_sgpr_workgroup_id_x 1
		.amdhsa_system_sgpr_workgroup_id_y 1
		.amdhsa_system_sgpr_workgroup_id_z 1
		.amdhsa_system_sgpr_workgroup_info 0
		.amdhsa_system_vgpr_workitem_id 1
		.amdhsa_next_free_vgpr 138
		.amdhsa_next_free_sgpr 52
		.amdhsa_reserve_vcc 1
		.amdhsa_reserve_flat_scratch 0
		.amdhsa_float_round_mode_32 0
		.amdhsa_float_round_mode_16_64 0
		.amdhsa_float_denorm_mode_32 3
		.amdhsa_float_denorm_mode_16_64 3
		.amdhsa_dx10_clamp 1
		.amdhsa_ieee_mode 1
		.amdhsa_fp16_overflow 0
		.amdhsa_workgroup_processor_mode 1
		.amdhsa_memory_ordered 1
		.amdhsa_forward_progress 1
		.amdhsa_shared_vgpr_count 0
		.amdhsa_exception_fp_ieee_invalid_op 0
		.amdhsa_exception_fp_denorm_src 0
		.amdhsa_exception_fp_ieee_div_zero 0
		.amdhsa_exception_fp_ieee_overflow 0
		.amdhsa_exception_fp_ieee_underflow 0
		.amdhsa_exception_fp_ieee_inexact 0
		.amdhsa_exception_int_div_zero 0
	.end_amdhsa_kernel
	.section	.text._ZN12_GLOBAL__N_127rocblas_gemm_batched_kernelI19rocblas_complex_numIdELi16ELi16ELi64ELi64ELi4ELi64ELi4ELi4ELi64ELc78ELc84EKPKS2_S5_KPS2_EEvlllT_PT11_llSA_llS8_PT12_llPT13_lli,"axG",@progbits,_ZN12_GLOBAL__N_127rocblas_gemm_batched_kernelI19rocblas_complex_numIdELi16ELi16ELi64ELi64ELi4ELi64ELi4ELi4ELi64ELc78ELc84EKPKS2_S5_KPS2_EEvlllT_PT11_llSA_llS8_PT12_llPT13_lli,comdat
.Lfunc_end253:
	.size	_ZN12_GLOBAL__N_127rocblas_gemm_batched_kernelI19rocblas_complex_numIdELi16ELi16ELi64ELi64ELi4ELi64ELi4ELi4ELi64ELc78ELc84EKPKS2_S5_KPS2_EEvlllT_PT11_llSA_llS8_PT12_llPT13_lli, .Lfunc_end253-_ZN12_GLOBAL__N_127rocblas_gemm_batched_kernelI19rocblas_complex_numIdELi16ELi16ELi64ELi64ELi4ELi64ELi4ELi4ELi64ELc78ELc84EKPKS2_S5_KPS2_EEvlllT_PT11_llSA_llS8_PT12_llPT13_lli
                                        ; -- End function
	.set _ZN12_GLOBAL__N_127rocblas_gemm_batched_kernelI19rocblas_complex_numIdELi16ELi16ELi64ELi64ELi4ELi64ELi4ELi4ELi64ELc78ELc84EKPKS2_S5_KPS2_EEvlllT_PT11_llSA_llS8_PT12_llPT13_lli.num_vgpr, 138
	.set _ZN12_GLOBAL__N_127rocblas_gemm_batched_kernelI19rocblas_complex_numIdELi16ELi16ELi64ELi64ELi4ELi64ELi4ELi4ELi64ELc78ELc84EKPKS2_S5_KPS2_EEvlllT_PT11_llSA_llS8_PT12_llPT13_lli.num_agpr, 0
	.set _ZN12_GLOBAL__N_127rocblas_gemm_batched_kernelI19rocblas_complex_numIdELi16ELi16ELi64ELi64ELi4ELi64ELi4ELi4ELi64ELc78ELc84EKPKS2_S5_KPS2_EEvlllT_PT11_llSA_llS8_PT12_llPT13_lli.numbered_sgpr, 52
	.set _ZN12_GLOBAL__N_127rocblas_gemm_batched_kernelI19rocblas_complex_numIdELi16ELi16ELi64ELi64ELi4ELi64ELi4ELi4ELi64ELc78ELc84EKPKS2_S5_KPS2_EEvlllT_PT11_llSA_llS8_PT12_llPT13_lli.num_named_barrier, 0
	.set _ZN12_GLOBAL__N_127rocblas_gemm_batched_kernelI19rocblas_complex_numIdELi16ELi16ELi64ELi64ELi4ELi64ELi4ELi4ELi64ELc78ELc84EKPKS2_S5_KPS2_EEvlllT_PT11_llSA_llS8_PT12_llPT13_lli.private_seg_size, 0
	.set _ZN12_GLOBAL__N_127rocblas_gemm_batched_kernelI19rocblas_complex_numIdELi16ELi16ELi64ELi64ELi4ELi64ELi4ELi4ELi64ELc78ELc84EKPKS2_S5_KPS2_EEvlllT_PT11_llSA_llS8_PT12_llPT13_lli.uses_vcc, 1
	.set _ZN12_GLOBAL__N_127rocblas_gemm_batched_kernelI19rocblas_complex_numIdELi16ELi16ELi64ELi64ELi4ELi64ELi4ELi4ELi64ELc78ELc84EKPKS2_S5_KPS2_EEvlllT_PT11_llSA_llS8_PT12_llPT13_lli.uses_flat_scratch, 0
	.set _ZN12_GLOBAL__N_127rocblas_gemm_batched_kernelI19rocblas_complex_numIdELi16ELi16ELi64ELi64ELi4ELi64ELi4ELi4ELi64ELc78ELc84EKPKS2_S5_KPS2_EEvlllT_PT11_llSA_llS8_PT12_llPT13_lli.has_dyn_sized_stack, 0
	.set _ZN12_GLOBAL__N_127rocblas_gemm_batched_kernelI19rocblas_complex_numIdELi16ELi16ELi64ELi64ELi4ELi64ELi4ELi4ELi64ELc78ELc84EKPKS2_S5_KPS2_EEvlllT_PT11_llSA_llS8_PT12_llPT13_lli.has_recursion, 0
	.set _ZN12_GLOBAL__N_127rocblas_gemm_batched_kernelI19rocblas_complex_numIdELi16ELi16ELi64ELi64ELi4ELi64ELi4ELi4ELi64ELc78ELc84EKPKS2_S5_KPS2_EEvlllT_PT11_llSA_llS8_PT12_llPT13_lli.has_indirect_call, 0
	.section	.AMDGPU.csdata,"",@progbits
; Kernel info:
; codeLenInByte = 7360
; TotalNumSgprs: 54
; NumVgprs: 138
; ScratchSize: 0
; MemoryBound: 0
; FloatMode: 240
; IeeeMode: 1
; LDSByteSize: 8192 bytes/workgroup (compile time only)
; SGPRBlocks: 0
; VGPRBlocks: 17
; NumSGPRsForWavesPerEU: 54
; NumVGPRsForWavesPerEU: 138
; Occupancy: 7
; WaveLimiterHint : 1
; COMPUTE_PGM_RSRC2:SCRATCH_EN: 0
; COMPUTE_PGM_RSRC2:USER_SGPR: 6
; COMPUTE_PGM_RSRC2:TRAP_HANDLER: 0
; COMPUTE_PGM_RSRC2:TGID_X_EN: 1
; COMPUTE_PGM_RSRC2:TGID_Y_EN: 1
; COMPUTE_PGM_RSRC2:TGID_Z_EN: 1
; COMPUTE_PGM_RSRC2:TIDIG_COMP_CNT: 1
	.section	.text._ZN12_GLOBAL__N_127rocblas_gemm_batched_kernelI19rocblas_complex_numIdELi16ELi16ELi64ELi64ELi4ELi64ELi4ELi4ELi64ELc84ELc84EKPKS2_S5_KPS2_EEvlllT_PT11_llSA_llS8_PT12_llPT13_lli,"axG",@progbits,_ZN12_GLOBAL__N_127rocblas_gemm_batched_kernelI19rocblas_complex_numIdELi16ELi16ELi64ELi64ELi4ELi64ELi4ELi4ELi64ELc84ELc84EKPKS2_S5_KPS2_EEvlllT_PT11_llSA_llS8_PT12_llPT13_lli,comdat
	.globl	_ZN12_GLOBAL__N_127rocblas_gemm_batched_kernelI19rocblas_complex_numIdELi16ELi16ELi64ELi64ELi4ELi64ELi4ELi4ELi64ELc84ELc84EKPKS2_S5_KPS2_EEvlllT_PT11_llSA_llS8_PT12_llPT13_lli ; -- Begin function _ZN12_GLOBAL__N_127rocblas_gemm_batched_kernelI19rocblas_complex_numIdELi16ELi16ELi64ELi64ELi4ELi64ELi4ELi4ELi64ELc84ELc84EKPKS2_S5_KPS2_EEvlllT_PT11_llSA_llS8_PT12_llPT13_lli
	.p2align	8
	.type	_ZN12_GLOBAL__N_127rocblas_gemm_batched_kernelI19rocblas_complex_numIdELi16ELi16ELi64ELi64ELi4ELi64ELi4ELi4ELi64ELc84ELc84EKPKS2_S5_KPS2_EEvlllT_PT11_llSA_llS8_PT12_llPT13_lli,@function
_ZN12_GLOBAL__N_127rocblas_gemm_batched_kernelI19rocblas_complex_numIdELi16ELi16ELi64ELi64ELi4ELi64ELi4ELi4ELi64ELc84ELc84EKPKS2_S5_KPS2_EEvlllT_PT11_llSA_llS8_PT12_llPT13_lli: ; @_ZN12_GLOBAL__N_127rocblas_gemm_batched_kernelI19rocblas_complex_numIdELi16ELi16ELi64ELi64ELi4ELi64ELi4ELi4ELi64ELc84ELc84EKPKS2_S5_KPS2_EEvlllT_PT11_llSA_llS8_PT12_llPT13_lli
; %bb.0:
	s_clause 0x1
	s_load_dwordx16 s[12:27], s[4:5], 0x50
	s_load_dwordx16 s[36:51], s[4:5], 0x10
	s_mov_b32 s9, 0
	s_mov_b32 s28, s7
	s_lshl_b64 s[10:11], s[8:9], 3
	s_waitcnt lgkmcnt(0)
	s_add_u32 s0, s18, s10
	s_addc_u32 s1, s19, s11
	s_add_u32 s2, s24, s10
	s_addc_u32 s3, s25, s11
	s_load_dwordx2 s[0:1], s[0:1], 0x0
	s_load_dwordx2 s[2:3], s[2:3], 0x0
	v_cmp_lt_i64_e64 s8, s[36:37], 1
	s_ashr_i32 s7, s6, 31
	s_ashr_i32 s29, s28, 31
	s_lshl_b64 s[6:7], s[6:7], 6
	s_and_b32 vcc_lo, exec_lo, s8
	s_lshl_b64 s[8:9], s[28:29], 6
	s_cbranch_vccnz .LBB254_3
; %bb.1:
	v_lshl_add_u32 v6, v1, 4, v0
	v_and_b32_e32 v7, 3, v0
	v_mov_b32_e32 v76, 0
	v_mov_b32_e32 v74, 0
	;; [unrolled: 1-line block ×3, first 2 shown]
	v_lshrrev_b32_e32 v8, 2, v6
	v_and_b32_e32 v9, 63, v6
	v_lshrrev_b32_e32 v12, 6, v6
	v_lshlrev_b32_e32 v13, 4, v7
	v_mov_b32_e32 v14, 0
	v_add_co_u32 v2, s18, v8, s8
	v_add_co_ci_u32_e64 v3, null, 0, s9, s18
	v_add_co_u32 v4, s18, s6, v9
	v_add_co_ci_u32_e64 v5, null, s7, 0, s18
	v_mad_u64_u32 v[2:3], null, s50, v7, v[2:3]
	v_mul_lo_u32 v10, s45, v4
	v_mul_lo_u32 v11, s44, v5
	v_mad_u64_u32 v[4:5], null, s44, v4, 0
	s_add_u32 s18, s42, s10
	s_addc_u32 s19, s43, s11
	s_add_u32 s10, s48, s10
	s_addc_u32 s11, s49, s11
	s_load_dwordx2 s[18:19], s[18:19], 0x0
	s_load_dwordx2 s[10:11], s[10:11], 0x0
	v_add3_u32 v5, v5, v11, v10
	v_mad_u64_u32 v[6:7], null, s51, v7, v[3:4]
	v_lshlrev_b32_e32 v3, 4, v9
	s_lshl_b64 s[24:25], s[46:47], 4
	v_lshlrev_b64 v[4:5], 4, v[4:5]
	s_lshl_b64 s[12:13], s[12:13], 4
	v_lshl_or_b32 v7, v8, 6, v13
	v_lshl_or_b32 v90, v12, 10, v3
	v_mov_b32_e32 v3, v6
	v_lshlrev_b32_e32 v6, 4, v12
	v_add_co_u32 v4, vcc_lo, v4, s24
	v_add_co_ci_u32_e64 v5, null, s25, v5, vcc_lo
	v_lshlrev_b64 v[2:3], 4, v[2:3]
	v_add_co_u32 v4, vcc_lo, v4, v6
	v_add_co_ci_u32_e64 v5, null, 0, v5, vcc_lo
	s_waitcnt lgkmcnt(0)
	s_add_u32 s10, s10, s12
	v_add_co_u32 v26, vcc_lo, s18, v4
	v_add_co_ci_u32_e64 v27, null, s19, v5, vcc_lo
	s_addc_u32 s11, s11, s13
	v_add_co_u32 v28, vcc_lo, s10, v2
	v_mov_b32_e32 v12, 0
	v_mov_b32_e32 v10, 0
	;; [unrolled: 1-line block ×28, first 2 shown]
	v_add_nc_u32_e32 v91, 0x1000, v7
	v_lshlrev_b32_e32 v92, 4, v0
	v_lshl_add_u32 v93, v1, 6, 0x1000
	v_mov_b32_e32 v77, 0
	v_mov_b32_e32 v75, 0
	;; [unrolled: 1-line block ×32, first 2 shown]
	v_add_co_ci_u32_e64 v29, null, s11, v3, vcc_lo
	s_lshl_b64 s[10:11], s[50:51], 6
	s_mov_b64 s[12:13], 0
.LBB254_2:                              ; =>This Inner Loop Header: Depth=1
	flat_load_dwordx4 v[2:5], v[26:27]
	s_add_u32 s12, s12, 4
	s_addc_u32 s13, s13, 0
	v_add_co_u32 v26, vcc_lo, v26, 64
	v_cmp_lt_i64_e64 s18, s[12:13], s[36:37]
	v_add_co_ci_u32_e64 v27, null, 0, v27, vcc_lo
	s_waitcnt vmcnt(0) lgkmcnt(0)
	ds_write2_b64 v90, v[2:3], v[4:5] offset1:1
	flat_load_dwordx4 v[2:5], v[28:29]
	v_add_co_u32 v28, vcc_lo, v28, s10
	v_add_co_ci_u32_e64 v29, null, s11, v29, vcc_lo
	s_and_b32 vcc_lo, exec_lo, s18
	s_waitcnt vmcnt(0) lgkmcnt(0)
	ds_write2_b64 v91, v[2:3], v[4:5] offset1:1
	s_waitcnt lgkmcnt(0)
	s_barrier
	buffer_gl0_inv
	ds_read_b128 v[78:81], v93
	ds_read_b128 v[82:85], v93 offset:16
	ds_read_b128 v[6:9], v93 offset:32
	;; [unrolled: 1-line block ×3, first 2 shown]
	ds_read_b128 v[86:89], v92
	s_waitcnt lgkmcnt(0)
	v_mul_f64 v[94:95], v[80:81], v[88:89]
	v_mul_f64 v[96:97], v[78:79], v[88:89]
	v_fma_f64 v[94:95], v[78:79], v[86:87], -v[94:95]
	v_fma_f64 v[96:97], v[80:81], v[86:87], v[96:97]
	v_add_f64 v[98:99], v[48:49], v[94:95]
	v_add_f64 v[100:101], v[96:97], v[52:53]
	ds_read_b128 v[94:97], v92 offset:256
	s_waitcnt lgkmcnt(0)
	v_mul_f64 v[48:49], v[80:81], v[96:97]
	v_mul_f64 v[52:53], v[78:79], v[96:97]
	v_fma_f64 v[48:49], v[78:79], v[94:95], -v[48:49]
	v_fma_f64 v[52:53], v[80:81], v[94:95], v[52:53]
	v_add_f64 v[102:103], v[34:35], v[48:49]
	v_add_f64 v[104:105], v[52:53], v[36:37]
	ds_read_b128 v[34:37], v92 offset:512
	;; [unrolled: 8-line block ×4, first 2 shown]
	s_waitcnt lgkmcnt(0)
	v_mul_f64 v[48:49], v[24:25], v[88:89]
	v_mul_f64 v[52:53], v[22:23], v[88:89]
	v_fma_f64 v[48:49], v[22:23], v[86:87], -v[48:49]
	v_fma_f64 v[52:53], v[24:25], v[86:87], v[52:53]
	v_add_f64 v[70:71], v[70:71], v[48:49]
	v_mul_f64 v[48:49], v[24:25], v[96:97]
	v_add_f64 v[72:73], v[52:53], v[72:73]
	v_mul_f64 v[52:53], v[22:23], v[96:97]
	v_fma_f64 v[48:49], v[22:23], v[94:95], -v[48:49]
	v_fma_f64 v[52:53], v[24:25], v[94:95], v[52:53]
	v_add_f64 v[110:111], v[62:63], v[48:49]
	v_mul_f64 v[48:49], v[24:25], v[36:37]
	v_add_f64 v[112:113], v[52:53], v[64:65]
	;; [unrolled: 6-line block ×3, first 2 shown]
	v_fma_f64 v[48:49], v[22:23], v[30:31], -v[48:49]
	v_mul_f64 v[22:23], v[22:23], v[32:33]
	v_add_f64 v[118:119], v[42:43], v[48:49]
	v_fma_f64 v[22:23], v[24:25], v[30:31], v[22:23]
	v_add_f64 v[120:121], v[22:23], v[46:47]
	ds_read_b128 v[22:25], v93 offset:2048
	s_waitcnt lgkmcnt(0)
	v_mul_f64 v[42:43], v[24:25], v[88:89]
	v_mul_f64 v[46:47], v[22:23], v[88:89]
	v_fma_f64 v[42:43], v[22:23], v[86:87], -v[42:43]
	v_fma_f64 v[46:47], v[24:25], v[86:87], v[46:47]
	v_add_f64 v[122:123], v[66:67], v[42:43]
	v_mul_f64 v[42:43], v[24:25], v[96:97]
	v_add_f64 v[124:125], v[46:47], v[68:69]
	v_mul_f64 v[46:47], v[22:23], v[96:97]
	v_fma_f64 v[42:43], v[22:23], v[94:95], -v[42:43]
	v_fma_f64 v[46:47], v[24:25], v[94:95], v[46:47]
	v_add_f64 v[126:127], v[56:57], v[42:43]
	v_mul_f64 v[42:43], v[24:25], v[36:37]
	v_add_f64 v[128:129], v[46:47], v[60:61]
	;; [unrolled: 6-line block ×3, first 2 shown]
	v_fma_f64 v[42:43], v[22:23], v[30:31], -v[42:43]
	v_mul_f64 v[22:23], v[22:23], v[32:33]
	v_add_f64 v[134:135], v[38:39], v[42:43]
	v_fma_f64 v[22:23], v[24:25], v[30:31], v[22:23]
	v_add_f64 v[136:137], v[22:23], v[40:41]
	ds_read_b128 v[22:25], v93 offset:3072
	s_waitcnt lgkmcnt(0)
	v_mul_f64 v[38:39], v[24:25], v[88:89]
	v_mul_f64 v[40:41], v[22:23], v[88:89]
	v_fma_f64 v[38:39], v[22:23], v[86:87], -v[38:39]
	v_fma_f64 v[40:41], v[24:25], v[86:87], v[40:41]
	v_add_f64 v[58:59], v[18:19], v[38:39]
	v_add_f64 v[60:61], v[40:41], v[20:21]
	v_mul_f64 v[18:19], v[24:25], v[96:97]
	v_mul_f64 v[20:21], v[22:23], v[96:97]
	v_fma_f64 v[18:19], v[22:23], v[94:95], -v[18:19]
	v_fma_f64 v[20:21], v[24:25], v[94:95], v[20:21]
	v_add_f64 v[54:55], v[14:15], v[18:19]
	v_add_f64 v[56:57], v[20:21], v[16:17]
	v_mul_f64 v[14:15], v[24:25], v[36:37]
	v_mul_f64 v[16:17], v[22:23], v[36:37]
	ds_read_b128 v[18:21], v92 offset:1280
	v_fma_f64 v[14:15], v[22:23], v[34:35], -v[14:15]
	v_fma_f64 v[16:17], v[24:25], v[34:35], v[16:17]
	v_add_f64 v[50:51], v[10:11], v[14:15]
	v_add_f64 v[52:53], v[16:17], v[12:13]
	v_mul_f64 v[10:11], v[24:25], v[32:33]
	v_mul_f64 v[12:13], v[22:23], v[32:33]
	ds_read_b128 v[14:17], v92 offset:1536
	v_fma_f64 v[10:11], v[22:23], v[30:31], -v[10:11]
	v_fma_f64 v[12:13], v[24:25], v[30:31], v[12:13]
	ds_read_b128 v[22:25], v92 offset:1024
	v_add_f64 v[46:47], v[74:75], v[10:11]
	v_add_f64 v[48:49], v[12:13], v[76:77]
	s_waitcnt lgkmcnt(0)
	v_mul_f64 v[10:11], v[84:85], v[24:25]
	v_mul_f64 v[12:13], v[82:83], v[24:25]
	ds_read_b128 v[74:77], v93 offset:1040
	v_fma_f64 v[10:11], v[82:83], v[22:23], -v[10:11]
	v_fma_f64 v[12:13], v[84:85], v[22:23], v[12:13]
	s_waitcnt lgkmcnt(0)
	v_mul_f64 v[62:63], v[76:77], v[24:25]
	v_mul_f64 v[64:65], v[74:75], v[24:25]
	;; [unrolled: 1-line block ×4, first 2 shown]
	v_add_f64 v[42:43], v[98:99], v[10:11]
	v_add_f64 v[44:45], v[12:13], v[100:101]
	v_mul_f64 v[10:11], v[84:85], v[20:21]
	v_mul_f64 v[12:13], v[82:83], v[20:21]
	v_fma_f64 v[62:63], v[74:75], v[22:23], -v[62:63]
	v_fma_f64 v[64:65], v[76:77], v[22:23], v[64:65]
	v_fma_f64 v[66:67], v[74:75], v[18:19], -v[66:67]
	v_fma_f64 v[68:69], v[76:77], v[18:19], v[68:69]
	;; [unrolled: 2-line block ×3, first 2 shown]
	v_add_f64 v[62:63], v[70:71], v[62:63]
	v_mul_f64 v[70:71], v[76:77], v[16:17]
	v_add_f64 v[64:65], v[64:65], v[72:73]
	v_mul_f64 v[72:73], v[74:75], v[16:17]
	v_add_f64 v[66:67], v[110:111], v[66:67]
	v_add_f64 v[68:69], v[68:69], v[112:113]
	;; [unrolled: 1-line block ×4, first 2 shown]
	v_mul_f64 v[10:11], v[84:85], v[16:17]
	v_mul_f64 v[12:13], v[82:83], v[16:17]
	v_fma_f64 v[70:71], v[74:75], v[14:15], -v[70:71]
	v_fma_f64 v[72:73], v[76:77], v[14:15], v[72:73]
	v_fma_f64 v[10:11], v[82:83], v[14:15], -v[10:11]
	v_fma_f64 v[12:13], v[84:85], v[14:15], v[12:13]
	v_add_f64 v[70:71], v[114:115], v[70:71]
	v_add_f64 v[72:73], v[72:73], v[116:117]
	;; [unrolled: 1-line block ×4, first 2 shown]
	ds_read_b128 v[10:13], v92 offset:1792
	s_waitcnt lgkmcnt(0)
	v_mul_f64 v[30:31], v[84:85], v[12:13]
	v_mul_f64 v[32:33], v[82:83], v[12:13]
	v_fma_f64 v[30:31], v[82:83], v[10:11], -v[30:31]
	v_fma_f64 v[32:33], v[84:85], v[10:11], v[32:33]
	v_add_f64 v[30:31], v[78:79], v[30:31]
	v_mul_f64 v[78:79], v[76:77], v[12:13]
	v_add_f64 v[32:33], v[32:33], v[80:81]
	v_fma_f64 v[78:79], v[74:75], v[10:11], -v[78:79]
	v_mul_f64 v[74:75], v[74:75], v[12:13]
	v_fma_f64 v[76:77], v[76:77], v[10:11], v[74:75]
	v_add_f64 v[74:75], v[118:119], v[78:79]
	ds_read_b128 v[78:81], v93 offset:2064
	s_waitcnt lgkmcnt(0)
	v_mul_f64 v[82:83], v[80:81], v[24:25]
	v_mul_f64 v[86:87], v[80:81], v[20:21]
	;; [unrolled: 1-line block ×7, first 2 shown]
	v_add_f64 v[76:77], v[76:77], v[120:121]
	v_fma_f64 v[82:83], v[78:79], v[22:23], -v[82:83]
	v_fma_f64 v[86:87], v[78:79], v[18:19], -v[86:87]
	;; [unrolled: 1-line block ×4, first 2 shown]
	v_mul_f64 v[78:79], v[78:79], v[12:13]
	v_fma_f64 v[84:85], v[80:81], v[22:23], v[84:85]
	v_fma_f64 v[88:89], v[80:81], v[18:19], v[88:89]
	;; [unrolled: 1-line block ×3, first 2 shown]
	v_add_f64 v[82:83], v[122:123], v[82:83]
	v_add_f64 v[86:87], v[126:127], v[86:87]
	;; [unrolled: 1-line block ×4, first 2 shown]
	v_fma_f64 v[78:79], v[80:81], v[10:11], v[78:79]
	v_add_f64 v[84:85], v[84:85], v[124:125]
	v_add_f64 v[88:89], v[88:89], v[128:129]
	;; [unrolled: 1-line block ×4, first 2 shown]
	ds_read_b128 v[78:81], v93 offset:3088
	s_waitcnt lgkmcnt(0)
	v_mul_f64 v[102:103], v[80:81], v[24:25]
	v_mul_f64 v[24:25], v[78:79], v[24:25]
	v_fma_f64 v[102:103], v[78:79], v[22:23], -v[102:103]
	v_fma_f64 v[22:23], v[80:81], v[22:23], v[24:25]
	v_add_f64 v[58:59], v[58:59], v[102:103]
	v_add_f64 v[60:61], v[22:23], v[60:61]
	v_mul_f64 v[22:23], v[80:81], v[20:21]
	v_mul_f64 v[20:21], v[78:79], v[20:21]
	v_fma_f64 v[22:23], v[78:79], v[18:19], -v[22:23]
	v_fma_f64 v[18:19], v[80:81], v[18:19], v[20:21]
	v_add_f64 v[54:55], v[54:55], v[22:23]
	v_add_f64 v[56:57], v[18:19], v[56:57]
	v_mul_f64 v[18:19], v[80:81], v[16:17]
	v_mul_f64 v[16:17], v[78:79], v[16:17]
	v_fma_f64 v[18:19], v[78:79], v[14:15], -v[18:19]
	v_fma_f64 v[14:15], v[80:81], v[14:15], v[16:17]
	v_add_f64 v[50:51], v[50:51], v[18:19]
	v_add_f64 v[52:53], v[14:15], v[52:53]
	v_mul_f64 v[14:15], v[80:81], v[12:13]
	v_mul_f64 v[12:13], v[78:79], v[12:13]
	v_fma_f64 v[14:15], v[78:79], v[10:11], -v[14:15]
	v_fma_f64 v[10:11], v[80:81], v[10:11], v[12:13]
	v_add_f64 v[46:47], v[46:47], v[14:15]
	v_add_f64 v[48:49], v[10:11], v[48:49]
	ds_read_b128 v[10:13], v92 offset:2048
	s_waitcnt lgkmcnt(0)
	v_mul_f64 v[14:15], v[8:9], v[12:13]
	v_mul_f64 v[16:17], v[6:7], v[12:13]
	v_fma_f64 v[14:15], v[6:7], v[10:11], -v[14:15]
	v_fma_f64 v[16:17], v[8:9], v[10:11], v[16:17]
	v_add_f64 v[42:43], v[42:43], v[14:15]
	v_add_f64 v[44:45], v[16:17], v[44:45]
	ds_read_b128 v[14:17], v92 offset:2304
	s_waitcnt lgkmcnt(0)
	v_mul_f64 v[18:19], v[8:9], v[16:17]
	v_mul_f64 v[20:21], v[6:7], v[16:17]
	v_fma_f64 v[18:19], v[6:7], v[14:15], -v[18:19]
	v_fma_f64 v[20:21], v[8:9], v[14:15], v[20:21]
	v_add_f64 v[38:39], v[38:39], v[18:19]
	v_add_f64 v[40:41], v[20:21], v[40:41]
	;; [unrolled: 8-line block ×3, first 2 shown]
	ds_read_b128 v[22:25], v92 offset:2816
	s_waitcnt lgkmcnt(0)
	v_mul_f64 v[34:35], v[8:9], v[24:25]
	v_fma_f64 v[34:35], v[6:7], v[22:23], -v[34:35]
	v_mul_f64 v[6:7], v[6:7], v[24:25]
	v_add_f64 v[106:107], v[30:31], v[34:35]
	v_fma_f64 v[6:7], v[8:9], v[22:23], v[6:7]
	v_add_f64 v[108:109], v[6:7], v[32:33]
	ds_read_b128 v[6:9], v93 offset:1056
	s_waitcnt lgkmcnt(0)
	v_mul_f64 v[30:31], v[8:9], v[12:13]
	v_mul_f64 v[32:33], v[6:7], v[12:13]
	v_fma_f64 v[30:31], v[6:7], v[10:11], -v[30:31]
	v_fma_f64 v[32:33], v[8:9], v[10:11], v[32:33]
	v_add_f64 v[62:63], v[62:63], v[30:31]
	v_mul_f64 v[30:31], v[8:9], v[16:17]
	v_add_f64 v[64:65], v[32:33], v[64:65]
	v_mul_f64 v[32:33], v[6:7], v[16:17]
	v_fma_f64 v[30:31], v[6:7], v[14:15], -v[30:31]
	v_fma_f64 v[32:33], v[8:9], v[14:15], v[32:33]
	v_add_f64 v[66:67], v[66:67], v[30:31]
	v_mul_f64 v[30:31], v[8:9], v[20:21]
	v_add_f64 v[68:69], v[32:33], v[68:69]
	;; [unrolled: 6-line block ×3, first 2 shown]
	v_fma_f64 v[30:31], v[6:7], v[22:23], -v[30:31]
	v_mul_f64 v[6:7], v[6:7], v[24:25]
	v_add_f64 v[114:115], v[74:75], v[30:31]
	v_fma_f64 v[6:7], v[8:9], v[22:23], v[6:7]
	v_add_f64 v[116:117], v[6:7], v[76:77]
	ds_read_b128 v[6:9], v93 offset:2080
	s_waitcnt lgkmcnt(0)
	v_mul_f64 v[30:31], v[8:9], v[12:13]
	v_mul_f64 v[32:33], v[6:7], v[12:13]
	v_fma_f64 v[30:31], v[6:7], v[10:11], -v[30:31]
	v_fma_f64 v[32:33], v[8:9], v[10:11], v[32:33]
	v_add_f64 v[118:119], v[82:83], v[30:31]
	v_mul_f64 v[30:31], v[8:9], v[16:17]
	v_add_f64 v[120:121], v[32:33], v[84:85]
	v_mul_f64 v[32:33], v[6:7], v[16:17]
	v_fma_f64 v[30:31], v[6:7], v[14:15], -v[30:31]
	v_fma_f64 v[32:33], v[8:9], v[14:15], v[32:33]
	v_add_f64 v[122:123], v[86:87], v[30:31]
	v_mul_f64 v[30:31], v[8:9], v[20:21]
	v_add_f64 v[124:125], v[32:33], v[88:89]
	;; [unrolled: 6-line block ×3, first 2 shown]
	v_fma_f64 v[30:31], v[6:7], v[22:23], -v[30:31]
	v_mul_f64 v[6:7], v[6:7], v[24:25]
	v_add_f64 v[98:99], v[98:99], v[30:31]
	v_fma_f64 v[6:7], v[8:9], v[22:23], v[6:7]
	v_add_f64 v[100:101], v[6:7], v[100:101]
	ds_read_b128 v[6:9], v93 offset:3104
	s_waitcnt lgkmcnt(0)
	v_mul_f64 v[30:31], v[8:9], v[12:13]
	v_mul_f64 v[12:13], v[6:7], v[12:13]
	v_fma_f64 v[30:31], v[6:7], v[10:11], -v[30:31]
	v_fma_f64 v[10:11], v[8:9], v[10:11], v[12:13]
	v_mul_f64 v[12:13], v[6:7], v[16:17]
	v_add_f64 v[86:87], v[58:59], v[30:31]
	v_add_f64 v[88:89], v[10:11], v[60:61]
	v_mul_f64 v[10:11], v[8:9], v[16:17]
	v_fma_f64 v[12:13], v[8:9], v[14:15], v[12:13]
	v_fma_f64 v[10:11], v[6:7], v[14:15], -v[10:11]
	v_add_f64 v[84:85], v[12:13], v[56:57]
	v_mul_f64 v[12:13], v[6:7], v[20:21]
	ds_read_b128 v[14:17], v92 offset:3328
	v_add_f64 v[82:83], v[54:55], v[10:11]
	v_mul_f64 v[10:11], v[8:9], v[20:21]
	v_fma_f64 v[12:13], v[8:9], v[18:19], v[12:13]
	v_fma_f64 v[10:11], v[6:7], v[18:19], -v[10:11]
	ds_read_b128 v[18:21], v92 offset:3072
	v_add_f64 v[80:81], v[12:13], v[52:53]
	v_add_f64 v[78:79], v[50:51], v[10:11]
	v_mul_f64 v[10:11], v[8:9], v[24:25]
	v_fma_f64 v[10:11], v[6:7], v[22:23], -v[10:11]
	v_mul_f64 v[6:7], v[6:7], v[24:25]
	v_add_f64 v[74:75], v[46:47], v[10:11]
	v_fma_f64 v[6:7], v[8:9], v[22:23], v[6:7]
	s_waitcnt lgkmcnt(0)
	v_mul_f64 v[8:9], v[2:3], v[20:21]
	ds_read_b128 v[10:13], v92 offset:3584
	v_add_f64 v[76:77], v[6:7], v[48:49]
	v_mul_f64 v[6:7], v[4:5], v[20:21]
	v_fma_f64 v[8:9], v[4:5], v[18:19], v[8:9]
	v_fma_f64 v[6:7], v[2:3], v[18:19], -v[6:7]
	v_add_f64 v[52:53], v[8:9], v[44:45]
	v_mul_f64 v[8:9], v[2:3], v[16:17]
	v_add_f64 v[48:49], v[42:43], v[6:7]
	v_mul_f64 v[6:7], v[4:5], v[16:17]
	v_fma_f64 v[8:9], v[4:5], v[14:15], v[8:9]
	v_fma_f64 v[6:7], v[2:3], v[14:15], -v[6:7]
	v_add_f64 v[36:37], v[8:9], v[40:41]
	s_waitcnt lgkmcnt(0)
	v_mul_f64 v[8:9], v[2:3], v[12:13]
	v_add_f64 v[34:35], v[38:39], v[6:7]
	v_mul_f64 v[6:7], v[4:5], v[12:13]
	v_fma_f64 v[8:9], v[4:5], v[10:11], v[8:9]
	v_fma_f64 v[6:7], v[2:3], v[10:11], -v[6:7]
	v_add_f64 v[32:33], v[8:9], v[104:105]
	v_add_f64 v[30:31], v[102:103], v[6:7]
	ds_read_b128 v[6:9], v92 offset:3840
	s_waitcnt lgkmcnt(0)
	v_mul_f64 v[22:23], v[4:5], v[8:9]
	v_fma_f64 v[22:23], v[2:3], v[6:7], -v[22:23]
	v_mul_f64 v[2:3], v[2:3], v[8:9]
	v_add_f64 v[22:23], v[106:107], v[22:23]
	v_fma_f64 v[2:3], v[4:5], v[6:7], v[2:3]
	v_add_f64 v[24:25], v[2:3], v[108:109]
	ds_read_b128 v[2:5], v93 offset:1072
	s_waitcnt lgkmcnt(0)
	v_mul_f64 v[38:39], v[4:5], v[20:21]
	v_mul_f64 v[40:41], v[2:3], v[20:21]
	v_fma_f64 v[38:39], v[2:3], v[18:19], -v[38:39]
	v_fma_f64 v[40:41], v[4:5], v[18:19], v[40:41]
	v_add_f64 v[70:71], v[62:63], v[38:39]
	v_mul_f64 v[38:39], v[4:5], v[16:17]
	v_add_f64 v[72:73], v[40:41], v[64:65]
	v_mul_f64 v[40:41], v[2:3], v[16:17]
	v_fma_f64 v[38:39], v[2:3], v[14:15], -v[38:39]
	v_fma_f64 v[40:41], v[4:5], v[14:15], v[40:41]
	v_add_f64 v[62:63], v[66:67], v[38:39]
	v_mul_f64 v[38:39], v[4:5], v[12:13]
	v_add_f64 v[64:65], v[40:41], v[68:69]
	;; [unrolled: 6-line block ×3, first 2 shown]
	v_fma_f64 v[38:39], v[2:3], v[6:7], -v[38:39]
	v_mul_f64 v[2:3], v[2:3], v[8:9]
	v_add_f64 v[42:43], v[114:115], v[38:39]
	v_fma_f64 v[2:3], v[4:5], v[6:7], v[2:3]
	v_add_f64 v[46:47], v[2:3], v[116:117]
	ds_read_b128 v[2:5], v93 offset:2096
	s_waitcnt lgkmcnt(0)
	v_mul_f64 v[38:39], v[4:5], v[20:21]
	v_mul_f64 v[40:41], v[2:3], v[20:21]
	v_fma_f64 v[38:39], v[2:3], v[18:19], -v[38:39]
	v_fma_f64 v[40:41], v[4:5], v[18:19], v[40:41]
	v_add_f64 v[66:67], v[118:119], v[38:39]
	v_mul_f64 v[38:39], v[4:5], v[16:17]
	v_add_f64 v[68:69], v[40:41], v[120:121]
	v_mul_f64 v[40:41], v[2:3], v[16:17]
	v_fma_f64 v[38:39], v[2:3], v[14:15], -v[38:39]
	v_fma_f64 v[40:41], v[4:5], v[14:15], v[40:41]
	v_add_f64 v[56:57], v[122:123], v[38:39]
	v_mul_f64 v[38:39], v[4:5], v[12:13]
	v_add_f64 v[60:61], v[40:41], v[124:125]
	;; [unrolled: 6-line block ×3, first 2 shown]
	v_fma_f64 v[38:39], v[2:3], v[6:7], -v[38:39]
	v_mul_f64 v[2:3], v[2:3], v[8:9]
	v_add_f64 v[38:39], v[98:99], v[38:39]
	v_fma_f64 v[2:3], v[4:5], v[6:7], v[2:3]
	v_add_f64 v[40:41], v[2:3], v[100:101]
	ds_read_b128 v[2:5], v93 offset:3120
	s_waitcnt lgkmcnt(0)
	s_barrier
	buffer_gl0_inv
	v_mul_f64 v[94:95], v[4:5], v[20:21]
	v_mul_f64 v[20:21], v[2:3], v[20:21]
	v_fma_f64 v[94:95], v[2:3], v[18:19], -v[94:95]
	v_fma_f64 v[20:21], v[4:5], v[18:19], v[20:21]
	v_add_f64 v[18:19], v[86:87], v[94:95]
	v_mul_f64 v[86:87], v[4:5], v[16:17]
	v_mul_f64 v[16:17], v[2:3], v[16:17]
	v_add_f64 v[20:21], v[20:21], v[88:89]
	v_fma_f64 v[86:87], v[2:3], v[14:15], -v[86:87]
	v_fma_f64 v[16:17], v[4:5], v[14:15], v[16:17]
	v_add_f64 v[14:15], v[82:83], v[86:87]
	v_mul_f64 v[82:83], v[4:5], v[12:13]
	v_mul_f64 v[12:13], v[2:3], v[12:13]
	v_add_f64 v[16:17], v[16:17], v[84:85]
	v_fma_f64 v[82:83], v[2:3], v[10:11], -v[82:83]
	v_fma_f64 v[12:13], v[4:5], v[10:11], v[12:13]
	v_add_f64 v[10:11], v[78:79], v[82:83]
	v_mul_f64 v[78:79], v[4:5], v[8:9]
	v_add_f64 v[12:13], v[12:13], v[80:81]
	v_fma_f64 v[78:79], v[2:3], v[6:7], -v[78:79]
	v_mul_f64 v[2:3], v[2:3], v[8:9]
	v_add_f64 v[74:75], v[74:75], v[78:79]
	v_fma_f64 v[2:3], v[4:5], v[6:7], v[2:3]
	v_add_f64 v[76:77], v[2:3], v[76:77]
	s_cbranch_vccnz .LBB254_2
	s_branch .LBB254_4
.LBB254_3:
	v_mov_b32_e32 v48, 0
	v_mov_b32_e32 v52, 0
	;; [unrolled: 1-line block ×64, first 2 shown]
.LBB254_4:
	s_load_dwordx2 s[4:5], s[4:5], 0x90
	v_cmp_neq_f64_e64 s10, s[14:15], 0
	v_cmp_neq_f64_e64 s11, s[16:17], 0
	v_add_co_u32 v6, s8, s8, v1
	v_add_co_ci_u32_e64 v7, null, s9, 0, s8
	s_waitcnt lgkmcnt(0)
	s_lshl_b64 s[4:5], s[4:5], 4
	s_add_u32 s4, s2, s4
	s_addc_u32 s5, s3, s5
	v_add_co_u32 v0, s3, s6, v0
	v_add_co_ci_u32_e64 v1, null, s7, 0, s3
	s_or_b32 s2, s10, s11
	s_and_b32 vcc_lo, exec_lo, s2
	s_cbranch_vccnz .LBB254_6
; %bb.5:
	v_mul_f64 v[4:5], s[40:41], v[52:53]
	v_mul_f64 v[8:9], s[38:39], v[52:53]
	v_mul_lo_u32 v78, v7, s26
	v_mul_lo_u32 v79, v6, s27
	v_mad_u64_u32 v[2:3], null, v6, s26, 0
	v_mul_f64 v[26:27], s[40:41], v[36:37]
	v_mul_f64 v[28:29], s[38:39], v[36:37]
	;; [unrolled: 1-line block ×6, first 2 shown]
	v_add3_u32 v3, v3, v79, v78
	v_mul_f64 v[78:79], s[40:41], v[32:33]
	v_mul_f64 v[88:89], s[38:39], v[72:73]
	;; [unrolled: 1-line block ×4, first 2 shown]
	v_lshlrev_b64 v[2:3], 4, v[2:3]
	v_mul_f64 v[94:95], s[40:41], v[58:59]
	v_mul_f64 v[96:97], s[38:39], v[58:59]
	;; [unrolled: 1-line block ×4, first 2 shown]
	s_lshl_b64 s[2:3], s[26:27], 8
	v_add_co_u32 v104, vcc_lo, s4, v2
	v_add_co_ci_u32_e64 v105, null, s5, v3, vcc_lo
	v_fma_f64 v[2:3], s[38:39], v[48:49], -v[4:5]
	v_fma_f64 v[4:5], s[40:41], v[48:49], v[8:9]
	v_lshlrev_b64 v[8:9], 4, v[0:1]
	v_fma_f64 v[26:27], s[38:39], v[34:35], -v[26:27]
	v_fma_f64 v[28:29], s[40:41], v[34:35], v[28:29]
	v_fma_f64 v[80:81], s[40:41], v[30:31], v[80:81]
	v_fma_f64 v[82:83], s[38:39], v[22:23], -v[82:83]
	v_fma_f64 v[84:85], s[40:41], v[22:23], v[84:85]
	v_add_co_u32 v102, vcc_lo, v104, v8
	v_fma_f64 v[78:79], s[38:39], v[30:31], -v[78:79]
	v_add_co_ci_u32_e64 v103, null, v105, v9, vcc_lo
	v_fma_f64 v[86:87], s[38:39], v[70:71], -v[86:87]
	v_fma_f64 v[88:89], s[40:41], v[70:71], v[88:89]
	v_fma_f64 v[90:91], s[38:39], v[62:63], -v[90:91]
	v_fma_f64 v[92:93], s[40:41], v[62:63], v[92:93]
	;; [unrolled: 2-line block ×3, first 2 shown]
	v_add_co_u32 v106, vcc_lo, v104, s2
	v_add_co_ci_u32_e64 v107, null, s3, v105, vcc_lo
	flat_store_dwordx4 v[102:103], v[2:5]
	v_fma_f64 v[2:3], s[38:39], v[42:43], -v[98:99]
	v_fma_f64 v[4:5], s[40:41], v[42:43], v[100:101]
	v_add_co_u32 v104, vcc_lo, v106, v8
	v_add_co_ci_u32_e64 v105, null, v107, v9, vcc_lo
	flat_store_dwordx4 v[102:103], v[26:29] offset:256
	flat_store_dwordx4 v[102:103], v[78:81] offset:512
	;; [unrolled: 1-line block ×3, first 2 shown]
	flat_store_dwordx4 v[104:105], v[86:89]
	flat_store_dwordx4 v[104:105], v[90:93] offset:256
	flat_store_dwordx4 v[104:105], v[94:97] offset:512
	v_mul_f64 v[26:27], s[40:41], v[68:69]
	v_mul_f64 v[28:29], s[38:39], v[68:69]
	;; [unrolled: 1-line block ×12, first 2 shown]
	flat_store_dwordx4 v[104:105], v[2:5] offset:768
	v_mul_f64 v[2:3], s[40:41], v[76:77]
	v_mul_f64 v[4:5], s[38:39], v[76:77]
	;; [unrolled: 1-line block ×4, first 2 shown]
	v_add_co_u32 v104, vcc_lo, v106, s2
	v_add_co_ci_u32_e64 v105, null, s3, v107, vcc_lo
	v_fma_f64 v[26:27], s[38:39], v[66:67], -v[26:27]
	v_fma_f64 v[28:29], s[40:41], v[66:67], v[28:29]
	v_fma_f64 v[78:79], s[38:39], v[56:57], -v[78:79]
	v_fma_f64 v[80:81], s[40:41], v[56:57], v[80:81]
	;; [unrolled: 2-line block ×6, first 2 shown]
	v_add_co_u32 v106, vcc_lo, v104, s2
	v_fma_f64 v[102:103], s[38:39], v[74:75], -v[2:3]
	v_fma_f64 v[2:3], s[40:41], v[74:75], v[4:5]
	v_fma_f64 v[98:99], s[38:39], v[10:11], -v[98:99]
	v_fma_f64 v[100:101], s[40:41], v[10:11], v[100:101]
	v_add_co_ci_u32_e64 v107, null, s3, v105, vcc_lo
	v_add_co_u32 v4, vcc_lo, v104, v8
	v_add_co_ci_u32_e64 v5, null, v105, v9, vcc_lo
	v_add_co_u32 v8, vcc_lo, v106, v8
	v_add_co_ci_u32_e64 v9, null, v107, v9, vcc_lo
	flat_store_dwordx4 v[4:5], v[26:29]
	flat_store_dwordx4 v[4:5], v[78:81] offset:256
	flat_store_dwordx4 v[4:5], v[82:85] offset:512
	;; [unrolled: 1-line block ×3, first 2 shown]
	flat_store_dwordx4 v[8:9], v[90:93]
	v_add_co_u32 v4, vcc_lo, 0x300, v8
	v_add_co_ci_u32_e64 v5, null, 0, v9, vcc_lo
	flat_store_dwordx4 v[8:9], v[94:97] offset:256
	flat_store_dwordx4 v[8:9], v[98:101] offset:512
	flat_store_dwordx2 v[8:9], v[102:103] offset:768
	s_cbranch_execz .LBB254_7
	s_branch .LBB254_8
.LBB254_6:
                                        ; implicit-def: $vgpr2_vgpr3
                                        ; implicit-def: $vgpr4_vgpr5
.LBB254_7:
	v_mul_lo_u32 v4, v7, s20
	v_mul_lo_u32 v5, v6, s21
	v_mad_u64_u32 v[2:3], null, v6, s20, 0
	s_lshl_b64 s[2:3], s[22:23], 4
	v_mul_f64 v[26:27], s[40:41], v[52:53]
	s_add_u32 s0, s0, s2
	s_addc_u32 s1, s1, s3
	v_mul_f64 v[28:29], s[38:39], v[52:53]
	s_lshl_b64 s[2:3], s[26:27], 8
	v_add3_u32 v3, v3, v5, v4
	v_lshlrev_b64 v[4:5], 4, v[0:1]
	v_lshlrev_b64 v[2:3], 4, v[2:3]
	v_add_co_u32 v78, vcc_lo, s0, v2
	v_add_co_ci_u32_e64 v79, null, s1, v3, vcc_lo
	s_lshl_b64 s[0:1], s[20:21], 8
	v_add_co_u32 v8, vcc_lo, v78, v4
	v_add_co_ci_u32_e64 v9, null, v79, v5, vcc_lo
	v_fma_f64 v[26:27], s[38:39], v[48:49], -v[26:27]
	v_fma_f64 v[28:29], s[40:41], v[48:49], v[28:29]
	flat_load_dwordx4 v[0:3], v[8:9]
	s_waitcnt vmcnt(0) lgkmcnt(0)
	v_mul_f64 v[52:53], s[16:17], v[2:3]
	v_mul_f64 v[2:3], s[14:15], v[2:3]
	v_fma_f64 v[48:49], s[14:15], v[0:1], -v[52:53]
	v_fma_f64 v[2:3], s[16:17], v[0:1], v[2:3]
	v_mul_lo_u32 v0, v7, s26
	v_mul_lo_u32 v1, v6, s27
	v_mad_u64_u32 v[6:7], null, v6, s26, 0
	v_add3_u32 v7, v7, v1, v0
	v_lshlrev_b64 v[6:7], 4, v[6:7]
	v_add_f64 v[0:1], v[26:27], v[48:49]
	v_add_f64 v[2:3], v[28:29], v[2:3]
	v_add_co_u32 v48, vcc_lo, s4, v6
	v_add_co_ci_u32_e64 v49, null, s5, v7, vcc_lo
	v_mul_f64 v[26:27], s[40:41], v[36:37]
	v_add_co_u32 v6, vcc_lo, v48, v4
	v_add_co_ci_u32_e64 v7, null, v49, v5, vcc_lo
	v_mul_f64 v[28:29], s[38:39], v[36:37]
	flat_store_dwordx4 v[6:7], v[0:3]
	flat_load_dwordx4 v[0:3], v[8:9] offset:256
	v_fma_f64 v[26:27], s[38:39], v[34:35], -v[26:27]
	v_fma_f64 v[28:29], s[40:41], v[34:35], v[28:29]
	s_waitcnt vmcnt(0) lgkmcnt(0)
	v_mul_f64 v[36:37], s[16:17], v[2:3]
	v_mul_f64 v[2:3], s[14:15], v[2:3]
	v_fma_f64 v[34:35], s[14:15], v[0:1], -v[36:37]
	v_fma_f64 v[2:3], s[16:17], v[0:1], v[2:3]
	v_add_f64 v[0:1], v[26:27], v[34:35]
	v_add_f64 v[2:3], v[28:29], v[2:3]
	v_mul_f64 v[26:27], s[40:41], v[32:33]
	v_mul_f64 v[28:29], s[38:39], v[32:33]
	flat_store_dwordx4 v[6:7], v[0:3] offset:256
	flat_load_dwordx4 v[0:3], v[8:9] offset:512
	v_fma_f64 v[26:27], s[38:39], v[30:31], -v[26:27]
	v_fma_f64 v[28:29], s[40:41], v[30:31], v[28:29]
	s_waitcnt vmcnt(0) lgkmcnt(0)
	v_mul_f64 v[32:33], s[16:17], v[2:3]
	v_mul_f64 v[2:3], s[14:15], v[2:3]
	v_fma_f64 v[30:31], s[14:15], v[0:1], -v[32:33]
	v_fma_f64 v[2:3], s[16:17], v[0:1], v[2:3]
	v_add_f64 v[0:1], v[26:27], v[30:31]
	v_add_f64 v[2:3], v[28:29], v[2:3]
	v_add_co_u32 v28, vcc_lo, v78, s0
	v_add_co_ci_u32_e64 v29, null, s1, v79, vcc_lo
	flat_store_dwordx4 v[6:7], v[0:3] offset:512
	flat_load_dwordx4 v[0:3], v[8:9] offset:768
	v_mul_f64 v[8:9], s[40:41], v[24:25]
	v_mul_f64 v[24:25], s[38:39], v[24:25]
	v_fma_f64 v[8:9], s[38:39], v[22:23], -v[8:9]
	v_fma_f64 v[22:23], s[40:41], v[22:23], v[24:25]
	s_waitcnt vmcnt(0) lgkmcnt(0)
	v_mul_f64 v[26:27], s[16:17], v[2:3]
	v_mul_f64 v[2:3], s[14:15], v[2:3]
	v_fma_f64 v[24:25], s[14:15], v[0:1], -v[26:27]
	v_fma_f64 v[2:3], s[16:17], v[0:1], v[2:3]
	v_add_f64 v[0:1], v[8:9], v[24:25]
	v_add_f64 v[2:3], v[22:23], v[2:3]
	v_add_co_u32 v8, vcc_lo, v28, v4
	v_add_co_ci_u32_e64 v9, null, v29, v5, vcc_lo
	v_mul_f64 v[22:23], s[38:39], v[72:73]
	v_add_co_u32 v30, vcc_lo, v48, s2
	v_add_co_ci_u32_e64 v31, null, s3, v49, vcc_lo
	flat_store_dwordx4 v[6:7], v[0:3] offset:768
	flat_load_dwordx4 v[0:3], v[8:9]
	v_mul_f64 v[6:7], s[40:41], v[72:73]
	v_fma_f64 v[22:23], s[40:41], v[70:71], v[22:23]
	v_fma_f64 v[6:7], s[38:39], v[70:71], -v[6:7]
	s_waitcnt vmcnt(0) lgkmcnt(0)
	v_mul_f64 v[24:25], s[16:17], v[2:3]
	v_mul_f64 v[2:3], s[14:15], v[2:3]
	v_fma_f64 v[24:25], s[14:15], v[0:1], -v[24:25]
	v_fma_f64 v[2:3], s[16:17], v[0:1], v[2:3]
	v_add_f64 v[0:1], v[6:7], v[24:25]
	v_add_f64 v[2:3], v[22:23], v[2:3]
	v_add_co_u32 v6, vcc_lo, v30, v4
	v_add_co_ci_u32_e64 v7, null, v31, v5, vcc_lo
	v_mul_f64 v[22:23], s[40:41], v[64:65]
	v_mul_f64 v[24:25], s[38:39], v[64:65]
	v_add_co_u32 v28, vcc_lo, v28, s0
	v_add_co_ci_u32_e64 v29, null, s1, v29, vcc_lo
	flat_store_dwordx4 v[6:7], v[0:3]
	flat_load_dwordx4 v[0:3], v[8:9] offset:256
	v_fma_f64 v[22:23], s[38:39], v[62:63], -v[22:23]
	v_fma_f64 v[24:25], s[40:41], v[62:63], v[24:25]
	s_waitcnt vmcnt(0) lgkmcnt(0)
	v_mul_f64 v[26:27], s[16:17], v[2:3]
	v_mul_f64 v[2:3], s[14:15], v[2:3]
	v_fma_f64 v[26:27], s[14:15], v[0:1], -v[26:27]
	v_fma_f64 v[2:3], s[16:17], v[0:1], v[2:3]
	v_add_f64 v[0:1], v[22:23], v[26:27]
	v_add_f64 v[2:3], v[24:25], v[2:3]
	v_mul_f64 v[22:23], s[40:41], v[58:59]
	v_mul_f64 v[24:25], s[38:39], v[58:59]
	flat_store_dwordx4 v[6:7], v[0:3] offset:256
	flat_load_dwordx4 v[0:3], v[8:9] offset:512
	v_fma_f64 v[22:23], s[38:39], v[54:55], -v[22:23]
	v_fma_f64 v[24:25], s[40:41], v[54:55], v[24:25]
	s_waitcnt vmcnt(0) lgkmcnt(0)
	v_mul_f64 v[26:27], s[16:17], v[2:3]
	v_mul_f64 v[2:3], s[14:15], v[2:3]
	v_fma_f64 v[26:27], s[14:15], v[0:1], -v[26:27]
	v_fma_f64 v[2:3], s[16:17], v[0:1], v[2:3]
	v_add_f64 v[0:1], v[22:23], v[26:27]
	v_add_f64 v[2:3], v[24:25], v[2:3]
	v_mul_f64 v[22:23], s[38:39], v[46:47]
	flat_store_dwordx4 v[6:7], v[0:3] offset:512
	flat_load_dwordx4 v[0:3], v[8:9] offset:768
	v_mul_f64 v[8:9], s[40:41], v[46:47]
	v_fma_f64 v[22:23], s[40:41], v[42:43], v[22:23]
	v_fma_f64 v[8:9], s[38:39], v[42:43], -v[8:9]
	s_waitcnt vmcnt(0) lgkmcnt(0)
	v_mul_f64 v[24:25], s[16:17], v[2:3]
	v_mul_f64 v[2:3], s[14:15], v[2:3]
	v_fma_f64 v[24:25], s[14:15], v[0:1], -v[24:25]
	v_fma_f64 v[2:3], s[16:17], v[0:1], v[2:3]
	v_add_f64 v[0:1], v[8:9], v[24:25]
	v_add_f64 v[2:3], v[22:23], v[2:3]
	v_add_co_u32 v8, vcc_lo, v28, v4
	v_add_co_ci_u32_e64 v9, null, v29, v5, vcc_lo
	v_mul_f64 v[22:23], s[38:39], v[68:69]
	v_add_co_u32 v30, vcc_lo, v30, s2
	v_add_co_ci_u32_e64 v31, null, s3, v31, vcc_lo
	flat_store_dwordx4 v[6:7], v[0:3] offset:768
	flat_load_dwordx4 v[0:3], v[8:9]
	v_mul_f64 v[6:7], s[40:41], v[68:69]
	v_fma_f64 v[22:23], s[40:41], v[66:67], v[22:23]
	v_fma_f64 v[6:7], s[38:39], v[66:67], -v[6:7]
	s_waitcnt vmcnt(0) lgkmcnt(0)
	v_mul_f64 v[24:25], s[16:17], v[2:3]
	v_mul_f64 v[2:3], s[14:15], v[2:3]
	v_fma_f64 v[24:25], s[14:15], v[0:1], -v[24:25]
	v_fma_f64 v[2:3], s[16:17], v[0:1], v[2:3]
	v_add_f64 v[0:1], v[6:7], v[24:25]
	v_add_f64 v[2:3], v[22:23], v[2:3]
	v_add_co_u32 v6, vcc_lo, v30, v4
	v_add_co_ci_u32_e64 v7, null, v31, v5, vcc_lo
	v_mul_f64 v[22:23], s[40:41], v[60:61]
	v_mul_f64 v[24:25], s[38:39], v[60:61]
	flat_store_dwordx4 v[6:7], v[0:3]
	flat_load_dwordx4 v[0:3], v[8:9] offset:256
	v_fma_f64 v[22:23], s[38:39], v[56:57], -v[22:23]
	v_fma_f64 v[24:25], s[40:41], v[56:57], v[24:25]
	s_waitcnt vmcnt(0) lgkmcnt(0)
	v_mul_f64 v[26:27], s[16:17], v[2:3]
	v_mul_f64 v[2:3], s[14:15], v[2:3]
	v_fma_f64 v[26:27], s[14:15], v[0:1], -v[26:27]
	v_fma_f64 v[2:3], s[16:17], v[0:1], v[2:3]
	v_add_f64 v[0:1], v[22:23], v[26:27]
	v_add_f64 v[2:3], v[24:25], v[2:3]
	v_mul_f64 v[22:23], s[40:41], v[50:51]
	v_mul_f64 v[24:25], s[38:39], v[50:51]
	flat_store_dwordx4 v[6:7], v[0:3] offset:256
	flat_load_dwordx4 v[0:3], v[8:9] offset:512
	v_fma_f64 v[22:23], s[38:39], v[44:45], -v[22:23]
	v_fma_f64 v[24:25], s[40:41], v[44:45], v[24:25]
	s_waitcnt vmcnt(0) lgkmcnt(0)
	v_mul_f64 v[26:27], s[16:17], v[2:3]
	v_mul_f64 v[2:3], s[14:15], v[2:3]
	v_fma_f64 v[26:27], s[14:15], v[0:1], -v[26:27]
	v_fma_f64 v[2:3], s[16:17], v[0:1], v[2:3]
	v_add_f64 v[0:1], v[22:23], v[26:27]
	v_add_f64 v[2:3], v[24:25], v[2:3]
	v_mul_f64 v[22:23], s[38:39], v[40:41]
	flat_store_dwordx4 v[6:7], v[0:3] offset:512
	flat_load_dwordx4 v[0:3], v[8:9] offset:768
	v_mul_f64 v[8:9], s[40:41], v[40:41]
	v_fma_f64 v[22:23], s[40:41], v[38:39], v[22:23]
	v_fma_f64 v[8:9], s[38:39], v[38:39], -v[8:9]
	s_waitcnt vmcnt(0) lgkmcnt(0)
	v_mul_f64 v[24:25], s[16:17], v[2:3]
	v_mul_f64 v[2:3], s[14:15], v[2:3]
	v_fma_f64 v[24:25], s[14:15], v[0:1], -v[24:25]
	v_fma_f64 v[2:3], s[16:17], v[0:1], v[2:3]
	v_add_f64 v[0:1], v[8:9], v[24:25]
	v_add_f64 v[2:3], v[22:23], v[2:3]
	v_add_co_u32 v8, vcc_lo, v28, s0
	v_add_co_ci_u32_e64 v9, null, s1, v29, vcc_lo
	v_add_co_u32 v8, vcc_lo, v8, v4
	v_add_co_ci_u32_e64 v9, null, v9, v5, vcc_lo
	flat_store_dwordx4 v[6:7], v[0:3] offset:768
	flat_load_dwordx4 v[0:3], v[8:9]
	v_mul_f64 v[6:7], s[40:41], v[20:21]
	v_mul_f64 v[20:21], s[38:39], v[20:21]
	v_fma_f64 v[6:7], s[38:39], v[18:19], -v[6:7]
	v_fma_f64 v[18:19], s[40:41], v[18:19], v[20:21]
	s_waitcnt vmcnt(0) lgkmcnt(0)
	v_mul_f64 v[22:23], s[16:17], v[2:3]
	v_mul_f64 v[2:3], s[14:15], v[2:3]
	v_fma_f64 v[20:21], s[14:15], v[0:1], -v[22:23]
	v_fma_f64 v[2:3], s[16:17], v[0:1], v[2:3]
	v_add_f64 v[0:1], v[6:7], v[20:21]
	v_add_f64 v[2:3], v[18:19], v[2:3]
	v_add_co_u32 v6, vcc_lo, v30, s2
	v_add_co_ci_u32_e64 v7, null, s3, v31, vcc_lo
	v_add_co_u32 v6, vcc_lo, v6, v4
	v_add_co_ci_u32_e64 v7, null, v7, v5, vcc_lo
	v_mul_f64 v[4:5], s[40:41], v[16:17]
	v_mul_f64 v[16:17], s[38:39], v[16:17]
	flat_store_dwordx4 v[6:7], v[0:3]
	flat_load_dwordx4 v[0:3], v[8:9] offset:256
	v_fma_f64 v[4:5], s[38:39], v[14:15], -v[4:5]
	v_fma_f64 v[14:15], s[40:41], v[14:15], v[16:17]
	s_waitcnt vmcnt(0) lgkmcnt(0)
	v_mul_f64 v[18:19], s[16:17], v[2:3]
	v_mul_f64 v[2:3], s[14:15], v[2:3]
	v_fma_f64 v[16:17], s[14:15], v[0:1], -v[18:19]
	v_fma_f64 v[2:3], s[16:17], v[0:1], v[2:3]
	v_add_f64 v[0:1], v[4:5], v[16:17]
	v_add_f64 v[2:3], v[14:15], v[2:3]
	v_mul_f64 v[4:5], s[40:41], v[12:13]
	v_mul_f64 v[12:13], s[38:39], v[12:13]
	flat_store_dwordx4 v[6:7], v[0:3] offset:256
	flat_load_dwordx4 v[0:3], v[8:9] offset:512
	v_fma_f64 v[4:5], s[38:39], v[10:11], -v[4:5]
	v_fma_f64 v[10:11], s[40:41], v[10:11], v[12:13]
	s_waitcnt vmcnt(0) lgkmcnt(0)
	v_mul_f64 v[14:15], s[16:17], v[2:3]
	v_mul_f64 v[2:3], s[14:15], v[2:3]
	v_fma_f64 v[12:13], s[14:15], v[0:1], -v[14:15]
	v_fma_f64 v[2:3], s[16:17], v[0:1], v[2:3]
	v_add_f64 v[0:1], v[4:5], v[12:13]
	v_add_f64 v[2:3], v[10:11], v[2:3]
	v_mul_f64 v[4:5], s[40:41], v[76:77]
	flat_store_dwordx4 v[6:7], v[0:3] offset:512
	flat_load_dwordx4 v[0:3], v[8:9] offset:768
	v_mul_f64 v[8:9], s[38:39], v[76:77]
	v_fma_f64 v[4:5], s[38:39], v[74:75], -v[4:5]
	v_fma_f64 v[8:9], s[40:41], v[74:75], v[8:9]
	s_waitcnt vmcnt(0) lgkmcnt(0)
	v_mul_f64 v[10:11], s[16:17], v[2:3]
	v_mul_f64 v[2:3], s[14:15], v[2:3]
	v_fma_f64 v[10:11], s[14:15], v[0:1], -v[10:11]
	v_fma_f64 v[0:1], s[16:17], v[0:1], v[2:3]
	v_add_f64 v[10:11], v[4:5], v[10:11]
	v_add_f64 v[2:3], v[8:9], v[0:1]
	v_add_co_u32 v4, vcc_lo, 0x300, v6
	v_add_co_ci_u32_e64 v5, null, 0, v7, vcc_lo
	flat_store_dwordx2 v[6:7], v[10:11] offset:768
.LBB254_8:
	flat_store_dwordx2 v[4:5], v[2:3] offset:8
	s_endpgm
	.section	.rodata,"a",@progbits
	.p2align	6, 0x0
	.amdhsa_kernel _ZN12_GLOBAL__N_127rocblas_gemm_batched_kernelI19rocblas_complex_numIdELi16ELi16ELi64ELi64ELi4ELi64ELi4ELi4ELi64ELc84ELc84EKPKS2_S5_KPS2_EEvlllT_PT11_llSA_llS8_PT12_llPT13_lli
		.amdhsa_group_segment_fixed_size 8192
		.amdhsa_private_segment_fixed_size 0
		.amdhsa_kernarg_size 156
		.amdhsa_user_sgpr_count 6
		.amdhsa_user_sgpr_private_segment_buffer 1
		.amdhsa_user_sgpr_dispatch_ptr 0
		.amdhsa_user_sgpr_queue_ptr 0
		.amdhsa_user_sgpr_kernarg_segment_ptr 1
		.amdhsa_user_sgpr_dispatch_id 0
		.amdhsa_user_sgpr_flat_scratch_init 0
		.amdhsa_user_sgpr_private_segment_size 0
		.amdhsa_wavefront_size32 1
		.amdhsa_uses_dynamic_stack 0
		.amdhsa_system_sgpr_private_segment_wavefront_offset 0
		.amdhsa_system_sgpr_workgroup_id_x 1
		.amdhsa_system_sgpr_workgroup_id_y 1
		.amdhsa_system_sgpr_workgroup_id_z 1
		.amdhsa_system_sgpr_workgroup_info 0
		.amdhsa_system_vgpr_workitem_id 1
		.amdhsa_next_free_vgpr 138
		.amdhsa_next_free_sgpr 52
		.amdhsa_reserve_vcc 1
		.amdhsa_reserve_flat_scratch 0
		.amdhsa_float_round_mode_32 0
		.amdhsa_float_round_mode_16_64 0
		.amdhsa_float_denorm_mode_32 3
		.amdhsa_float_denorm_mode_16_64 3
		.amdhsa_dx10_clamp 1
		.amdhsa_ieee_mode 1
		.amdhsa_fp16_overflow 0
		.amdhsa_workgroup_processor_mode 1
		.amdhsa_memory_ordered 1
		.amdhsa_forward_progress 1
		.amdhsa_shared_vgpr_count 0
		.amdhsa_exception_fp_ieee_invalid_op 0
		.amdhsa_exception_fp_denorm_src 0
		.amdhsa_exception_fp_ieee_div_zero 0
		.amdhsa_exception_fp_ieee_overflow 0
		.amdhsa_exception_fp_ieee_underflow 0
		.amdhsa_exception_fp_ieee_inexact 0
		.amdhsa_exception_int_div_zero 0
	.end_amdhsa_kernel
	.section	.text._ZN12_GLOBAL__N_127rocblas_gemm_batched_kernelI19rocblas_complex_numIdELi16ELi16ELi64ELi64ELi4ELi64ELi4ELi4ELi64ELc84ELc84EKPKS2_S5_KPS2_EEvlllT_PT11_llSA_llS8_PT12_llPT13_lli,"axG",@progbits,_ZN12_GLOBAL__N_127rocblas_gemm_batched_kernelI19rocblas_complex_numIdELi16ELi16ELi64ELi64ELi4ELi64ELi4ELi4ELi64ELc84ELc84EKPKS2_S5_KPS2_EEvlllT_PT11_llSA_llS8_PT12_llPT13_lli,comdat
.Lfunc_end254:
	.size	_ZN12_GLOBAL__N_127rocblas_gemm_batched_kernelI19rocblas_complex_numIdELi16ELi16ELi64ELi64ELi4ELi64ELi4ELi4ELi64ELc84ELc84EKPKS2_S5_KPS2_EEvlllT_PT11_llSA_llS8_PT12_llPT13_lli, .Lfunc_end254-_ZN12_GLOBAL__N_127rocblas_gemm_batched_kernelI19rocblas_complex_numIdELi16ELi16ELi64ELi64ELi4ELi64ELi4ELi4ELi64ELc84ELc84EKPKS2_S5_KPS2_EEvlllT_PT11_llSA_llS8_PT12_llPT13_lli
                                        ; -- End function
	.set _ZN12_GLOBAL__N_127rocblas_gemm_batched_kernelI19rocblas_complex_numIdELi16ELi16ELi64ELi64ELi4ELi64ELi4ELi4ELi64ELc84ELc84EKPKS2_S5_KPS2_EEvlllT_PT11_llSA_llS8_PT12_llPT13_lli.num_vgpr, 138
	.set _ZN12_GLOBAL__N_127rocblas_gemm_batched_kernelI19rocblas_complex_numIdELi16ELi16ELi64ELi64ELi4ELi64ELi4ELi4ELi64ELc84ELc84EKPKS2_S5_KPS2_EEvlllT_PT11_llSA_llS8_PT12_llPT13_lli.num_agpr, 0
	.set _ZN12_GLOBAL__N_127rocblas_gemm_batched_kernelI19rocblas_complex_numIdELi16ELi16ELi64ELi64ELi4ELi64ELi4ELi4ELi64ELc84ELc84EKPKS2_S5_KPS2_EEvlllT_PT11_llSA_llS8_PT12_llPT13_lli.numbered_sgpr, 52
	.set _ZN12_GLOBAL__N_127rocblas_gemm_batched_kernelI19rocblas_complex_numIdELi16ELi16ELi64ELi64ELi4ELi64ELi4ELi4ELi64ELc84ELc84EKPKS2_S5_KPS2_EEvlllT_PT11_llSA_llS8_PT12_llPT13_lli.num_named_barrier, 0
	.set _ZN12_GLOBAL__N_127rocblas_gemm_batched_kernelI19rocblas_complex_numIdELi16ELi16ELi64ELi64ELi4ELi64ELi4ELi4ELi64ELc84ELc84EKPKS2_S5_KPS2_EEvlllT_PT11_llSA_llS8_PT12_llPT13_lli.private_seg_size, 0
	.set _ZN12_GLOBAL__N_127rocblas_gemm_batched_kernelI19rocblas_complex_numIdELi16ELi16ELi64ELi64ELi4ELi64ELi4ELi4ELi64ELc84ELc84EKPKS2_S5_KPS2_EEvlllT_PT11_llSA_llS8_PT12_llPT13_lli.uses_vcc, 1
	.set _ZN12_GLOBAL__N_127rocblas_gemm_batched_kernelI19rocblas_complex_numIdELi16ELi16ELi64ELi64ELi4ELi64ELi4ELi4ELi64ELc84ELc84EKPKS2_S5_KPS2_EEvlllT_PT11_llSA_llS8_PT12_llPT13_lli.uses_flat_scratch, 0
	.set _ZN12_GLOBAL__N_127rocblas_gemm_batched_kernelI19rocblas_complex_numIdELi16ELi16ELi64ELi64ELi4ELi64ELi4ELi4ELi64ELc84ELc84EKPKS2_S5_KPS2_EEvlllT_PT11_llSA_llS8_PT12_llPT13_lli.has_dyn_sized_stack, 0
	.set _ZN12_GLOBAL__N_127rocblas_gemm_batched_kernelI19rocblas_complex_numIdELi16ELi16ELi64ELi64ELi4ELi64ELi4ELi4ELi64ELc84ELc84EKPKS2_S5_KPS2_EEvlllT_PT11_llSA_llS8_PT12_llPT13_lli.has_recursion, 0
	.set _ZN12_GLOBAL__N_127rocblas_gemm_batched_kernelI19rocblas_complex_numIdELi16ELi16ELi64ELi64ELi4ELi64ELi4ELi4ELi64ELc84ELc84EKPKS2_S5_KPS2_EEvlllT_PT11_llSA_llS8_PT12_llPT13_lli.has_indirect_call, 0
	.section	.AMDGPU.csdata,"",@progbits
; Kernel info:
; codeLenInByte = 7396
; TotalNumSgprs: 54
; NumVgprs: 138
; ScratchSize: 0
; MemoryBound: 0
; FloatMode: 240
; IeeeMode: 1
; LDSByteSize: 8192 bytes/workgroup (compile time only)
; SGPRBlocks: 0
; VGPRBlocks: 17
; NumSGPRsForWavesPerEU: 54
; NumVGPRsForWavesPerEU: 138
; Occupancy: 7
; WaveLimiterHint : 1
; COMPUTE_PGM_RSRC2:SCRATCH_EN: 0
; COMPUTE_PGM_RSRC2:USER_SGPR: 6
; COMPUTE_PGM_RSRC2:TRAP_HANDLER: 0
; COMPUTE_PGM_RSRC2:TGID_X_EN: 1
; COMPUTE_PGM_RSRC2:TGID_Y_EN: 1
; COMPUTE_PGM_RSRC2:TGID_Z_EN: 1
; COMPUTE_PGM_RSRC2:TIDIG_COMP_CNT: 1
	.section	.text._ZN12_GLOBAL__N_127rocblas_gemm_batched_kernelI19rocblas_complex_numIdELi16ELi16ELi64ELi64ELi4ELi64ELi4ELi4ELi64ELc67ELc67EKPKS2_S5_KPS2_EEvlllT_PT11_llSA_llS8_PT12_llPT13_lli,"axG",@progbits,_ZN12_GLOBAL__N_127rocblas_gemm_batched_kernelI19rocblas_complex_numIdELi16ELi16ELi64ELi64ELi4ELi64ELi4ELi4ELi64ELc67ELc67EKPKS2_S5_KPS2_EEvlllT_PT11_llSA_llS8_PT12_llPT13_lli,comdat
	.globl	_ZN12_GLOBAL__N_127rocblas_gemm_batched_kernelI19rocblas_complex_numIdELi16ELi16ELi64ELi64ELi4ELi64ELi4ELi4ELi64ELc67ELc67EKPKS2_S5_KPS2_EEvlllT_PT11_llSA_llS8_PT12_llPT13_lli ; -- Begin function _ZN12_GLOBAL__N_127rocblas_gemm_batched_kernelI19rocblas_complex_numIdELi16ELi16ELi64ELi64ELi4ELi64ELi4ELi4ELi64ELc67ELc67EKPKS2_S5_KPS2_EEvlllT_PT11_llSA_llS8_PT12_llPT13_lli
	.p2align	8
	.type	_ZN12_GLOBAL__N_127rocblas_gemm_batched_kernelI19rocblas_complex_numIdELi16ELi16ELi64ELi64ELi4ELi64ELi4ELi4ELi64ELc67ELc67EKPKS2_S5_KPS2_EEvlllT_PT11_llSA_llS8_PT12_llPT13_lli,@function
_ZN12_GLOBAL__N_127rocblas_gemm_batched_kernelI19rocblas_complex_numIdELi16ELi16ELi64ELi64ELi4ELi64ELi4ELi4ELi64ELc67ELc67EKPKS2_S5_KPS2_EEvlllT_PT11_llSA_llS8_PT12_llPT13_lli: ; @_ZN12_GLOBAL__N_127rocblas_gemm_batched_kernelI19rocblas_complex_numIdELi16ELi16ELi64ELi64ELi4ELi64ELi4ELi4ELi64ELc67ELc67EKPKS2_S5_KPS2_EEvlllT_PT11_llSA_llS8_PT12_llPT13_lli
; %bb.0:
	s_clause 0x1
	s_load_dwordx16 s[12:27], s[4:5], 0x50
	s_load_dwordx16 s[36:51], s[4:5], 0x10
	s_mov_b32 s9, 0
	s_mov_b32 s28, s7
	s_lshl_b64 s[10:11], s[8:9], 3
	s_waitcnt lgkmcnt(0)
	s_add_u32 s0, s18, s10
	s_addc_u32 s1, s19, s11
	s_add_u32 s2, s24, s10
	s_addc_u32 s3, s25, s11
	s_load_dwordx2 s[0:1], s[0:1], 0x0
	s_load_dwordx2 s[2:3], s[2:3], 0x0
	v_cmp_lt_i64_e64 s8, s[36:37], 1
	s_ashr_i32 s7, s6, 31
	s_ashr_i32 s29, s28, 31
	s_lshl_b64 s[6:7], s[6:7], 6
	s_and_b32 vcc_lo, exec_lo, s8
	s_lshl_b64 s[8:9], s[28:29], 6
	s_cbranch_vccnz .LBB255_3
; %bb.1:
	v_lshl_add_u32 v6, v1, 4, v0
	v_and_b32_e32 v7, 3, v0
	v_mov_b32_e32 v76, 0
	v_mov_b32_e32 v74, 0
	;; [unrolled: 1-line block ×3, first 2 shown]
	v_lshrrev_b32_e32 v8, 2, v6
	v_and_b32_e32 v9, 63, v6
	v_lshrrev_b32_e32 v12, 6, v6
	v_lshlrev_b32_e32 v13, 4, v7
	v_mov_b32_e32 v14, 0
	v_add_co_u32 v2, s18, v8, s8
	v_add_co_ci_u32_e64 v3, null, 0, s9, s18
	v_add_co_u32 v4, s18, s6, v9
	v_add_co_ci_u32_e64 v5, null, s7, 0, s18
	v_mad_u64_u32 v[2:3], null, s50, v7, v[2:3]
	v_mul_lo_u32 v10, s45, v4
	v_mul_lo_u32 v11, s44, v5
	v_mad_u64_u32 v[4:5], null, s44, v4, 0
	s_add_u32 s18, s42, s10
	s_addc_u32 s19, s43, s11
	s_add_u32 s10, s48, s10
	s_addc_u32 s11, s49, s11
	s_load_dwordx2 s[18:19], s[18:19], 0x0
	s_load_dwordx2 s[10:11], s[10:11], 0x0
	v_add3_u32 v5, v5, v11, v10
	v_mad_u64_u32 v[6:7], null, s51, v7, v[3:4]
	v_lshlrev_b32_e32 v3, 4, v9
	s_lshl_b64 s[24:25], s[46:47], 4
	v_lshlrev_b64 v[4:5], 4, v[4:5]
	s_lshl_b64 s[12:13], s[12:13], 4
	v_lshl_or_b32 v7, v8, 6, v13
	v_lshl_or_b32 v90, v12, 10, v3
	v_mov_b32_e32 v3, v6
	v_lshlrev_b32_e32 v6, 4, v12
	v_add_co_u32 v4, vcc_lo, v4, s24
	v_add_co_ci_u32_e64 v5, null, s25, v5, vcc_lo
	v_lshlrev_b64 v[2:3], 4, v[2:3]
	v_add_co_u32 v4, vcc_lo, v4, v6
	v_add_co_ci_u32_e64 v5, null, 0, v5, vcc_lo
	s_waitcnt lgkmcnt(0)
	s_add_u32 s10, s10, s12
	v_add_co_u32 v26, vcc_lo, s18, v4
	v_add_co_ci_u32_e64 v27, null, s19, v5, vcc_lo
	s_addc_u32 s11, s11, s13
	v_add_co_u32 v28, vcc_lo, s10, v2
	v_mov_b32_e32 v12, 0
	v_mov_b32_e32 v10, 0
	;; [unrolled: 1-line block ×28, first 2 shown]
	v_add_nc_u32_e32 v91, 0x1000, v7
	v_lshlrev_b32_e32 v92, 4, v0
	v_lshl_add_u32 v93, v1, 6, 0x1000
	v_mov_b32_e32 v77, 0
	v_mov_b32_e32 v75, 0
	;; [unrolled: 1-line block ×32, first 2 shown]
	v_add_co_ci_u32_e64 v29, null, s11, v3, vcc_lo
	s_lshl_b64 s[10:11], s[50:51], 6
	s_mov_b64 s[12:13], 0
.LBB255_2:                              ; =>This Inner Loop Header: Depth=1
	flat_load_dwordx4 v[2:5], v[26:27]
	s_add_u32 s12, s12, 4
	s_addc_u32 s13, s13, 0
	v_add_co_u32 v26, vcc_lo, v26, 64
	v_cmp_lt_i64_e64 s18, s[12:13], s[36:37]
	v_add_co_ci_u32_e64 v27, null, 0, v27, vcc_lo
	s_waitcnt vmcnt(0) lgkmcnt(0)
	v_xor_b32_e32 v5, 0x80000000, v5
	ds_write_b128 v90, v[2:5]
	flat_load_dwordx4 v[2:5], v[28:29]
	v_add_co_u32 v28, vcc_lo, v28, s10
	v_add_co_ci_u32_e64 v29, null, s11, v29, vcc_lo
	s_and_b32 vcc_lo, exec_lo, s18
	s_waitcnt vmcnt(0) lgkmcnt(0)
	v_xor_b32_e32 v5, 0x80000000, v5
	ds_write_b128 v91, v[2:5]
	s_waitcnt lgkmcnt(0)
	s_barrier
	buffer_gl0_inv
	ds_read_b128 v[78:81], v93
	ds_read_b128 v[82:85], v93 offset:16
	ds_read_b128 v[6:9], v93 offset:32
	;; [unrolled: 1-line block ×3, first 2 shown]
	ds_read_b128 v[86:89], v92
	s_waitcnt lgkmcnt(0)
	v_mul_f64 v[94:95], v[80:81], v[88:89]
	v_mul_f64 v[96:97], v[78:79], v[88:89]
	v_fma_f64 v[94:95], v[78:79], v[86:87], -v[94:95]
	v_fma_f64 v[96:97], v[80:81], v[86:87], v[96:97]
	v_add_f64 v[98:99], v[48:49], v[94:95]
	v_add_f64 v[100:101], v[96:97], v[52:53]
	ds_read_b128 v[94:97], v92 offset:256
	s_waitcnt lgkmcnt(0)
	v_mul_f64 v[48:49], v[80:81], v[96:97]
	v_mul_f64 v[52:53], v[78:79], v[96:97]
	v_fma_f64 v[48:49], v[78:79], v[94:95], -v[48:49]
	v_fma_f64 v[52:53], v[80:81], v[94:95], v[52:53]
	v_add_f64 v[102:103], v[34:35], v[48:49]
	v_add_f64 v[104:105], v[52:53], v[36:37]
	ds_read_b128 v[34:37], v92 offset:512
	;; [unrolled: 8-line block ×4, first 2 shown]
	s_waitcnt lgkmcnt(0)
	v_mul_f64 v[48:49], v[24:25], v[88:89]
	v_mul_f64 v[52:53], v[22:23], v[88:89]
	v_fma_f64 v[48:49], v[22:23], v[86:87], -v[48:49]
	v_fma_f64 v[52:53], v[24:25], v[86:87], v[52:53]
	v_add_f64 v[70:71], v[70:71], v[48:49]
	v_mul_f64 v[48:49], v[24:25], v[96:97]
	v_add_f64 v[72:73], v[52:53], v[72:73]
	v_mul_f64 v[52:53], v[22:23], v[96:97]
	v_fma_f64 v[48:49], v[22:23], v[94:95], -v[48:49]
	v_fma_f64 v[52:53], v[24:25], v[94:95], v[52:53]
	v_add_f64 v[110:111], v[62:63], v[48:49]
	v_mul_f64 v[48:49], v[24:25], v[36:37]
	v_add_f64 v[112:113], v[52:53], v[64:65]
	;; [unrolled: 6-line block ×3, first 2 shown]
	v_fma_f64 v[48:49], v[22:23], v[30:31], -v[48:49]
	v_mul_f64 v[22:23], v[22:23], v[32:33]
	v_add_f64 v[118:119], v[42:43], v[48:49]
	v_fma_f64 v[22:23], v[24:25], v[30:31], v[22:23]
	v_add_f64 v[120:121], v[22:23], v[46:47]
	ds_read_b128 v[22:25], v93 offset:2048
	s_waitcnt lgkmcnt(0)
	v_mul_f64 v[42:43], v[24:25], v[88:89]
	v_mul_f64 v[46:47], v[22:23], v[88:89]
	v_fma_f64 v[42:43], v[22:23], v[86:87], -v[42:43]
	v_fma_f64 v[46:47], v[24:25], v[86:87], v[46:47]
	v_add_f64 v[122:123], v[66:67], v[42:43]
	v_mul_f64 v[42:43], v[24:25], v[96:97]
	v_add_f64 v[124:125], v[46:47], v[68:69]
	v_mul_f64 v[46:47], v[22:23], v[96:97]
	v_fma_f64 v[42:43], v[22:23], v[94:95], -v[42:43]
	v_fma_f64 v[46:47], v[24:25], v[94:95], v[46:47]
	v_add_f64 v[126:127], v[56:57], v[42:43]
	v_mul_f64 v[42:43], v[24:25], v[36:37]
	v_add_f64 v[128:129], v[46:47], v[60:61]
	;; [unrolled: 6-line block ×3, first 2 shown]
	v_fma_f64 v[42:43], v[22:23], v[30:31], -v[42:43]
	v_mul_f64 v[22:23], v[22:23], v[32:33]
	v_add_f64 v[134:135], v[38:39], v[42:43]
	v_fma_f64 v[22:23], v[24:25], v[30:31], v[22:23]
	v_add_f64 v[136:137], v[22:23], v[40:41]
	ds_read_b128 v[22:25], v93 offset:3072
	s_waitcnt lgkmcnt(0)
	v_mul_f64 v[38:39], v[24:25], v[88:89]
	v_mul_f64 v[40:41], v[22:23], v[88:89]
	v_fma_f64 v[38:39], v[22:23], v[86:87], -v[38:39]
	v_fma_f64 v[40:41], v[24:25], v[86:87], v[40:41]
	v_add_f64 v[58:59], v[18:19], v[38:39]
	v_add_f64 v[60:61], v[40:41], v[20:21]
	v_mul_f64 v[18:19], v[24:25], v[96:97]
	v_mul_f64 v[20:21], v[22:23], v[96:97]
	v_fma_f64 v[18:19], v[22:23], v[94:95], -v[18:19]
	v_fma_f64 v[20:21], v[24:25], v[94:95], v[20:21]
	v_add_f64 v[54:55], v[14:15], v[18:19]
	v_add_f64 v[56:57], v[20:21], v[16:17]
	v_mul_f64 v[14:15], v[24:25], v[36:37]
	v_mul_f64 v[16:17], v[22:23], v[36:37]
	ds_read_b128 v[18:21], v92 offset:1280
	v_fma_f64 v[14:15], v[22:23], v[34:35], -v[14:15]
	v_fma_f64 v[16:17], v[24:25], v[34:35], v[16:17]
	v_add_f64 v[50:51], v[10:11], v[14:15]
	v_add_f64 v[52:53], v[16:17], v[12:13]
	v_mul_f64 v[10:11], v[24:25], v[32:33]
	v_mul_f64 v[12:13], v[22:23], v[32:33]
	ds_read_b128 v[14:17], v92 offset:1536
	v_fma_f64 v[10:11], v[22:23], v[30:31], -v[10:11]
	v_fma_f64 v[12:13], v[24:25], v[30:31], v[12:13]
	ds_read_b128 v[22:25], v92 offset:1024
	v_add_f64 v[46:47], v[74:75], v[10:11]
	v_add_f64 v[48:49], v[12:13], v[76:77]
	s_waitcnt lgkmcnt(0)
	v_mul_f64 v[10:11], v[84:85], v[24:25]
	v_mul_f64 v[12:13], v[82:83], v[24:25]
	ds_read_b128 v[74:77], v93 offset:1040
	v_fma_f64 v[10:11], v[82:83], v[22:23], -v[10:11]
	v_fma_f64 v[12:13], v[84:85], v[22:23], v[12:13]
	s_waitcnt lgkmcnt(0)
	v_mul_f64 v[62:63], v[76:77], v[24:25]
	v_mul_f64 v[64:65], v[74:75], v[24:25]
	;; [unrolled: 1-line block ×4, first 2 shown]
	v_add_f64 v[42:43], v[98:99], v[10:11]
	v_add_f64 v[44:45], v[12:13], v[100:101]
	v_mul_f64 v[10:11], v[84:85], v[20:21]
	v_mul_f64 v[12:13], v[82:83], v[20:21]
	v_fma_f64 v[62:63], v[74:75], v[22:23], -v[62:63]
	v_fma_f64 v[64:65], v[76:77], v[22:23], v[64:65]
	v_fma_f64 v[66:67], v[74:75], v[18:19], -v[66:67]
	v_fma_f64 v[68:69], v[76:77], v[18:19], v[68:69]
	;; [unrolled: 2-line block ×3, first 2 shown]
	v_add_f64 v[62:63], v[70:71], v[62:63]
	v_mul_f64 v[70:71], v[76:77], v[16:17]
	v_add_f64 v[64:65], v[64:65], v[72:73]
	v_mul_f64 v[72:73], v[74:75], v[16:17]
	v_add_f64 v[66:67], v[110:111], v[66:67]
	v_add_f64 v[68:69], v[68:69], v[112:113]
	;; [unrolled: 1-line block ×4, first 2 shown]
	v_mul_f64 v[10:11], v[84:85], v[16:17]
	v_mul_f64 v[12:13], v[82:83], v[16:17]
	v_fma_f64 v[70:71], v[74:75], v[14:15], -v[70:71]
	v_fma_f64 v[72:73], v[76:77], v[14:15], v[72:73]
	v_fma_f64 v[10:11], v[82:83], v[14:15], -v[10:11]
	v_fma_f64 v[12:13], v[84:85], v[14:15], v[12:13]
	v_add_f64 v[70:71], v[114:115], v[70:71]
	v_add_f64 v[72:73], v[72:73], v[116:117]
	;; [unrolled: 1-line block ×4, first 2 shown]
	ds_read_b128 v[10:13], v92 offset:1792
	s_waitcnt lgkmcnt(0)
	v_mul_f64 v[30:31], v[84:85], v[12:13]
	v_mul_f64 v[32:33], v[82:83], v[12:13]
	v_fma_f64 v[30:31], v[82:83], v[10:11], -v[30:31]
	v_fma_f64 v[32:33], v[84:85], v[10:11], v[32:33]
	v_add_f64 v[30:31], v[78:79], v[30:31]
	v_mul_f64 v[78:79], v[76:77], v[12:13]
	v_add_f64 v[32:33], v[32:33], v[80:81]
	v_fma_f64 v[78:79], v[74:75], v[10:11], -v[78:79]
	v_mul_f64 v[74:75], v[74:75], v[12:13]
	v_fma_f64 v[76:77], v[76:77], v[10:11], v[74:75]
	v_add_f64 v[74:75], v[118:119], v[78:79]
	ds_read_b128 v[78:81], v93 offset:2064
	s_waitcnt lgkmcnt(0)
	v_mul_f64 v[82:83], v[80:81], v[24:25]
	v_mul_f64 v[86:87], v[80:81], v[20:21]
	;; [unrolled: 1-line block ×7, first 2 shown]
	v_add_f64 v[76:77], v[76:77], v[120:121]
	v_fma_f64 v[82:83], v[78:79], v[22:23], -v[82:83]
	v_fma_f64 v[86:87], v[78:79], v[18:19], -v[86:87]
	;; [unrolled: 1-line block ×4, first 2 shown]
	v_mul_f64 v[78:79], v[78:79], v[12:13]
	v_fma_f64 v[84:85], v[80:81], v[22:23], v[84:85]
	v_fma_f64 v[88:89], v[80:81], v[18:19], v[88:89]
	;; [unrolled: 1-line block ×3, first 2 shown]
	v_add_f64 v[82:83], v[122:123], v[82:83]
	v_add_f64 v[86:87], v[126:127], v[86:87]
	;; [unrolled: 1-line block ×4, first 2 shown]
	v_fma_f64 v[78:79], v[80:81], v[10:11], v[78:79]
	v_add_f64 v[84:85], v[84:85], v[124:125]
	v_add_f64 v[88:89], v[88:89], v[128:129]
	;; [unrolled: 1-line block ×4, first 2 shown]
	ds_read_b128 v[78:81], v93 offset:3088
	s_waitcnt lgkmcnt(0)
	v_mul_f64 v[102:103], v[80:81], v[24:25]
	v_mul_f64 v[24:25], v[78:79], v[24:25]
	v_fma_f64 v[102:103], v[78:79], v[22:23], -v[102:103]
	v_fma_f64 v[22:23], v[80:81], v[22:23], v[24:25]
	v_add_f64 v[58:59], v[58:59], v[102:103]
	v_add_f64 v[60:61], v[22:23], v[60:61]
	v_mul_f64 v[22:23], v[80:81], v[20:21]
	v_mul_f64 v[20:21], v[78:79], v[20:21]
	v_fma_f64 v[22:23], v[78:79], v[18:19], -v[22:23]
	v_fma_f64 v[18:19], v[80:81], v[18:19], v[20:21]
	v_add_f64 v[54:55], v[54:55], v[22:23]
	v_add_f64 v[56:57], v[18:19], v[56:57]
	;; [unrolled: 6-line block ×4, first 2 shown]
	ds_read_b128 v[10:13], v92 offset:2048
	s_waitcnt lgkmcnt(0)
	v_mul_f64 v[14:15], v[8:9], v[12:13]
	v_mul_f64 v[16:17], v[6:7], v[12:13]
	v_fma_f64 v[14:15], v[6:7], v[10:11], -v[14:15]
	v_fma_f64 v[16:17], v[8:9], v[10:11], v[16:17]
	v_add_f64 v[42:43], v[42:43], v[14:15]
	v_add_f64 v[44:45], v[16:17], v[44:45]
	ds_read_b128 v[14:17], v92 offset:2304
	s_waitcnt lgkmcnt(0)
	v_mul_f64 v[18:19], v[8:9], v[16:17]
	v_mul_f64 v[20:21], v[6:7], v[16:17]
	v_fma_f64 v[18:19], v[6:7], v[14:15], -v[18:19]
	v_fma_f64 v[20:21], v[8:9], v[14:15], v[20:21]
	v_add_f64 v[38:39], v[38:39], v[18:19]
	v_add_f64 v[40:41], v[20:21], v[40:41]
	;; [unrolled: 8-line block ×3, first 2 shown]
	ds_read_b128 v[22:25], v92 offset:2816
	s_waitcnt lgkmcnt(0)
	v_mul_f64 v[34:35], v[8:9], v[24:25]
	v_fma_f64 v[34:35], v[6:7], v[22:23], -v[34:35]
	v_mul_f64 v[6:7], v[6:7], v[24:25]
	v_add_f64 v[106:107], v[30:31], v[34:35]
	v_fma_f64 v[6:7], v[8:9], v[22:23], v[6:7]
	v_add_f64 v[108:109], v[6:7], v[32:33]
	ds_read_b128 v[6:9], v93 offset:1056
	s_waitcnt lgkmcnt(0)
	v_mul_f64 v[30:31], v[8:9], v[12:13]
	v_mul_f64 v[32:33], v[6:7], v[12:13]
	v_fma_f64 v[30:31], v[6:7], v[10:11], -v[30:31]
	v_fma_f64 v[32:33], v[8:9], v[10:11], v[32:33]
	v_add_f64 v[62:63], v[62:63], v[30:31]
	v_mul_f64 v[30:31], v[8:9], v[16:17]
	v_add_f64 v[64:65], v[32:33], v[64:65]
	v_mul_f64 v[32:33], v[6:7], v[16:17]
	v_fma_f64 v[30:31], v[6:7], v[14:15], -v[30:31]
	v_fma_f64 v[32:33], v[8:9], v[14:15], v[32:33]
	v_add_f64 v[66:67], v[66:67], v[30:31]
	v_mul_f64 v[30:31], v[8:9], v[20:21]
	v_add_f64 v[68:69], v[32:33], v[68:69]
	;; [unrolled: 6-line block ×3, first 2 shown]
	v_fma_f64 v[30:31], v[6:7], v[22:23], -v[30:31]
	v_mul_f64 v[6:7], v[6:7], v[24:25]
	v_add_f64 v[114:115], v[74:75], v[30:31]
	v_fma_f64 v[6:7], v[8:9], v[22:23], v[6:7]
	v_add_f64 v[116:117], v[6:7], v[76:77]
	ds_read_b128 v[6:9], v93 offset:2080
	s_waitcnt lgkmcnt(0)
	v_mul_f64 v[30:31], v[8:9], v[12:13]
	v_mul_f64 v[32:33], v[6:7], v[12:13]
	v_fma_f64 v[30:31], v[6:7], v[10:11], -v[30:31]
	v_fma_f64 v[32:33], v[8:9], v[10:11], v[32:33]
	v_add_f64 v[118:119], v[82:83], v[30:31]
	v_mul_f64 v[30:31], v[8:9], v[16:17]
	v_add_f64 v[120:121], v[32:33], v[84:85]
	v_mul_f64 v[32:33], v[6:7], v[16:17]
	v_fma_f64 v[30:31], v[6:7], v[14:15], -v[30:31]
	v_fma_f64 v[32:33], v[8:9], v[14:15], v[32:33]
	v_add_f64 v[122:123], v[86:87], v[30:31]
	v_mul_f64 v[30:31], v[8:9], v[20:21]
	v_add_f64 v[124:125], v[32:33], v[88:89]
	;; [unrolled: 6-line block ×3, first 2 shown]
	v_fma_f64 v[30:31], v[6:7], v[22:23], -v[30:31]
	v_mul_f64 v[6:7], v[6:7], v[24:25]
	v_add_f64 v[98:99], v[98:99], v[30:31]
	v_fma_f64 v[6:7], v[8:9], v[22:23], v[6:7]
	v_add_f64 v[100:101], v[6:7], v[100:101]
	ds_read_b128 v[6:9], v93 offset:3104
	s_waitcnt lgkmcnt(0)
	v_mul_f64 v[30:31], v[8:9], v[12:13]
	v_mul_f64 v[12:13], v[6:7], v[12:13]
	v_fma_f64 v[30:31], v[6:7], v[10:11], -v[30:31]
	v_fma_f64 v[10:11], v[8:9], v[10:11], v[12:13]
	v_mul_f64 v[12:13], v[6:7], v[16:17]
	v_add_f64 v[86:87], v[58:59], v[30:31]
	v_add_f64 v[88:89], v[10:11], v[60:61]
	v_mul_f64 v[10:11], v[8:9], v[16:17]
	v_fma_f64 v[12:13], v[8:9], v[14:15], v[12:13]
	v_fma_f64 v[10:11], v[6:7], v[14:15], -v[10:11]
	v_add_f64 v[84:85], v[12:13], v[56:57]
	v_mul_f64 v[12:13], v[6:7], v[20:21]
	ds_read_b128 v[14:17], v92 offset:3328
	v_add_f64 v[82:83], v[54:55], v[10:11]
	v_mul_f64 v[10:11], v[8:9], v[20:21]
	v_fma_f64 v[12:13], v[8:9], v[18:19], v[12:13]
	v_fma_f64 v[10:11], v[6:7], v[18:19], -v[10:11]
	ds_read_b128 v[18:21], v92 offset:3072
	v_add_f64 v[80:81], v[12:13], v[52:53]
	v_add_f64 v[78:79], v[50:51], v[10:11]
	v_mul_f64 v[10:11], v[8:9], v[24:25]
	v_fma_f64 v[10:11], v[6:7], v[22:23], -v[10:11]
	v_mul_f64 v[6:7], v[6:7], v[24:25]
	v_add_f64 v[74:75], v[46:47], v[10:11]
	v_fma_f64 v[6:7], v[8:9], v[22:23], v[6:7]
	s_waitcnt lgkmcnt(0)
	v_mul_f64 v[8:9], v[2:3], v[20:21]
	ds_read_b128 v[10:13], v92 offset:3584
	v_add_f64 v[76:77], v[6:7], v[48:49]
	v_mul_f64 v[6:7], v[4:5], v[20:21]
	v_fma_f64 v[8:9], v[4:5], v[18:19], v[8:9]
	v_fma_f64 v[6:7], v[2:3], v[18:19], -v[6:7]
	v_add_f64 v[52:53], v[8:9], v[44:45]
	v_mul_f64 v[8:9], v[2:3], v[16:17]
	v_add_f64 v[48:49], v[42:43], v[6:7]
	v_mul_f64 v[6:7], v[4:5], v[16:17]
	v_fma_f64 v[8:9], v[4:5], v[14:15], v[8:9]
	v_fma_f64 v[6:7], v[2:3], v[14:15], -v[6:7]
	v_add_f64 v[36:37], v[8:9], v[40:41]
	s_waitcnt lgkmcnt(0)
	v_mul_f64 v[8:9], v[2:3], v[12:13]
	v_add_f64 v[34:35], v[38:39], v[6:7]
	v_mul_f64 v[6:7], v[4:5], v[12:13]
	v_fma_f64 v[8:9], v[4:5], v[10:11], v[8:9]
	v_fma_f64 v[6:7], v[2:3], v[10:11], -v[6:7]
	v_add_f64 v[32:33], v[8:9], v[104:105]
	v_add_f64 v[30:31], v[102:103], v[6:7]
	ds_read_b128 v[6:9], v92 offset:3840
	s_waitcnt lgkmcnt(0)
	v_mul_f64 v[22:23], v[4:5], v[8:9]
	v_fma_f64 v[22:23], v[2:3], v[6:7], -v[22:23]
	v_mul_f64 v[2:3], v[2:3], v[8:9]
	v_add_f64 v[22:23], v[106:107], v[22:23]
	v_fma_f64 v[2:3], v[4:5], v[6:7], v[2:3]
	v_add_f64 v[24:25], v[2:3], v[108:109]
	ds_read_b128 v[2:5], v93 offset:1072
	s_waitcnt lgkmcnt(0)
	v_mul_f64 v[38:39], v[4:5], v[20:21]
	v_mul_f64 v[40:41], v[2:3], v[20:21]
	v_fma_f64 v[38:39], v[2:3], v[18:19], -v[38:39]
	v_fma_f64 v[40:41], v[4:5], v[18:19], v[40:41]
	v_add_f64 v[70:71], v[62:63], v[38:39]
	v_mul_f64 v[38:39], v[4:5], v[16:17]
	v_add_f64 v[72:73], v[40:41], v[64:65]
	v_mul_f64 v[40:41], v[2:3], v[16:17]
	v_fma_f64 v[38:39], v[2:3], v[14:15], -v[38:39]
	v_fma_f64 v[40:41], v[4:5], v[14:15], v[40:41]
	v_add_f64 v[62:63], v[66:67], v[38:39]
	v_mul_f64 v[38:39], v[4:5], v[12:13]
	v_add_f64 v[64:65], v[40:41], v[68:69]
	;; [unrolled: 6-line block ×3, first 2 shown]
	v_fma_f64 v[38:39], v[2:3], v[6:7], -v[38:39]
	v_mul_f64 v[2:3], v[2:3], v[8:9]
	v_add_f64 v[42:43], v[114:115], v[38:39]
	v_fma_f64 v[2:3], v[4:5], v[6:7], v[2:3]
	v_add_f64 v[46:47], v[2:3], v[116:117]
	ds_read_b128 v[2:5], v93 offset:2096
	s_waitcnt lgkmcnt(0)
	v_mul_f64 v[38:39], v[4:5], v[20:21]
	v_mul_f64 v[40:41], v[2:3], v[20:21]
	v_fma_f64 v[38:39], v[2:3], v[18:19], -v[38:39]
	v_fma_f64 v[40:41], v[4:5], v[18:19], v[40:41]
	v_add_f64 v[66:67], v[118:119], v[38:39]
	v_mul_f64 v[38:39], v[4:5], v[16:17]
	v_add_f64 v[68:69], v[40:41], v[120:121]
	v_mul_f64 v[40:41], v[2:3], v[16:17]
	v_fma_f64 v[38:39], v[2:3], v[14:15], -v[38:39]
	v_fma_f64 v[40:41], v[4:5], v[14:15], v[40:41]
	v_add_f64 v[56:57], v[122:123], v[38:39]
	v_mul_f64 v[38:39], v[4:5], v[12:13]
	v_add_f64 v[60:61], v[40:41], v[124:125]
	;; [unrolled: 6-line block ×3, first 2 shown]
	v_fma_f64 v[38:39], v[2:3], v[6:7], -v[38:39]
	v_mul_f64 v[2:3], v[2:3], v[8:9]
	v_add_f64 v[38:39], v[98:99], v[38:39]
	v_fma_f64 v[2:3], v[4:5], v[6:7], v[2:3]
	v_add_f64 v[40:41], v[2:3], v[100:101]
	ds_read_b128 v[2:5], v93 offset:3120
	s_waitcnt lgkmcnt(0)
	s_barrier
	buffer_gl0_inv
	v_mul_f64 v[94:95], v[4:5], v[20:21]
	v_mul_f64 v[20:21], v[2:3], v[20:21]
	v_fma_f64 v[94:95], v[2:3], v[18:19], -v[94:95]
	v_fma_f64 v[20:21], v[4:5], v[18:19], v[20:21]
	v_add_f64 v[18:19], v[86:87], v[94:95]
	v_mul_f64 v[86:87], v[4:5], v[16:17]
	v_mul_f64 v[16:17], v[2:3], v[16:17]
	v_add_f64 v[20:21], v[20:21], v[88:89]
	v_fma_f64 v[86:87], v[2:3], v[14:15], -v[86:87]
	v_fma_f64 v[16:17], v[4:5], v[14:15], v[16:17]
	v_add_f64 v[14:15], v[82:83], v[86:87]
	v_mul_f64 v[82:83], v[4:5], v[12:13]
	v_mul_f64 v[12:13], v[2:3], v[12:13]
	v_add_f64 v[16:17], v[16:17], v[84:85]
	v_fma_f64 v[82:83], v[2:3], v[10:11], -v[82:83]
	v_fma_f64 v[12:13], v[4:5], v[10:11], v[12:13]
	v_add_f64 v[10:11], v[78:79], v[82:83]
	v_mul_f64 v[78:79], v[4:5], v[8:9]
	v_add_f64 v[12:13], v[12:13], v[80:81]
	v_fma_f64 v[78:79], v[2:3], v[6:7], -v[78:79]
	v_mul_f64 v[2:3], v[2:3], v[8:9]
	v_add_f64 v[74:75], v[74:75], v[78:79]
	v_fma_f64 v[2:3], v[4:5], v[6:7], v[2:3]
	v_add_f64 v[76:77], v[2:3], v[76:77]
	s_cbranch_vccnz .LBB255_2
	s_branch .LBB255_4
.LBB255_3:
	v_mov_b32_e32 v48, 0
	v_mov_b32_e32 v52, 0
	;; [unrolled: 1-line block ×64, first 2 shown]
.LBB255_4:
	s_load_dwordx2 s[4:5], s[4:5], 0x90
	v_cmp_neq_f64_e64 s10, s[14:15], 0
	v_cmp_neq_f64_e64 s11, s[16:17], 0
	v_add_co_u32 v6, s8, s8, v1
	v_add_co_ci_u32_e64 v7, null, s9, 0, s8
	s_waitcnt lgkmcnt(0)
	s_lshl_b64 s[4:5], s[4:5], 4
	s_add_u32 s4, s2, s4
	s_addc_u32 s5, s3, s5
	v_add_co_u32 v0, s3, s6, v0
	v_add_co_ci_u32_e64 v1, null, s7, 0, s3
	s_or_b32 s2, s10, s11
	s_and_b32 vcc_lo, exec_lo, s2
	s_cbranch_vccnz .LBB255_6
; %bb.5:
	v_mul_f64 v[4:5], s[40:41], v[52:53]
	v_mul_f64 v[8:9], s[38:39], v[52:53]
	v_mul_lo_u32 v78, v7, s26
	v_mul_lo_u32 v79, v6, s27
	v_mad_u64_u32 v[2:3], null, v6, s26, 0
	v_mul_f64 v[26:27], s[40:41], v[36:37]
	v_mul_f64 v[28:29], s[38:39], v[36:37]
	;; [unrolled: 1-line block ×6, first 2 shown]
	v_add3_u32 v3, v3, v79, v78
	v_mul_f64 v[78:79], s[40:41], v[32:33]
	v_mul_f64 v[88:89], s[38:39], v[72:73]
	;; [unrolled: 1-line block ×4, first 2 shown]
	v_lshlrev_b64 v[2:3], 4, v[2:3]
	v_mul_f64 v[94:95], s[40:41], v[58:59]
	v_mul_f64 v[96:97], s[38:39], v[58:59]
	;; [unrolled: 1-line block ×4, first 2 shown]
	s_lshl_b64 s[2:3], s[26:27], 8
	v_add_co_u32 v104, vcc_lo, s4, v2
	v_add_co_ci_u32_e64 v105, null, s5, v3, vcc_lo
	v_fma_f64 v[2:3], s[38:39], v[48:49], -v[4:5]
	v_fma_f64 v[4:5], s[40:41], v[48:49], v[8:9]
	v_lshlrev_b64 v[8:9], 4, v[0:1]
	v_fma_f64 v[26:27], s[38:39], v[34:35], -v[26:27]
	v_fma_f64 v[28:29], s[40:41], v[34:35], v[28:29]
	v_fma_f64 v[80:81], s[40:41], v[30:31], v[80:81]
	v_fma_f64 v[82:83], s[38:39], v[22:23], -v[82:83]
	v_fma_f64 v[84:85], s[40:41], v[22:23], v[84:85]
	v_add_co_u32 v102, vcc_lo, v104, v8
	v_fma_f64 v[78:79], s[38:39], v[30:31], -v[78:79]
	v_add_co_ci_u32_e64 v103, null, v105, v9, vcc_lo
	v_fma_f64 v[86:87], s[38:39], v[70:71], -v[86:87]
	v_fma_f64 v[88:89], s[40:41], v[70:71], v[88:89]
	v_fma_f64 v[90:91], s[38:39], v[62:63], -v[90:91]
	v_fma_f64 v[92:93], s[40:41], v[62:63], v[92:93]
	;; [unrolled: 2-line block ×3, first 2 shown]
	v_add_co_u32 v106, vcc_lo, v104, s2
	v_add_co_ci_u32_e64 v107, null, s3, v105, vcc_lo
	flat_store_dwordx4 v[102:103], v[2:5]
	v_fma_f64 v[2:3], s[38:39], v[42:43], -v[98:99]
	v_fma_f64 v[4:5], s[40:41], v[42:43], v[100:101]
	v_add_co_u32 v104, vcc_lo, v106, v8
	v_add_co_ci_u32_e64 v105, null, v107, v9, vcc_lo
	flat_store_dwordx4 v[102:103], v[26:29] offset:256
	flat_store_dwordx4 v[102:103], v[78:81] offset:512
	;; [unrolled: 1-line block ×3, first 2 shown]
	flat_store_dwordx4 v[104:105], v[86:89]
	flat_store_dwordx4 v[104:105], v[90:93] offset:256
	flat_store_dwordx4 v[104:105], v[94:97] offset:512
	v_mul_f64 v[26:27], s[40:41], v[68:69]
	v_mul_f64 v[28:29], s[38:39], v[68:69]
	;; [unrolled: 1-line block ×12, first 2 shown]
	flat_store_dwordx4 v[104:105], v[2:5] offset:768
	v_mul_f64 v[2:3], s[40:41], v[76:77]
	v_mul_f64 v[4:5], s[38:39], v[76:77]
	;; [unrolled: 1-line block ×4, first 2 shown]
	v_add_co_u32 v104, vcc_lo, v106, s2
	v_add_co_ci_u32_e64 v105, null, s3, v107, vcc_lo
	v_fma_f64 v[26:27], s[38:39], v[66:67], -v[26:27]
	v_fma_f64 v[28:29], s[40:41], v[66:67], v[28:29]
	v_fma_f64 v[78:79], s[38:39], v[56:57], -v[78:79]
	v_fma_f64 v[80:81], s[40:41], v[56:57], v[80:81]
	;; [unrolled: 2-line block ×6, first 2 shown]
	v_add_co_u32 v106, vcc_lo, v104, s2
	v_fma_f64 v[102:103], s[38:39], v[74:75], -v[2:3]
	v_fma_f64 v[2:3], s[40:41], v[74:75], v[4:5]
	v_fma_f64 v[98:99], s[38:39], v[10:11], -v[98:99]
	v_fma_f64 v[100:101], s[40:41], v[10:11], v[100:101]
	v_add_co_ci_u32_e64 v107, null, s3, v105, vcc_lo
	v_add_co_u32 v4, vcc_lo, v104, v8
	v_add_co_ci_u32_e64 v5, null, v105, v9, vcc_lo
	v_add_co_u32 v8, vcc_lo, v106, v8
	v_add_co_ci_u32_e64 v9, null, v107, v9, vcc_lo
	flat_store_dwordx4 v[4:5], v[26:29]
	flat_store_dwordx4 v[4:5], v[78:81] offset:256
	flat_store_dwordx4 v[4:5], v[82:85] offset:512
	;; [unrolled: 1-line block ×3, first 2 shown]
	flat_store_dwordx4 v[8:9], v[90:93]
	v_add_co_u32 v4, vcc_lo, 0x300, v8
	v_add_co_ci_u32_e64 v5, null, 0, v9, vcc_lo
	flat_store_dwordx4 v[8:9], v[94:97] offset:256
	flat_store_dwordx4 v[8:9], v[98:101] offset:512
	flat_store_dwordx2 v[8:9], v[102:103] offset:768
	s_cbranch_execz .LBB255_7
	s_branch .LBB255_8
.LBB255_6:
                                        ; implicit-def: $vgpr2_vgpr3
                                        ; implicit-def: $vgpr4_vgpr5
.LBB255_7:
	v_mul_lo_u32 v4, v7, s20
	v_mul_lo_u32 v5, v6, s21
	v_mad_u64_u32 v[2:3], null, v6, s20, 0
	s_lshl_b64 s[2:3], s[22:23], 4
	v_mul_f64 v[26:27], s[40:41], v[52:53]
	s_add_u32 s0, s0, s2
	s_addc_u32 s1, s1, s3
	v_mul_f64 v[28:29], s[38:39], v[52:53]
	s_lshl_b64 s[2:3], s[26:27], 8
	v_add3_u32 v3, v3, v5, v4
	v_lshlrev_b64 v[4:5], 4, v[0:1]
	v_lshlrev_b64 v[2:3], 4, v[2:3]
	v_add_co_u32 v78, vcc_lo, s0, v2
	v_add_co_ci_u32_e64 v79, null, s1, v3, vcc_lo
	s_lshl_b64 s[0:1], s[20:21], 8
	v_add_co_u32 v8, vcc_lo, v78, v4
	v_add_co_ci_u32_e64 v9, null, v79, v5, vcc_lo
	v_fma_f64 v[26:27], s[38:39], v[48:49], -v[26:27]
	v_fma_f64 v[28:29], s[40:41], v[48:49], v[28:29]
	flat_load_dwordx4 v[0:3], v[8:9]
	s_waitcnt vmcnt(0) lgkmcnt(0)
	v_mul_f64 v[52:53], s[16:17], v[2:3]
	v_mul_f64 v[2:3], s[14:15], v[2:3]
	v_fma_f64 v[48:49], s[14:15], v[0:1], -v[52:53]
	v_fma_f64 v[2:3], s[16:17], v[0:1], v[2:3]
	v_mul_lo_u32 v0, v7, s26
	v_mul_lo_u32 v1, v6, s27
	v_mad_u64_u32 v[6:7], null, v6, s26, 0
	v_add3_u32 v7, v7, v1, v0
	v_lshlrev_b64 v[6:7], 4, v[6:7]
	v_add_f64 v[0:1], v[26:27], v[48:49]
	v_add_f64 v[2:3], v[28:29], v[2:3]
	v_add_co_u32 v48, vcc_lo, s4, v6
	v_add_co_ci_u32_e64 v49, null, s5, v7, vcc_lo
	v_mul_f64 v[26:27], s[40:41], v[36:37]
	v_add_co_u32 v6, vcc_lo, v48, v4
	v_add_co_ci_u32_e64 v7, null, v49, v5, vcc_lo
	v_mul_f64 v[28:29], s[38:39], v[36:37]
	flat_store_dwordx4 v[6:7], v[0:3]
	flat_load_dwordx4 v[0:3], v[8:9] offset:256
	v_fma_f64 v[26:27], s[38:39], v[34:35], -v[26:27]
	v_fma_f64 v[28:29], s[40:41], v[34:35], v[28:29]
	s_waitcnt vmcnt(0) lgkmcnt(0)
	v_mul_f64 v[36:37], s[16:17], v[2:3]
	v_mul_f64 v[2:3], s[14:15], v[2:3]
	v_fma_f64 v[34:35], s[14:15], v[0:1], -v[36:37]
	v_fma_f64 v[2:3], s[16:17], v[0:1], v[2:3]
	v_add_f64 v[0:1], v[26:27], v[34:35]
	v_add_f64 v[2:3], v[28:29], v[2:3]
	v_mul_f64 v[26:27], s[40:41], v[32:33]
	v_mul_f64 v[28:29], s[38:39], v[32:33]
	flat_store_dwordx4 v[6:7], v[0:3] offset:256
	flat_load_dwordx4 v[0:3], v[8:9] offset:512
	v_fma_f64 v[26:27], s[38:39], v[30:31], -v[26:27]
	v_fma_f64 v[28:29], s[40:41], v[30:31], v[28:29]
	s_waitcnt vmcnt(0) lgkmcnt(0)
	v_mul_f64 v[32:33], s[16:17], v[2:3]
	v_mul_f64 v[2:3], s[14:15], v[2:3]
	v_fma_f64 v[30:31], s[14:15], v[0:1], -v[32:33]
	v_fma_f64 v[2:3], s[16:17], v[0:1], v[2:3]
	v_add_f64 v[0:1], v[26:27], v[30:31]
	v_add_f64 v[2:3], v[28:29], v[2:3]
	v_add_co_u32 v28, vcc_lo, v78, s0
	v_add_co_ci_u32_e64 v29, null, s1, v79, vcc_lo
	flat_store_dwordx4 v[6:7], v[0:3] offset:512
	flat_load_dwordx4 v[0:3], v[8:9] offset:768
	v_mul_f64 v[8:9], s[40:41], v[24:25]
	v_mul_f64 v[24:25], s[38:39], v[24:25]
	v_fma_f64 v[8:9], s[38:39], v[22:23], -v[8:9]
	v_fma_f64 v[22:23], s[40:41], v[22:23], v[24:25]
	s_waitcnt vmcnt(0) lgkmcnt(0)
	v_mul_f64 v[26:27], s[16:17], v[2:3]
	v_mul_f64 v[2:3], s[14:15], v[2:3]
	v_fma_f64 v[24:25], s[14:15], v[0:1], -v[26:27]
	v_fma_f64 v[2:3], s[16:17], v[0:1], v[2:3]
	v_add_f64 v[0:1], v[8:9], v[24:25]
	v_add_f64 v[2:3], v[22:23], v[2:3]
	v_add_co_u32 v8, vcc_lo, v28, v4
	v_add_co_ci_u32_e64 v9, null, v29, v5, vcc_lo
	v_mul_f64 v[22:23], s[38:39], v[72:73]
	v_add_co_u32 v30, vcc_lo, v48, s2
	v_add_co_ci_u32_e64 v31, null, s3, v49, vcc_lo
	flat_store_dwordx4 v[6:7], v[0:3] offset:768
	flat_load_dwordx4 v[0:3], v[8:9]
	v_mul_f64 v[6:7], s[40:41], v[72:73]
	v_fma_f64 v[22:23], s[40:41], v[70:71], v[22:23]
	v_fma_f64 v[6:7], s[38:39], v[70:71], -v[6:7]
	s_waitcnt vmcnt(0) lgkmcnt(0)
	v_mul_f64 v[24:25], s[16:17], v[2:3]
	v_mul_f64 v[2:3], s[14:15], v[2:3]
	v_fma_f64 v[24:25], s[14:15], v[0:1], -v[24:25]
	v_fma_f64 v[2:3], s[16:17], v[0:1], v[2:3]
	v_add_f64 v[0:1], v[6:7], v[24:25]
	v_add_f64 v[2:3], v[22:23], v[2:3]
	v_add_co_u32 v6, vcc_lo, v30, v4
	v_add_co_ci_u32_e64 v7, null, v31, v5, vcc_lo
	v_mul_f64 v[22:23], s[40:41], v[64:65]
	v_mul_f64 v[24:25], s[38:39], v[64:65]
	v_add_co_u32 v28, vcc_lo, v28, s0
	v_add_co_ci_u32_e64 v29, null, s1, v29, vcc_lo
	flat_store_dwordx4 v[6:7], v[0:3]
	flat_load_dwordx4 v[0:3], v[8:9] offset:256
	v_fma_f64 v[22:23], s[38:39], v[62:63], -v[22:23]
	v_fma_f64 v[24:25], s[40:41], v[62:63], v[24:25]
	s_waitcnt vmcnt(0) lgkmcnt(0)
	v_mul_f64 v[26:27], s[16:17], v[2:3]
	v_mul_f64 v[2:3], s[14:15], v[2:3]
	v_fma_f64 v[26:27], s[14:15], v[0:1], -v[26:27]
	v_fma_f64 v[2:3], s[16:17], v[0:1], v[2:3]
	v_add_f64 v[0:1], v[22:23], v[26:27]
	v_add_f64 v[2:3], v[24:25], v[2:3]
	v_mul_f64 v[22:23], s[40:41], v[58:59]
	v_mul_f64 v[24:25], s[38:39], v[58:59]
	flat_store_dwordx4 v[6:7], v[0:3] offset:256
	flat_load_dwordx4 v[0:3], v[8:9] offset:512
	v_fma_f64 v[22:23], s[38:39], v[54:55], -v[22:23]
	v_fma_f64 v[24:25], s[40:41], v[54:55], v[24:25]
	s_waitcnt vmcnt(0) lgkmcnt(0)
	v_mul_f64 v[26:27], s[16:17], v[2:3]
	v_mul_f64 v[2:3], s[14:15], v[2:3]
	v_fma_f64 v[26:27], s[14:15], v[0:1], -v[26:27]
	v_fma_f64 v[2:3], s[16:17], v[0:1], v[2:3]
	v_add_f64 v[0:1], v[22:23], v[26:27]
	v_add_f64 v[2:3], v[24:25], v[2:3]
	v_mul_f64 v[22:23], s[38:39], v[46:47]
	flat_store_dwordx4 v[6:7], v[0:3] offset:512
	flat_load_dwordx4 v[0:3], v[8:9] offset:768
	v_mul_f64 v[8:9], s[40:41], v[46:47]
	v_fma_f64 v[22:23], s[40:41], v[42:43], v[22:23]
	v_fma_f64 v[8:9], s[38:39], v[42:43], -v[8:9]
	s_waitcnt vmcnt(0) lgkmcnt(0)
	v_mul_f64 v[24:25], s[16:17], v[2:3]
	v_mul_f64 v[2:3], s[14:15], v[2:3]
	v_fma_f64 v[24:25], s[14:15], v[0:1], -v[24:25]
	v_fma_f64 v[2:3], s[16:17], v[0:1], v[2:3]
	v_add_f64 v[0:1], v[8:9], v[24:25]
	v_add_f64 v[2:3], v[22:23], v[2:3]
	v_add_co_u32 v8, vcc_lo, v28, v4
	v_add_co_ci_u32_e64 v9, null, v29, v5, vcc_lo
	v_mul_f64 v[22:23], s[38:39], v[68:69]
	v_add_co_u32 v30, vcc_lo, v30, s2
	v_add_co_ci_u32_e64 v31, null, s3, v31, vcc_lo
	flat_store_dwordx4 v[6:7], v[0:3] offset:768
	flat_load_dwordx4 v[0:3], v[8:9]
	v_mul_f64 v[6:7], s[40:41], v[68:69]
	v_fma_f64 v[22:23], s[40:41], v[66:67], v[22:23]
	v_fma_f64 v[6:7], s[38:39], v[66:67], -v[6:7]
	s_waitcnt vmcnt(0) lgkmcnt(0)
	v_mul_f64 v[24:25], s[16:17], v[2:3]
	v_mul_f64 v[2:3], s[14:15], v[2:3]
	v_fma_f64 v[24:25], s[14:15], v[0:1], -v[24:25]
	v_fma_f64 v[2:3], s[16:17], v[0:1], v[2:3]
	v_add_f64 v[0:1], v[6:7], v[24:25]
	v_add_f64 v[2:3], v[22:23], v[2:3]
	v_add_co_u32 v6, vcc_lo, v30, v4
	v_add_co_ci_u32_e64 v7, null, v31, v5, vcc_lo
	v_mul_f64 v[22:23], s[40:41], v[60:61]
	v_mul_f64 v[24:25], s[38:39], v[60:61]
	flat_store_dwordx4 v[6:7], v[0:3]
	flat_load_dwordx4 v[0:3], v[8:9] offset:256
	v_fma_f64 v[22:23], s[38:39], v[56:57], -v[22:23]
	v_fma_f64 v[24:25], s[40:41], v[56:57], v[24:25]
	s_waitcnt vmcnt(0) lgkmcnt(0)
	v_mul_f64 v[26:27], s[16:17], v[2:3]
	v_mul_f64 v[2:3], s[14:15], v[2:3]
	v_fma_f64 v[26:27], s[14:15], v[0:1], -v[26:27]
	v_fma_f64 v[2:3], s[16:17], v[0:1], v[2:3]
	v_add_f64 v[0:1], v[22:23], v[26:27]
	v_add_f64 v[2:3], v[24:25], v[2:3]
	v_mul_f64 v[22:23], s[40:41], v[50:51]
	v_mul_f64 v[24:25], s[38:39], v[50:51]
	flat_store_dwordx4 v[6:7], v[0:3] offset:256
	flat_load_dwordx4 v[0:3], v[8:9] offset:512
	v_fma_f64 v[22:23], s[38:39], v[44:45], -v[22:23]
	v_fma_f64 v[24:25], s[40:41], v[44:45], v[24:25]
	s_waitcnt vmcnt(0) lgkmcnt(0)
	v_mul_f64 v[26:27], s[16:17], v[2:3]
	v_mul_f64 v[2:3], s[14:15], v[2:3]
	v_fma_f64 v[26:27], s[14:15], v[0:1], -v[26:27]
	v_fma_f64 v[2:3], s[16:17], v[0:1], v[2:3]
	v_add_f64 v[0:1], v[22:23], v[26:27]
	v_add_f64 v[2:3], v[24:25], v[2:3]
	v_mul_f64 v[22:23], s[38:39], v[40:41]
	flat_store_dwordx4 v[6:7], v[0:3] offset:512
	flat_load_dwordx4 v[0:3], v[8:9] offset:768
	v_mul_f64 v[8:9], s[40:41], v[40:41]
	v_fma_f64 v[22:23], s[40:41], v[38:39], v[22:23]
	v_fma_f64 v[8:9], s[38:39], v[38:39], -v[8:9]
	s_waitcnt vmcnt(0) lgkmcnt(0)
	v_mul_f64 v[24:25], s[16:17], v[2:3]
	v_mul_f64 v[2:3], s[14:15], v[2:3]
	v_fma_f64 v[24:25], s[14:15], v[0:1], -v[24:25]
	v_fma_f64 v[2:3], s[16:17], v[0:1], v[2:3]
	v_add_f64 v[0:1], v[8:9], v[24:25]
	v_add_f64 v[2:3], v[22:23], v[2:3]
	v_add_co_u32 v8, vcc_lo, v28, s0
	v_add_co_ci_u32_e64 v9, null, s1, v29, vcc_lo
	v_add_co_u32 v8, vcc_lo, v8, v4
	v_add_co_ci_u32_e64 v9, null, v9, v5, vcc_lo
	flat_store_dwordx4 v[6:7], v[0:3] offset:768
	flat_load_dwordx4 v[0:3], v[8:9]
	v_mul_f64 v[6:7], s[40:41], v[20:21]
	v_mul_f64 v[20:21], s[38:39], v[20:21]
	v_fma_f64 v[6:7], s[38:39], v[18:19], -v[6:7]
	v_fma_f64 v[18:19], s[40:41], v[18:19], v[20:21]
	s_waitcnt vmcnt(0) lgkmcnt(0)
	v_mul_f64 v[22:23], s[16:17], v[2:3]
	v_mul_f64 v[2:3], s[14:15], v[2:3]
	v_fma_f64 v[20:21], s[14:15], v[0:1], -v[22:23]
	v_fma_f64 v[2:3], s[16:17], v[0:1], v[2:3]
	v_add_f64 v[0:1], v[6:7], v[20:21]
	v_add_f64 v[2:3], v[18:19], v[2:3]
	v_add_co_u32 v6, vcc_lo, v30, s2
	v_add_co_ci_u32_e64 v7, null, s3, v31, vcc_lo
	v_add_co_u32 v6, vcc_lo, v6, v4
	v_add_co_ci_u32_e64 v7, null, v7, v5, vcc_lo
	v_mul_f64 v[4:5], s[40:41], v[16:17]
	v_mul_f64 v[16:17], s[38:39], v[16:17]
	flat_store_dwordx4 v[6:7], v[0:3]
	flat_load_dwordx4 v[0:3], v[8:9] offset:256
	v_fma_f64 v[4:5], s[38:39], v[14:15], -v[4:5]
	v_fma_f64 v[14:15], s[40:41], v[14:15], v[16:17]
	s_waitcnt vmcnt(0) lgkmcnt(0)
	v_mul_f64 v[18:19], s[16:17], v[2:3]
	v_mul_f64 v[2:3], s[14:15], v[2:3]
	v_fma_f64 v[16:17], s[14:15], v[0:1], -v[18:19]
	v_fma_f64 v[2:3], s[16:17], v[0:1], v[2:3]
	v_add_f64 v[0:1], v[4:5], v[16:17]
	v_add_f64 v[2:3], v[14:15], v[2:3]
	v_mul_f64 v[4:5], s[40:41], v[12:13]
	v_mul_f64 v[12:13], s[38:39], v[12:13]
	flat_store_dwordx4 v[6:7], v[0:3] offset:256
	flat_load_dwordx4 v[0:3], v[8:9] offset:512
	v_fma_f64 v[4:5], s[38:39], v[10:11], -v[4:5]
	v_fma_f64 v[10:11], s[40:41], v[10:11], v[12:13]
	s_waitcnt vmcnt(0) lgkmcnt(0)
	v_mul_f64 v[14:15], s[16:17], v[2:3]
	v_mul_f64 v[2:3], s[14:15], v[2:3]
	v_fma_f64 v[12:13], s[14:15], v[0:1], -v[14:15]
	v_fma_f64 v[2:3], s[16:17], v[0:1], v[2:3]
	v_add_f64 v[0:1], v[4:5], v[12:13]
	v_add_f64 v[2:3], v[10:11], v[2:3]
	v_mul_f64 v[4:5], s[40:41], v[76:77]
	flat_store_dwordx4 v[6:7], v[0:3] offset:512
	flat_load_dwordx4 v[0:3], v[8:9] offset:768
	v_mul_f64 v[8:9], s[38:39], v[76:77]
	v_fma_f64 v[4:5], s[38:39], v[74:75], -v[4:5]
	v_fma_f64 v[8:9], s[40:41], v[74:75], v[8:9]
	s_waitcnt vmcnt(0) lgkmcnt(0)
	v_mul_f64 v[10:11], s[16:17], v[2:3]
	v_mul_f64 v[2:3], s[14:15], v[2:3]
	v_fma_f64 v[10:11], s[14:15], v[0:1], -v[10:11]
	v_fma_f64 v[0:1], s[16:17], v[0:1], v[2:3]
	v_add_f64 v[10:11], v[4:5], v[10:11]
	v_add_f64 v[2:3], v[8:9], v[0:1]
	v_add_co_u32 v4, vcc_lo, 0x300, v6
	v_add_co_ci_u32_e64 v5, null, 0, v7, vcc_lo
	flat_store_dwordx2 v[6:7], v[10:11] offset:768
.LBB255_8:
	flat_store_dwordx2 v[4:5], v[2:3] offset:8
	s_endpgm
	.section	.rodata,"a",@progbits
	.p2align	6, 0x0
	.amdhsa_kernel _ZN12_GLOBAL__N_127rocblas_gemm_batched_kernelI19rocblas_complex_numIdELi16ELi16ELi64ELi64ELi4ELi64ELi4ELi4ELi64ELc67ELc67EKPKS2_S5_KPS2_EEvlllT_PT11_llSA_llS8_PT12_llPT13_lli
		.amdhsa_group_segment_fixed_size 8192
		.amdhsa_private_segment_fixed_size 0
		.amdhsa_kernarg_size 156
		.amdhsa_user_sgpr_count 6
		.amdhsa_user_sgpr_private_segment_buffer 1
		.amdhsa_user_sgpr_dispatch_ptr 0
		.amdhsa_user_sgpr_queue_ptr 0
		.amdhsa_user_sgpr_kernarg_segment_ptr 1
		.amdhsa_user_sgpr_dispatch_id 0
		.amdhsa_user_sgpr_flat_scratch_init 0
		.amdhsa_user_sgpr_private_segment_size 0
		.amdhsa_wavefront_size32 1
		.amdhsa_uses_dynamic_stack 0
		.amdhsa_system_sgpr_private_segment_wavefront_offset 0
		.amdhsa_system_sgpr_workgroup_id_x 1
		.amdhsa_system_sgpr_workgroup_id_y 1
		.amdhsa_system_sgpr_workgroup_id_z 1
		.amdhsa_system_sgpr_workgroup_info 0
		.amdhsa_system_vgpr_workitem_id 1
		.amdhsa_next_free_vgpr 138
		.amdhsa_next_free_sgpr 52
		.amdhsa_reserve_vcc 1
		.amdhsa_reserve_flat_scratch 0
		.amdhsa_float_round_mode_32 0
		.amdhsa_float_round_mode_16_64 0
		.amdhsa_float_denorm_mode_32 3
		.amdhsa_float_denorm_mode_16_64 3
		.amdhsa_dx10_clamp 1
		.amdhsa_ieee_mode 1
		.amdhsa_fp16_overflow 0
		.amdhsa_workgroup_processor_mode 1
		.amdhsa_memory_ordered 1
		.amdhsa_forward_progress 1
		.amdhsa_shared_vgpr_count 0
		.amdhsa_exception_fp_ieee_invalid_op 0
		.amdhsa_exception_fp_denorm_src 0
		.amdhsa_exception_fp_ieee_div_zero 0
		.amdhsa_exception_fp_ieee_overflow 0
		.amdhsa_exception_fp_ieee_underflow 0
		.amdhsa_exception_fp_ieee_inexact 0
		.amdhsa_exception_int_div_zero 0
	.end_amdhsa_kernel
	.section	.text._ZN12_GLOBAL__N_127rocblas_gemm_batched_kernelI19rocblas_complex_numIdELi16ELi16ELi64ELi64ELi4ELi64ELi4ELi4ELi64ELc67ELc67EKPKS2_S5_KPS2_EEvlllT_PT11_llSA_llS8_PT12_llPT13_lli,"axG",@progbits,_ZN12_GLOBAL__N_127rocblas_gemm_batched_kernelI19rocblas_complex_numIdELi16ELi16ELi64ELi64ELi4ELi64ELi4ELi4ELi64ELc67ELc67EKPKS2_S5_KPS2_EEvlllT_PT11_llSA_llS8_PT12_llPT13_lli,comdat
.Lfunc_end255:
	.size	_ZN12_GLOBAL__N_127rocblas_gemm_batched_kernelI19rocblas_complex_numIdELi16ELi16ELi64ELi64ELi4ELi64ELi4ELi4ELi64ELc67ELc67EKPKS2_S5_KPS2_EEvlllT_PT11_llSA_llS8_PT12_llPT13_lli, .Lfunc_end255-_ZN12_GLOBAL__N_127rocblas_gemm_batched_kernelI19rocblas_complex_numIdELi16ELi16ELi64ELi64ELi4ELi64ELi4ELi4ELi64ELc67ELc67EKPKS2_S5_KPS2_EEvlllT_PT11_llSA_llS8_PT12_llPT13_lli
                                        ; -- End function
	.set _ZN12_GLOBAL__N_127rocblas_gemm_batched_kernelI19rocblas_complex_numIdELi16ELi16ELi64ELi64ELi4ELi64ELi4ELi4ELi64ELc67ELc67EKPKS2_S5_KPS2_EEvlllT_PT11_llSA_llS8_PT12_llPT13_lli.num_vgpr, 138
	.set _ZN12_GLOBAL__N_127rocblas_gemm_batched_kernelI19rocblas_complex_numIdELi16ELi16ELi64ELi64ELi4ELi64ELi4ELi4ELi64ELc67ELc67EKPKS2_S5_KPS2_EEvlllT_PT11_llSA_llS8_PT12_llPT13_lli.num_agpr, 0
	.set _ZN12_GLOBAL__N_127rocblas_gemm_batched_kernelI19rocblas_complex_numIdELi16ELi16ELi64ELi64ELi4ELi64ELi4ELi4ELi64ELc67ELc67EKPKS2_S5_KPS2_EEvlllT_PT11_llSA_llS8_PT12_llPT13_lli.numbered_sgpr, 52
	.set _ZN12_GLOBAL__N_127rocblas_gemm_batched_kernelI19rocblas_complex_numIdELi16ELi16ELi64ELi64ELi4ELi64ELi4ELi4ELi64ELc67ELc67EKPKS2_S5_KPS2_EEvlllT_PT11_llSA_llS8_PT12_llPT13_lli.num_named_barrier, 0
	.set _ZN12_GLOBAL__N_127rocblas_gemm_batched_kernelI19rocblas_complex_numIdELi16ELi16ELi64ELi64ELi4ELi64ELi4ELi4ELi64ELc67ELc67EKPKS2_S5_KPS2_EEvlllT_PT11_llSA_llS8_PT12_llPT13_lli.private_seg_size, 0
	.set _ZN12_GLOBAL__N_127rocblas_gemm_batched_kernelI19rocblas_complex_numIdELi16ELi16ELi64ELi64ELi4ELi64ELi4ELi4ELi64ELc67ELc67EKPKS2_S5_KPS2_EEvlllT_PT11_llSA_llS8_PT12_llPT13_lli.uses_vcc, 1
	.set _ZN12_GLOBAL__N_127rocblas_gemm_batched_kernelI19rocblas_complex_numIdELi16ELi16ELi64ELi64ELi4ELi64ELi4ELi4ELi64ELc67ELc67EKPKS2_S5_KPS2_EEvlllT_PT11_llSA_llS8_PT12_llPT13_lli.uses_flat_scratch, 0
	.set _ZN12_GLOBAL__N_127rocblas_gemm_batched_kernelI19rocblas_complex_numIdELi16ELi16ELi64ELi64ELi4ELi64ELi4ELi4ELi64ELc67ELc67EKPKS2_S5_KPS2_EEvlllT_PT11_llSA_llS8_PT12_llPT13_lli.has_dyn_sized_stack, 0
	.set _ZN12_GLOBAL__N_127rocblas_gemm_batched_kernelI19rocblas_complex_numIdELi16ELi16ELi64ELi64ELi4ELi64ELi4ELi4ELi64ELc67ELc67EKPKS2_S5_KPS2_EEvlllT_PT11_llSA_llS8_PT12_llPT13_lli.has_recursion, 0
	.set _ZN12_GLOBAL__N_127rocblas_gemm_batched_kernelI19rocblas_complex_numIdELi16ELi16ELi64ELi64ELi4ELi64ELi4ELi4ELi64ELc67ELc67EKPKS2_S5_KPS2_EEvlllT_PT11_llSA_llS8_PT12_llPT13_lli.has_indirect_call, 0
	.section	.AMDGPU.csdata,"",@progbits
; Kernel info:
; codeLenInByte = 7412
; TotalNumSgprs: 54
; NumVgprs: 138
; ScratchSize: 0
; MemoryBound: 0
; FloatMode: 240
; IeeeMode: 1
; LDSByteSize: 8192 bytes/workgroup (compile time only)
; SGPRBlocks: 0
; VGPRBlocks: 17
; NumSGPRsForWavesPerEU: 54
; NumVGPRsForWavesPerEU: 138
; Occupancy: 7
; WaveLimiterHint : 1
; COMPUTE_PGM_RSRC2:SCRATCH_EN: 0
; COMPUTE_PGM_RSRC2:USER_SGPR: 6
; COMPUTE_PGM_RSRC2:TRAP_HANDLER: 0
; COMPUTE_PGM_RSRC2:TGID_X_EN: 1
; COMPUTE_PGM_RSRC2:TGID_Y_EN: 1
; COMPUTE_PGM_RSRC2:TGID_Z_EN: 1
; COMPUTE_PGM_RSRC2:TIDIG_COMP_CNT: 1
	.section	.text._ZN12_GLOBAL__N_127rocblas_gemm_batched_kernelI19rocblas_complex_numIdELi16ELi16ELi64ELi64ELi4ELi64ELi4ELi4ELi64ELc67ELc78EKPKS2_S5_KPS2_EEvlllT_PT11_llSA_llS8_PT12_llPT13_lli,"axG",@progbits,_ZN12_GLOBAL__N_127rocblas_gemm_batched_kernelI19rocblas_complex_numIdELi16ELi16ELi64ELi64ELi4ELi64ELi4ELi4ELi64ELc67ELc78EKPKS2_S5_KPS2_EEvlllT_PT11_llSA_llS8_PT12_llPT13_lli,comdat
	.globl	_ZN12_GLOBAL__N_127rocblas_gemm_batched_kernelI19rocblas_complex_numIdELi16ELi16ELi64ELi64ELi4ELi64ELi4ELi4ELi64ELc67ELc78EKPKS2_S5_KPS2_EEvlllT_PT11_llSA_llS8_PT12_llPT13_lli ; -- Begin function _ZN12_GLOBAL__N_127rocblas_gemm_batched_kernelI19rocblas_complex_numIdELi16ELi16ELi64ELi64ELi4ELi64ELi4ELi4ELi64ELc67ELc78EKPKS2_S5_KPS2_EEvlllT_PT11_llSA_llS8_PT12_llPT13_lli
	.p2align	8
	.type	_ZN12_GLOBAL__N_127rocblas_gemm_batched_kernelI19rocblas_complex_numIdELi16ELi16ELi64ELi64ELi4ELi64ELi4ELi4ELi64ELc67ELc78EKPKS2_S5_KPS2_EEvlllT_PT11_llSA_llS8_PT12_llPT13_lli,@function
_ZN12_GLOBAL__N_127rocblas_gemm_batched_kernelI19rocblas_complex_numIdELi16ELi16ELi64ELi64ELi4ELi64ELi4ELi4ELi64ELc67ELc78EKPKS2_S5_KPS2_EEvlllT_PT11_llSA_llS8_PT12_llPT13_lli: ; @_ZN12_GLOBAL__N_127rocblas_gemm_batched_kernelI19rocblas_complex_numIdELi16ELi16ELi64ELi64ELi4ELi64ELi4ELi4ELi64ELc67ELc78EKPKS2_S5_KPS2_EEvlllT_PT11_llSA_llS8_PT12_llPT13_lli
; %bb.0:
	s_clause 0x1
	s_load_dwordx16 s[12:27], s[4:5], 0x50
	s_load_dwordx16 s[36:51], s[4:5], 0x10
	s_mov_b32 s9, 0
	s_mov_b32 s28, s7
	s_lshl_b64 s[10:11], s[8:9], 3
	s_waitcnt lgkmcnt(0)
	s_add_u32 s0, s18, s10
	s_addc_u32 s1, s19, s11
	s_add_u32 s2, s24, s10
	s_addc_u32 s3, s25, s11
	s_load_dwordx2 s[0:1], s[0:1], 0x0
	s_load_dwordx2 s[2:3], s[2:3], 0x0
	v_cmp_lt_i64_e64 s8, s[36:37], 1
	s_ashr_i32 s7, s6, 31
	s_ashr_i32 s29, s28, 31
	s_lshl_b64 s[6:7], s[6:7], 6
	s_and_b32 vcc_lo, exec_lo, s8
	s_lshl_b64 s[8:9], s[28:29], 6
	s_cbranch_vccnz .LBB256_3
; %bb.1:
	v_lshl_add_u32 v4, v1, 4, v0
	v_and_b32_e32 v2, 3, v0
	s_add_u32 s18, s42, s10
	s_addc_u32 s19, s43, s11
	s_add_u32 s10, s48, s10
	v_and_b32_e32 v5, 63, v4
	v_lshrrev_b32_e32 v7, 2, v4
	v_lshlrev_b32_e32 v8, 4, v2
	v_lshrrev_b32_e32 v12, 6, v4
	s_load_dwordx2 s[18:19], s[18:19], 0x0
	v_add_co_u32 v3, s24, s6, v5
	v_add_co_ci_u32_e64 v6, null, s7, 0, s24
	v_add_co_u32 v10, s24, v7, s8
	v_mul_lo_u32 v9, s45, v3
	v_mul_lo_u32 v6, s44, v6
	v_mad_u64_u32 v[2:3], null, s44, v3, 0
	v_add_co_ci_u32_e64 v11, null, 0, s9, s24
	v_lshlrev_b32_e32 v13, 4, v5
	v_mad_u64_u32 v[4:5], null, s50, v10, 0
	s_addc_u32 s11, s49, s11
	v_add3_u32 v3, v3, v6, v9
	v_mul_lo_u32 v6, s51, v10
	v_mul_lo_u32 v9, s50, v11
	v_lshl_or_b32 v7, v7, 6, v8
	s_load_dwordx2 s[10:11], s[10:11], 0x0
	v_lshlrev_b64 v[2:3], 4, v[2:3]
	s_lshl_b64 s[24:25], s[46:47], 4
	s_lshl_b64 s[12:13], s[12:13], 4
	v_add_nc_u32_e32 v91, 0x1000, v7
	v_lshlrev_b32_e32 v7, 4, v12
	v_add3_u32 v5, v5, v9, v6
	v_add_co_u32 v6, vcc_lo, v2, s24
	v_add_co_ci_u32_e64 v9, null, s25, v3, vcc_lo
	v_lshlrev_b64 v[2:3], 4, v[4:5]
	v_add_co_u32 v4, vcc_lo, v6, v7
	v_add_co_ci_u32_e64 v5, null, 0, v9, vcc_lo
	v_lshl_or_b32 v90, v12, 10, v13
	v_add_co_u32 v2, vcc_lo, v2, s12
	v_add_co_ci_u32_e64 v3, null, s13, v3, vcc_lo
	s_waitcnt lgkmcnt(0)
	v_add_co_u32 v26, vcc_lo, s18, v4
	v_add_co_ci_u32_e64 v27, null, s19, v5, vcc_lo
	v_add_co_u32 v2, vcc_lo, v2, v8
	v_add_co_ci_u32_e64 v3, null, 0, v3, vcc_lo
	v_mov_b32_e32 v76, 0
	v_add_co_u32 v28, vcc_lo, s10, v2
	v_mov_b32_e32 v74, 0
	v_mov_b32_e32 v12, 0
	;; [unrolled: 1-line block ×31, first 2 shown]
	v_lshlrev_b32_e32 v92, 4, v0
	v_lshl_add_u32 v93, v1, 6, 0x1000
	v_mov_b32_e32 v77, 0
	v_mov_b32_e32 v75, 0
	;; [unrolled: 1-line block ×32, first 2 shown]
	v_add_co_ci_u32_e64 v29, null, s11, v3, vcc_lo
	s_mov_b64 s[10:11], 0
.LBB256_2:                              ; =>This Inner Loop Header: Depth=1
	flat_load_dwordx4 v[2:5], v[26:27]
	s_add_u32 s10, s10, 4
	s_addc_u32 s11, s11, 0
	v_add_co_u32 v26, vcc_lo, v26, 64
	v_cmp_lt_i64_e64 s12, s[10:11], s[36:37]
	v_add_co_ci_u32_e64 v27, null, 0, v27, vcc_lo
	s_waitcnt vmcnt(0) lgkmcnt(0)
	v_xor_b32_e32 v5, 0x80000000, v5
	ds_write_b128 v90, v[2:5]
	flat_load_dwordx4 v[2:5], v[28:29]
	v_add_co_u32 v28, vcc_lo, v28, 64
	v_add_co_ci_u32_e64 v29, null, 0, v29, vcc_lo
	s_and_b32 vcc_lo, exec_lo, s12
	s_waitcnt vmcnt(0) lgkmcnt(0)
	ds_write2_b64 v91, v[2:3], v[4:5] offset1:1
	s_waitcnt lgkmcnt(0)
	s_barrier
	buffer_gl0_inv
	ds_read_b128 v[78:81], v93
	ds_read_b128 v[82:85], v93 offset:16
	ds_read_b128 v[6:9], v93 offset:32
	ds_read_b128 v[2:5], v93 offset:48
	ds_read_b128 v[86:89], v92
	s_waitcnt lgkmcnt(0)
	v_mul_f64 v[94:95], v[80:81], v[88:89]
	v_mul_f64 v[96:97], v[78:79], v[88:89]
	v_fma_f64 v[94:95], v[78:79], v[86:87], -v[94:95]
	v_fma_f64 v[96:97], v[80:81], v[86:87], v[96:97]
	v_add_f64 v[98:99], v[48:49], v[94:95]
	v_add_f64 v[100:101], v[96:97], v[52:53]
	ds_read_b128 v[94:97], v92 offset:256
	s_waitcnt lgkmcnt(0)
	v_mul_f64 v[48:49], v[80:81], v[96:97]
	v_mul_f64 v[52:53], v[78:79], v[96:97]
	v_fma_f64 v[48:49], v[78:79], v[94:95], -v[48:49]
	v_fma_f64 v[52:53], v[80:81], v[94:95], v[52:53]
	v_add_f64 v[102:103], v[34:35], v[48:49]
	v_add_f64 v[104:105], v[52:53], v[36:37]
	ds_read_b128 v[34:37], v92 offset:512
	;; [unrolled: 8-line block ×4, first 2 shown]
	s_waitcnt lgkmcnt(0)
	v_mul_f64 v[48:49], v[24:25], v[88:89]
	v_mul_f64 v[52:53], v[22:23], v[88:89]
	v_fma_f64 v[48:49], v[22:23], v[86:87], -v[48:49]
	v_fma_f64 v[52:53], v[24:25], v[86:87], v[52:53]
	v_add_f64 v[70:71], v[70:71], v[48:49]
	v_mul_f64 v[48:49], v[24:25], v[96:97]
	v_add_f64 v[72:73], v[52:53], v[72:73]
	v_mul_f64 v[52:53], v[22:23], v[96:97]
	v_fma_f64 v[48:49], v[22:23], v[94:95], -v[48:49]
	v_fma_f64 v[52:53], v[24:25], v[94:95], v[52:53]
	v_add_f64 v[110:111], v[62:63], v[48:49]
	v_mul_f64 v[48:49], v[24:25], v[36:37]
	v_add_f64 v[112:113], v[52:53], v[64:65]
	;; [unrolled: 6-line block ×3, first 2 shown]
	v_fma_f64 v[48:49], v[22:23], v[30:31], -v[48:49]
	v_mul_f64 v[22:23], v[22:23], v[32:33]
	v_add_f64 v[118:119], v[42:43], v[48:49]
	v_fma_f64 v[22:23], v[24:25], v[30:31], v[22:23]
	v_add_f64 v[120:121], v[22:23], v[46:47]
	ds_read_b128 v[22:25], v93 offset:2048
	s_waitcnt lgkmcnt(0)
	v_mul_f64 v[42:43], v[24:25], v[88:89]
	v_mul_f64 v[46:47], v[22:23], v[88:89]
	v_fma_f64 v[42:43], v[22:23], v[86:87], -v[42:43]
	v_fma_f64 v[46:47], v[24:25], v[86:87], v[46:47]
	v_add_f64 v[122:123], v[66:67], v[42:43]
	v_mul_f64 v[42:43], v[24:25], v[96:97]
	v_add_f64 v[124:125], v[46:47], v[68:69]
	v_mul_f64 v[46:47], v[22:23], v[96:97]
	v_fma_f64 v[42:43], v[22:23], v[94:95], -v[42:43]
	v_fma_f64 v[46:47], v[24:25], v[94:95], v[46:47]
	v_add_f64 v[126:127], v[56:57], v[42:43]
	v_mul_f64 v[42:43], v[24:25], v[36:37]
	v_add_f64 v[128:129], v[46:47], v[60:61]
	;; [unrolled: 6-line block ×3, first 2 shown]
	v_fma_f64 v[42:43], v[22:23], v[30:31], -v[42:43]
	v_mul_f64 v[22:23], v[22:23], v[32:33]
	v_add_f64 v[134:135], v[38:39], v[42:43]
	v_fma_f64 v[22:23], v[24:25], v[30:31], v[22:23]
	v_add_f64 v[136:137], v[22:23], v[40:41]
	ds_read_b128 v[22:25], v93 offset:3072
	s_waitcnt lgkmcnt(0)
	v_mul_f64 v[38:39], v[24:25], v[88:89]
	v_mul_f64 v[40:41], v[22:23], v[88:89]
	v_fma_f64 v[38:39], v[22:23], v[86:87], -v[38:39]
	v_fma_f64 v[40:41], v[24:25], v[86:87], v[40:41]
	v_add_f64 v[58:59], v[18:19], v[38:39]
	v_add_f64 v[60:61], v[40:41], v[20:21]
	v_mul_f64 v[18:19], v[24:25], v[96:97]
	v_mul_f64 v[20:21], v[22:23], v[96:97]
	v_fma_f64 v[18:19], v[22:23], v[94:95], -v[18:19]
	v_fma_f64 v[20:21], v[24:25], v[94:95], v[20:21]
	v_add_f64 v[54:55], v[14:15], v[18:19]
	v_add_f64 v[56:57], v[20:21], v[16:17]
	v_mul_f64 v[14:15], v[24:25], v[36:37]
	v_mul_f64 v[16:17], v[22:23], v[36:37]
	ds_read_b128 v[18:21], v92 offset:1280
	v_fma_f64 v[14:15], v[22:23], v[34:35], -v[14:15]
	v_fma_f64 v[16:17], v[24:25], v[34:35], v[16:17]
	v_add_f64 v[50:51], v[10:11], v[14:15]
	v_add_f64 v[52:53], v[16:17], v[12:13]
	v_mul_f64 v[10:11], v[24:25], v[32:33]
	v_mul_f64 v[12:13], v[22:23], v[32:33]
	ds_read_b128 v[14:17], v92 offset:1536
	v_fma_f64 v[10:11], v[22:23], v[30:31], -v[10:11]
	v_fma_f64 v[12:13], v[24:25], v[30:31], v[12:13]
	ds_read_b128 v[22:25], v92 offset:1024
	v_add_f64 v[46:47], v[74:75], v[10:11]
	v_add_f64 v[48:49], v[12:13], v[76:77]
	s_waitcnt lgkmcnt(0)
	v_mul_f64 v[10:11], v[84:85], v[24:25]
	v_mul_f64 v[12:13], v[82:83], v[24:25]
	ds_read_b128 v[74:77], v93 offset:1040
	v_fma_f64 v[10:11], v[82:83], v[22:23], -v[10:11]
	v_fma_f64 v[12:13], v[84:85], v[22:23], v[12:13]
	s_waitcnt lgkmcnt(0)
	v_mul_f64 v[62:63], v[76:77], v[24:25]
	v_mul_f64 v[64:65], v[74:75], v[24:25]
	;; [unrolled: 1-line block ×4, first 2 shown]
	v_add_f64 v[42:43], v[98:99], v[10:11]
	v_add_f64 v[44:45], v[12:13], v[100:101]
	v_mul_f64 v[10:11], v[84:85], v[20:21]
	v_mul_f64 v[12:13], v[82:83], v[20:21]
	v_fma_f64 v[62:63], v[74:75], v[22:23], -v[62:63]
	v_fma_f64 v[64:65], v[76:77], v[22:23], v[64:65]
	v_fma_f64 v[66:67], v[74:75], v[18:19], -v[66:67]
	v_fma_f64 v[68:69], v[76:77], v[18:19], v[68:69]
	;; [unrolled: 2-line block ×3, first 2 shown]
	v_add_f64 v[62:63], v[70:71], v[62:63]
	v_mul_f64 v[70:71], v[76:77], v[16:17]
	v_add_f64 v[64:65], v[64:65], v[72:73]
	v_mul_f64 v[72:73], v[74:75], v[16:17]
	v_add_f64 v[66:67], v[110:111], v[66:67]
	v_add_f64 v[68:69], v[68:69], v[112:113]
	;; [unrolled: 1-line block ×4, first 2 shown]
	v_mul_f64 v[10:11], v[84:85], v[16:17]
	v_mul_f64 v[12:13], v[82:83], v[16:17]
	v_fma_f64 v[70:71], v[74:75], v[14:15], -v[70:71]
	v_fma_f64 v[72:73], v[76:77], v[14:15], v[72:73]
	v_fma_f64 v[10:11], v[82:83], v[14:15], -v[10:11]
	v_fma_f64 v[12:13], v[84:85], v[14:15], v[12:13]
	v_add_f64 v[70:71], v[114:115], v[70:71]
	v_add_f64 v[72:73], v[72:73], v[116:117]
	;; [unrolled: 1-line block ×4, first 2 shown]
	ds_read_b128 v[10:13], v92 offset:1792
	s_waitcnt lgkmcnt(0)
	v_mul_f64 v[30:31], v[84:85], v[12:13]
	v_mul_f64 v[32:33], v[82:83], v[12:13]
	v_fma_f64 v[30:31], v[82:83], v[10:11], -v[30:31]
	v_fma_f64 v[32:33], v[84:85], v[10:11], v[32:33]
	v_add_f64 v[30:31], v[78:79], v[30:31]
	v_mul_f64 v[78:79], v[76:77], v[12:13]
	v_add_f64 v[32:33], v[32:33], v[80:81]
	v_fma_f64 v[78:79], v[74:75], v[10:11], -v[78:79]
	v_mul_f64 v[74:75], v[74:75], v[12:13]
	v_fma_f64 v[76:77], v[76:77], v[10:11], v[74:75]
	v_add_f64 v[74:75], v[118:119], v[78:79]
	ds_read_b128 v[78:81], v93 offset:2064
	s_waitcnt lgkmcnt(0)
	v_mul_f64 v[82:83], v[80:81], v[24:25]
	v_mul_f64 v[86:87], v[80:81], v[20:21]
	;; [unrolled: 1-line block ×7, first 2 shown]
	v_add_f64 v[76:77], v[76:77], v[120:121]
	v_fma_f64 v[82:83], v[78:79], v[22:23], -v[82:83]
	v_fma_f64 v[86:87], v[78:79], v[18:19], -v[86:87]
	;; [unrolled: 1-line block ×4, first 2 shown]
	v_mul_f64 v[78:79], v[78:79], v[12:13]
	v_fma_f64 v[84:85], v[80:81], v[22:23], v[84:85]
	v_fma_f64 v[88:89], v[80:81], v[18:19], v[88:89]
	;; [unrolled: 1-line block ×3, first 2 shown]
	v_add_f64 v[82:83], v[122:123], v[82:83]
	v_add_f64 v[86:87], v[126:127], v[86:87]
	;; [unrolled: 1-line block ×4, first 2 shown]
	v_fma_f64 v[78:79], v[80:81], v[10:11], v[78:79]
	v_add_f64 v[84:85], v[84:85], v[124:125]
	v_add_f64 v[88:89], v[88:89], v[128:129]
	;; [unrolled: 1-line block ×4, first 2 shown]
	ds_read_b128 v[78:81], v93 offset:3088
	s_waitcnt lgkmcnt(0)
	v_mul_f64 v[102:103], v[80:81], v[24:25]
	v_mul_f64 v[24:25], v[78:79], v[24:25]
	v_fma_f64 v[102:103], v[78:79], v[22:23], -v[102:103]
	v_fma_f64 v[22:23], v[80:81], v[22:23], v[24:25]
	v_add_f64 v[58:59], v[58:59], v[102:103]
	v_add_f64 v[60:61], v[22:23], v[60:61]
	v_mul_f64 v[22:23], v[80:81], v[20:21]
	v_mul_f64 v[20:21], v[78:79], v[20:21]
	v_fma_f64 v[22:23], v[78:79], v[18:19], -v[22:23]
	v_fma_f64 v[18:19], v[80:81], v[18:19], v[20:21]
	v_add_f64 v[54:55], v[54:55], v[22:23]
	v_add_f64 v[56:57], v[18:19], v[56:57]
	;; [unrolled: 6-line block ×4, first 2 shown]
	ds_read_b128 v[10:13], v92 offset:2048
	s_waitcnt lgkmcnt(0)
	v_mul_f64 v[14:15], v[8:9], v[12:13]
	v_mul_f64 v[16:17], v[6:7], v[12:13]
	v_fma_f64 v[14:15], v[6:7], v[10:11], -v[14:15]
	v_fma_f64 v[16:17], v[8:9], v[10:11], v[16:17]
	v_add_f64 v[42:43], v[42:43], v[14:15]
	v_add_f64 v[44:45], v[16:17], v[44:45]
	ds_read_b128 v[14:17], v92 offset:2304
	s_waitcnt lgkmcnt(0)
	v_mul_f64 v[18:19], v[8:9], v[16:17]
	v_mul_f64 v[20:21], v[6:7], v[16:17]
	v_fma_f64 v[18:19], v[6:7], v[14:15], -v[18:19]
	v_fma_f64 v[20:21], v[8:9], v[14:15], v[20:21]
	v_add_f64 v[38:39], v[38:39], v[18:19]
	v_add_f64 v[40:41], v[20:21], v[40:41]
	;; [unrolled: 8-line block ×3, first 2 shown]
	ds_read_b128 v[22:25], v92 offset:2816
	s_waitcnt lgkmcnt(0)
	v_mul_f64 v[34:35], v[8:9], v[24:25]
	v_fma_f64 v[34:35], v[6:7], v[22:23], -v[34:35]
	v_mul_f64 v[6:7], v[6:7], v[24:25]
	v_add_f64 v[106:107], v[30:31], v[34:35]
	v_fma_f64 v[6:7], v[8:9], v[22:23], v[6:7]
	v_add_f64 v[108:109], v[6:7], v[32:33]
	ds_read_b128 v[6:9], v93 offset:1056
	s_waitcnt lgkmcnt(0)
	v_mul_f64 v[30:31], v[8:9], v[12:13]
	v_mul_f64 v[32:33], v[6:7], v[12:13]
	v_fma_f64 v[30:31], v[6:7], v[10:11], -v[30:31]
	v_fma_f64 v[32:33], v[8:9], v[10:11], v[32:33]
	v_add_f64 v[62:63], v[62:63], v[30:31]
	v_mul_f64 v[30:31], v[8:9], v[16:17]
	v_add_f64 v[64:65], v[32:33], v[64:65]
	v_mul_f64 v[32:33], v[6:7], v[16:17]
	v_fma_f64 v[30:31], v[6:7], v[14:15], -v[30:31]
	v_fma_f64 v[32:33], v[8:9], v[14:15], v[32:33]
	v_add_f64 v[66:67], v[66:67], v[30:31]
	v_mul_f64 v[30:31], v[8:9], v[20:21]
	v_add_f64 v[68:69], v[32:33], v[68:69]
	;; [unrolled: 6-line block ×3, first 2 shown]
	v_fma_f64 v[30:31], v[6:7], v[22:23], -v[30:31]
	v_mul_f64 v[6:7], v[6:7], v[24:25]
	v_add_f64 v[114:115], v[74:75], v[30:31]
	v_fma_f64 v[6:7], v[8:9], v[22:23], v[6:7]
	v_add_f64 v[116:117], v[6:7], v[76:77]
	ds_read_b128 v[6:9], v93 offset:2080
	s_waitcnt lgkmcnt(0)
	v_mul_f64 v[30:31], v[8:9], v[12:13]
	v_mul_f64 v[32:33], v[6:7], v[12:13]
	v_fma_f64 v[30:31], v[6:7], v[10:11], -v[30:31]
	v_fma_f64 v[32:33], v[8:9], v[10:11], v[32:33]
	v_add_f64 v[118:119], v[82:83], v[30:31]
	v_mul_f64 v[30:31], v[8:9], v[16:17]
	v_add_f64 v[120:121], v[32:33], v[84:85]
	v_mul_f64 v[32:33], v[6:7], v[16:17]
	v_fma_f64 v[30:31], v[6:7], v[14:15], -v[30:31]
	v_fma_f64 v[32:33], v[8:9], v[14:15], v[32:33]
	v_add_f64 v[122:123], v[86:87], v[30:31]
	v_mul_f64 v[30:31], v[8:9], v[20:21]
	v_add_f64 v[124:125], v[32:33], v[88:89]
	;; [unrolled: 6-line block ×3, first 2 shown]
	v_fma_f64 v[30:31], v[6:7], v[22:23], -v[30:31]
	v_mul_f64 v[6:7], v[6:7], v[24:25]
	v_add_f64 v[98:99], v[98:99], v[30:31]
	v_fma_f64 v[6:7], v[8:9], v[22:23], v[6:7]
	v_add_f64 v[100:101], v[6:7], v[100:101]
	ds_read_b128 v[6:9], v93 offset:3104
	s_waitcnt lgkmcnt(0)
	v_mul_f64 v[30:31], v[8:9], v[12:13]
	v_mul_f64 v[12:13], v[6:7], v[12:13]
	v_fma_f64 v[30:31], v[6:7], v[10:11], -v[30:31]
	v_fma_f64 v[10:11], v[8:9], v[10:11], v[12:13]
	v_mul_f64 v[12:13], v[6:7], v[16:17]
	v_add_f64 v[86:87], v[58:59], v[30:31]
	v_add_f64 v[88:89], v[10:11], v[60:61]
	v_mul_f64 v[10:11], v[8:9], v[16:17]
	v_fma_f64 v[12:13], v[8:9], v[14:15], v[12:13]
	v_fma_f64 v[10:11], v[6:7], v[14:15], -v[10:11]
	v_add_f64 v[84:85], v[12:13], v[56:57]
	v_mul_f64 v[12:13], v[6:7], v[20:21]
	ds_read_b128 v[14:17], v92 offset:3328
	v_add_f64 v[82:83], v[54:55], v[10:11]
	v_mul_f64 v[10:11], v[8:9], v[20:21]
	v_fma_f64 v[12:13], v[8:9], v[18:19], v[12:13]
	v_fma_f64 v[10:11], v[6:7], v[18:19], -v[10:11]
	ds_read_b128 v[18:21], v92 offset:3072
	v_add_f64 v[80:81], v[12:13], v[52:53]
	v_add_f64 v[78:79], v[50:51], v[10:11]
	v_mul_f64 v[10:11], v[8:9], v[24:25]
	v_fma_f64 v[10:11], v[6:7], v[22:23], -v[10:11]
	v_mul_f64 v[6:7], v[6:7], v[24:25]
	v_add_f64 v[74:75], v[46:47], v[10:11]
	v_fma_f64 v[6:7], v[8:9], v[22:23], v[6:7]
	s_waitcnt lgkmcnt(0)
	v_mul_f64 v[8:9], v[2:3], v[20:21]
	ds_read_b128 v[10:13], v92 offset:3584
	v_add_f64 v[76:77], v[6:7], v[48:49]
	v_mul_f64 v[6:7], v[4:5], v[20:21]
	v_fma_f64 v[8:9], v[4:5], v[18:19], v[8:9]
	v_fma_f64 v[6:7], v[2:3], v[18:19], -v[6:7]
	v_add_f64 v[52:53], v[8:9], v[44:45]
	v_mul_f64 v[8:9], v[2:3], v[16:17]
	v_add_f64 v[48:49], v[42:43], v[6:7]
	v_mul_f64 v[6:7], v[4:5], v[16:17]
	v_fma_f64 v[8:9], v[4:5], v[14:15], v[8:9]
	v_fma_f64 v[6:7], v[2:3], v[14:15], -v[6:7]
	v_add_f64 v[36:37], v[8:9], v[40:41]
	s_waitcnt lgkmcnt(0)
	v_mul_f64 v[8:9], v[2:3], v[12:13]
	v_add_f64 v[34:35], v[38:39], v[6:7]
	v_mul_f64 v[6:7], v[4:5], v[12:13]
	v_fma_f64 v[8:9], v[4:5], v[10:11], v[8:9]
	v_fma_f64 v[6:7], v[2:3], v[10:11], -v[6:7]
	v_add_f64 v[32:33], v[8:9], v[104:105]
	v_add_f64 v[30:31], v[102:103], v[6:7]
	ds_read_b128 v[6:9], v92 offset:3840
	s_waitcnt lgkmcnt(0)
	v_mul_f64 v[22:23], v[4:5], v[8:9]
	v_fma_f64 v[22:23], v[2:3], v[6:7], -v[22:23]
	v_mul_f64 v[2:3], v[2:3], v[8:9]
	v_add_f64 v[22:23], v[106:107], v[22:23]
	v_fma_f64 v[2:3], v[4:5], v[6:7], v[2:3]
	v_add_f64 v[24:25], v[2:3], v[108:109]
	ds_read_b128 v[2:5], v93 offset:1072
	s_waitcnt lgkmcnt(0)
	v_mul_f64 v[38:39], v[4:5], v[20:21]
	v_mul_f64 v[40:41], v[2:3], v[20:21]
	v_fma_f64 v[38:39], v[2:3], v[18:19], -v[38:39]
	v_fma_f64 v[40:41], v[4:5], v[18:19], v[40:41]
	v_add_f64 v[70:71], v[62:63], v[38:39]
	v_mul_f64 v[38:39], v[4:5], v[16:17]
	v_add_f64 v[72:73], v[40:41], v[64:65]
	v_mul_f64 v[40:41], v[2:3], v[16:17]
	v_fma_f64 v[38:39], v[2:3], v[14:15], -v[38:39]
	v_fma_f64 v[40:41], v[4:5], v[14:15], v[40:41]
	v_add_f64 v[62:63], v[66:67], v[38:39]
	v_mul_f64 v[38:39], v[4:5], v[12:13]
	v_add_f64 v[64:65], v[40:41], v[68:69]
	;; [unrolled: 6-line block ×3, first 2 shown]
	v_fma_f64 v[38:39], v[2:3], v[6:7], -v[38:39]
	v_mul_f64 v[2:3], v[2:3], v[8:9]
	v_add_f64 v[42:43], v[114:115], v[38:39]
	v_fma_f64 v[2:3], v[4:5], v[6:7], v[2:3]
	v_add_f64 v[46:47], v[2:3], v[116:117]
	ds_read_b128 v[2:5], v93 offset:2096
	s_waitcnt lgkmcnt(0)
	v_mul_f64 v[38:39], v[4:5], v[20:21]
	v_mul_f64 v[40:41], v[2:3], v[20:21]
	v_fma_f64 v[38:39], v[2:3], v[18:19], -v[38:39]
	v_fma_f64 v[40:41], v[4:5], v[18:19], v[40:41]
	v_add_f64 v[66:67], v[118:119], v[38:39]
	v_mul_f64 v[38:39], v[4:5], v[16:17]
	v_add_f64 v[68:69], v[40:41], v[120:121]
	v_mul_f64 v[40:41], v[2:3], v[16:17]
	v_fma_f64 v[38:39], v[2:3], v[14:15], -v[38:39]
	v_fma_f64 v[40:41], v[4:5], v[14:15], v[40:41]
	v_add_f64 v[56:57], v[122:123], v[38:39]
	v_mul_f64 v[38:39], v[4:5], v[12:13]
	v_add_f64 v[60:61], v[40:41], v[124:125]
	;; [unrolled: 6-line block ×3, first 2 shown]
	v_fma_f64 v[38:39], v[2:3], v[6:7], -v[38:39]
	v_mul_f64 v[2:3], v[2:3], v[8:9]
	v_add_f64 v[38:39], v[98:99], v[38:39]
	v_fma_f64 v[2:3], v[4:5], v[6:7], v[2:3]
	v_add_f64 v[40:41], v[2:3], v[100:101]
	ds_read_b128 v[2:5], v93 offset:3120
	s_waitcnt lgkmcnt(0)
	s_barrier
	buffer_gl0_inv
	v_mul_f64 v[94:95], v[4:5], v[20:21]
	v_mul_f64 v[20:21], v[2:3], v[20:21]
	v_fma_f64 v[94:95], v[2:3], v[18:19], -v[94:95]
	v_fma_f64 v[20:21], v[4:5], v[18:19], v[20:21]
	v_add_f64 v[18:19], v[86:87], v[94:95]
	v_mul_f64 v[86:87], v[4:5], v[16:17]
	v_mul_f64 v[16:17], v[2:3], v[16:17]
	v_add_f64 v[20:21], v[20:21], v[88:89]
	v_fma_f64 v[86:87], v[2:3], v[14:15], -v[86:87]
	v_fma_f64 v[16:17], v[4:5], v[14:15], v[16:17]
	v_add_f64 v[14:15], v[82:83], v[86:87]
	v_mul_f64 v[82:83], v[4:5], v[12:13]
	v_mul_f64 v[12:13], v[2:3], v[12:13]
	v_add_f64 v[16:17], v[16:17], v[84:85]
	v_fma_f64 v[82:83], v[2:3], v[10:11], -v[82:83]
	v_fma_f64 v[12:13], v[4:5], v[10:11], v[12:13]
	v_add_f64 v[10:11], v[78:79], v[82:83]
	v_mul_f64 v[78:79], v[4:5], v[8:9]
	v_add_f64 v[12:13], v[12:13], v[80:81]
	v_fma_f64 v[78:79], v[2:3], v[6:7], -v[78:79]
	v_mul_f64 v[2:3], v[2:3], v[8:9]
	v_add_f64 v[74:75], v[74:75], v[78:79]
	v_fma_f64 v[2:3], v[4:5], v[6:7], v[2:3]
	v_add_f64 v[76:77], v[2:3], v[76:77]
	s_cbranch_vccnz .LBB256_2
	s_branch .LBB256_4
.LBB256_3:
	v_mov_b32_e32 v48, 0
	v_mov_b32_e32 v52, 0
	;; [unrolled: 1-line block ×64, first 2 shown]
.LBB256_4:
	s_load_dwordx2 s[4:5], s[4:5], 0x90
	v_cmp_neq_f64_e64 s10, s[14:15], 0
	v_cmp_neq_f64_e64 s11, s[16:17], 0
	v_add_co_u32 v6, s8, s8, v1
	v_add_co_ci_u32_e64 v7, null, s9, 0, s8
	s_waitcnt lgkmcnt(0)
	s_lshl_b64 s[4:5], s[4:5], 4
	s_add_u32 s4, s2, s4
	s_addc_u32 s5, s3, s5
	v_add_co_u32 v0, s3, s6, v0
	v_add_co_ci_u32_e64 v1, null, s7, 0, s3
	s_or_b32 s2, s10, s11
	s_and_b32 vcc_lo, exec_lo, s2
	s_cbranch_vccnz .LBB256_6
; %bb.5:
	v_mul_f64 v[4:5], s[40:41], v[52:53]
	v_mul_f64 v[8:9], s[38:39], v[52:53]
	v_mul_lo_u32 v78, v7, s26
	v_mul_lo_u32 v79, v6, s27
	v_mad_u64_u32 v[2:3], null, v6, s26, 0
	v_mul_f64 v[26:27], s[40:41], v[36:37]
	v_mul_f64 v[28:29], s[38:39], v[36:37]
	;; [unrolled: 1-line block ×6, first 2 shown]
	v_add3_u32 v3, v3, v79, v78
	v_mul_f64 v[78:79], s[40:41], v[32:33]
	v_mul_f64 v[88:89], s[38:39], v[72:73]
	;; [unrolled: 1-line block ×4, first 2 shown]
	v_lshlrev_b64 v[2:3], 4, v[2:3]
	v_mul_f64 v[94:95], s[40:41], v[58:59]
	v_mul_f64 v[96:97], s[38:39], v[58:59]
	;; [unrolled: 1-line block ×4, first 2 shown]
	s_lshl_b64 s[2:3], s[26:27], 8
	v_add_co_u32 v104, vcc_lo, s4, v2
	v_add_co_ci_u32_e64 v105, null, s5, v3, vcc_lo
	v_fma_f64 v[2:3], s[38:39], v[48:49], -v[4:5]
	v_fma_f64 v[4:5], s[40:41], v[48:49], v[8:9]
	v_lshlrev_b64 v[8:9], 4, v[0:1]
	v_fma_f64 v[26:27], s[38:39], v[34:35], -v[26:27]
	v_fma_f64 v[28:29], s[40:41], v[34:35], v[28:29]
	v_fma_f64 v[80:81], s[40:41], v[30:31], v[80:81]
	v_fma_f64 v[82:83], s[38:39], v[22:23], -v[82:83]
	v_fma_f64 v[84:85], s[40:41], v[22:23], v[84:85]
	v_add_co_u32 v102, vcc_lo, v104, v8
	v_fma_f64 v[78:79], s[38:39], v[30:31], -v[78:79]
	v_add_co_ci_u32_e64 v103, null, v105, v9, vcc_lo
	v_fma_f64 v[86:87], s[38:39], v[70:71], -v[86:87]
	v_fma_f64 v[88:89], s[40:41], v[70:71], v[88:89]
	v_fma_f64 v[90:91], s[38:39], v[62:63], -v[90:91]
	v_fma_f64 v[92:93], s[40:41], v[62:63], v[92:93]
	;; [unrolled: 2-line block ×3, first 2 shown]
	v_add_co_u32 v106, vcc_lo, v104, s2
	v_add_co_ci_u32_e64 v107, null, s3, v105, vcc_lo
	flat_store_dwordx4 v[102:103], v[2:5]
	v_fma_f64 v[2:3], s[38:39], v[42:43], -v[98:99]
	v_fma_f64 v[4:5], s[40:41], v[42:43], v[100:101]
	v_add_co_u32 v104, vcc_lo, v106, v8
	v_add_co_ci_u32_e64 v105, null, v107, v9, vcc_lo
	flat_store_dwordx4 v[102:103], v[26:29] offset:256
	flat_store_dwordx4 v[102:103], v[78:81] offset:512
	;; [unrolled: 1-line block ×3, first 2 shown]
	flat_store_dwordx4 v[104:105], v[86:89]
	flat_store_dwordx4 v[104:105], v[90:93] offset:256
	flat_store_dwordx4 v[104:105], v[94:97] offset:512
	v_mul_f64 v[26:27], s[40:41], v[68:69]
	v_mul_f64 v[28:29], s[38:39], v[68:69]
	;; [unrolled: 1-line block ×12, first 2 shown]
	flat_store_dwordx4 v[104:105], v[2:5] offset:768
	v_mul_f64 v[2:3], s[40:41], v[76:77]
	v_mul_f64 v[4:5], s[38:39], v[76:77]
	;; [unrolled: 1-line block ×4, first 2 shown]
	v_add_co_u32 v104, vcc_lo, v106, s2
	v_add_co_ci_u32_e64 v105, null, s3, v107, vcc_lo
	v_fma_f64 v[26:27], s[38:39], v[66:67], -v[26:27]
	v_fma_f64 v[28:29], s[40:41], v[66:67], v[28:29]
	v_fma_f64 v[78:79], s[38:39], v[56:57], -v[78:79]
	v_fma_f64 v[80:81], s[40:41], v[56:57], v[80:81]
	;; [unrolled: 2-line block ×6, first 2 shown]
	v_add_co_u32 v106, vcc_lo, v104, s2
	v_fma_f64 v[102:103], s[38:39], v[74:75], -v[2:3]
	v_fma_f64 v[2:3], s[40:41], v[74:75], v[4:5]
	v_fma_f64 v[98:99], s[38:39], v[10:11], -v[98:99]
	v_fma_f64 v[100:101], s[40:41], v[10:11], v[100:101]
	v_add_co_ci_u32_e64 v107, null, s3, v105, vcc_lo
	v_add_co_u32 v4, vcc_lo, v104, v8
	v_add_co_ci_u32_e64 v5, null, v105, v9, vcc_lo
	v_add_co_u32 v8, vcc_lo, v106, v8
	v_add_co_ci_u32_e64 v9, null, v107, v9, vcc_lo
	flat_store_dwordx4 v[4:5], v[26:29]
	flat_store_dwordx4 v[4:5], v[78:81] offset:256
	flat_store_dwordx4 v[4:5], v[82:85] offset:512
	;; [unrolled: 1-line block ×3, first 2 shown]
	flat_store_dwordx4 v[8:9], v[90:93]
	v_add_co_u32 v4, vcc_lo, 0x300, v8
	v_add_co_ci_u32_e64 v5, null, 0, v9, vcc_lo
	flat_store_dwordx4 v[8:9], v[94:97] offset:256
	flat_store_dwordx4 v[8:9], v[98:101] offset:512
	flat_store_dwordx2 v[8:9], v[102:103] offset:768
	s_cbranch_execz .LBB256_7
	s_branch .LBB256_8
.LBB256_6:
                                        ; implicit-def: $vgpr2_vgpr3
                                        ; implicit-def: $vgpr4_vgpr5
.LBB256_7:
	v_mul_lo_u32 v4, v7, s20
	v_mul_lo_u32 v5, v6, s21
	v_mad_u64_u32 v[2:3], null, v6, s20, 0
	s_lshl_b64 s[2:3], s[22:23], 4
	v_mul_f64 v[26:27], s[40:41], v[52:53]
	s_add_u32 s0, s0, s2
	s_addc_u32 s1, s1, s3
	v_mul_f64 v[28:29], s[38:39], v[52:53]
	s_lshl_b64 s[2:3], s[26:27], 8
	v_add3_u32 v3, v3, v5, v4
	v_lshlrev_b64 v[4:5], 4, v[0:1]
	v_lshlrev_b64 v[2:3], 4, v[2:3]
	v_add_co_u32 v78, vcc_lo, s0, v2
	v_add_co_ci_u32_e64 v79, null, s1, v3, vcc_lo
	s_lshl_b64 s[0:1], s[20:21], 8
	v_add_co_u32 v8, vcc_lo, v78, v4
	v_add_co_ci_u32_e64 v9, null, v79, v5, vcc_lo
	v_fma_f64 v[26:27], s[38:39], v[48:49], -v[26:27]
	v_fma_f64 v[28:29], s[40:41], v[48:49], v[28:29]
	flat_load_dwordx4 v[0:3], v[8:9]
	s_waitcnt vmcnt(0) lgkmcnt(0)
	v_mul_f64 v[52:53], s[16:17], v[2:3]
	v_mul_f64 v[2:3], s[14:15], v[2:3]
	v_fma_f64 v[48:49], s[14:15], v[0:1], -v[52:53]
	v_fma_f64 v[2:3], s[16:17], v[0:1], v[2:3]
	v_mul_lo_u32 v0, v7, s26
	v_mul_lo_u32 v1, v6, s27
	v_mad_u64_u32 v[6:7], null, v6, s26, 0
	v_add3_u32 v7, v7, v1, v0
	v_lshlrev_b64 v[6:7], 4, v[6:7]
	v_add_f64 v[0:1], v[26:27], v[48:49]
	v_add_f64 v[2:3], v[28:29], v[2:3]
	v_add_co_u32 v48, vcc_lo, s4, v6
	v_add_co_ci_u32_e64 v49, null, s5, v7, vcc_lo
	v_mul_f64 v[26:27], s[40:41], v[36:37]
	v_add_co_u32 v6, vcc_lo, v48, v4
	v_add_co_ci_u32_e64 v7, null, v49, v5, vcc_lo
	v_mul_f64 v[28:29], s[38:39], v[36:37]
	flat_store_dwordx4 v[6:7], v[0:3]
	flat_load_dwordx4 v[0:3], v[8:9] offset:256
	v_fma_f64 v[26:27], s[38:39], v[34:35], -v[26:27]
	v_fma_f64 v[28:29], s[40:41], v[34:35], v[28:29]
	s_waitcnt vmcnt(0) lgkmcnt(0)
	v_mul_f64 v[36:37], s[16:17], v[2:3]
	v_mul_f64 v[2:3], s[14:15], v[2:3]
	v_fma_f64 v[34:35], s[14:15], v[0:1], -v[36:37]
	v_fma_f64 v[2:3], s[16:17], v[0:1], v[2:3]
	v_add_f64 v[0:1], v[26:27], v[34:35]
	v_add_f64 v[2:3], v[28:29], v[2:3]
	v_mul_f64 v[26:27], s[40:41], v[32:33]
	v_mul_f64 v[28:29], s[38:39], v[32:33]
	flat_store_dwordx4 v[6:7], v[0:3] offset:256
	flat_load_dwordx4 v[0:3], v[8:9] offset:512
	v_fma_f64 v[26:27], s[38:39], v[30:31], -v[26:27]
	v_fma_f64 v[28:29], s[40:41], v[30:31], v[28:29]
	s_waitcnt vmcnt(0) lgkmcnt(0)
	v_mul_f64 v[32:33], s[16:17], v[2:3]
	v_mul_f64 v[2:3], s[14:15], v[2:3]
	v_fma_f64 v[30:31], s[14:15], v[0:1], -v[32:33]
	v_fma_f64 v[2:3], s[16:17], v[0:1], v[2:3]
	v_add_f64 v[0:1], v[26:27], v[30:31]
	v_add_f64 v[2:3], v[28:29], v[2:3]
	v_add_co_u32 v28, vcc_lo, v78, s0
	v_add_co_ci_u32_e64 v29, null, s1, v79, vcc_lo
	flat_store_dwordx4 v[6:7], v[0:3] offset:512
	flat_load_dwordx4 v[0:3], v[8:9] offset:768
	v_mul_f64 v[8:9], s[40:41], v[24:25]
	v_mul_f64 v[24:25], s[38:39], v[24:25]
	v_fma_f64 v[8:9], s[38:39], v[22:23], -v[8:9]
	v_fma_f64 v[22:23], s[40:41], v[22:23], v[24:25]
	s_waitcnt vmcnt(0) lgkmcnt(0)
	v_mul_f64 v[26:27], s[16:17], v[2:3]
	v_mul_f64 v[2:3], s[14:15], v[2:3]
	v_fma_f64 v[24:25], s[14:15], v[0:1], -v[26:27]
	v_fma_f64 v[2:3], s[16:17], v[0:1], v[2:3]
	v_add_f64 v[0:1], v[8:9], v[24:25]
	v_add_f64 v[2:3], v[22:23], v[2:3]
	v_add_co_u32 v8, vcc_lo, v28, v4
	v_add_co_ci_u32_e64 v9, null, v29, v5, vcc_lo
	v_mul_f64 v[22:23], s[38:39], v[72:73]
	v_add_co_u32 v30, vcc_lo, v48, s2
	v_add_co_ci_u32_e64 v31, null, s3, v49, vcc_lo
	flat_store_dwordx4 v[6:7], v[0:3] offset:768
	flat_load_dwordx4 v[0:3], v[8:9]
	v_mul_f64 v[6:7], s[40:41], v[72:73]
	v_fma_f64 v[22:23], s[40:41], v[70:71], v[22:23]
	v_fma_f64 v[6:7], s[38:39], v[70:71], -v[6:7]
	s_waitcnt vmcnt(0) lgkmcnt(0)
	v_mul_f64 v[24:25], s[16:17], v[2:3]
	v_mul_f64 v[2:3], s[14:15], v[2:3]
	v_fma_f64 v[24:25], s[14:15], v[0:1], -v[24:25]
	v_fma_f64 v[2:3], s[16:17], v[0:1], v[2:3]
	v_add_f64 v[0:1], v[6:7], v[24:25]
	v_add_f64 v[2:3], v[22:23], v[2:3]
	v_add_co_u32 v6, vcc_lo, v30, v4
	v_add_co_ci_u32_e64 v7, null, v31, v5, vcc_lo
	v_mul_f64 v[22:23], s[40:41], v[64:65]
	v_mul_f64 v[24:25], s[38:39], v[64:65]
	v_add_co_u32 v28, vcc_lo, v28, s0
	v_add_co_ci_u32_e64 v29, null, s1, v29, vcc_lo
	flat_store_dwordx4 v[6:7], v[0:3]
	flat_load_dwordx4 v[0:3], v[8:9] offset:256
	v_fma_f64 v[22:23], s[38:39], v[62:63], -v[22:23]
	v_fma_f64 v[24:25], s[40:41], v[62:63], v[24:25]
	s_waitcnt vmcnt(0) lgkmcnt(0)
	v_mul_f64 v[26:27], s[16:17], v[2:3]
	v_mul_f64 v[2:3], s[14:15], v[2:3]
	v_fma_f64 v[26:27], s[14:15], v[0:1], -v[26:27]
	v_fma_f64 v[2:3], s[16:17], v[0:1], v[2:3]
	v_add_f64 v[0:1], v[22:23], v[26:27]
	v_add_f64 v[2:3], v[24:25], v[2:3]
	v_mul_f64 v[22:23], s[40:41], v[58:59]
	v_mul_f64 v[24:25], s[38:39], v[58:59]
	flat_store_dwordx4 v[6:7], v[0:3] offset:256
	flat_load_dwordx4 v[0:3], v[8:9] offset:512
	v_fma_f64 v[22:23], s[38:39], v[54:55], -v[22:23]
	v_fma_f64 v[24:25], s[40:41], v[54:55], v[24:25]
	s_waitcnt vmcnt(0) lgkmcnt(0)
	v_mul_f64 v[26:27], s[16:17], v[2:3]
	v_mul_f64 v[2:3], s[14:15], v[2:3]
	v_fma_f64 v[26:27], s[14:15], v[0:1], -v[26:27]
	v_fma_f64 v[2:3], s[16:17], v[0:1], v[2:3]
	v_add_f64 v[0:1], v[22:23], v[26:27]
	v_add_f64 v[2:3], v[24:25], v[2:3]
	v_mul_f64 v[22:23], s[38:39], v[46:47]
	flat_store_dwordx4 v[6:7], v[0:3] offset:512
	flat_load_dwordx4 v[0:3], v[8:9] offset:768
	v_mul_f64 v[8:9], s[40:41], v[46:47]
	v_fma_f64 v[22:23], s[40:41], v[42:43], v[22:23]
	v_fma_f64 v[8:9], s[38:39], v[42:43], -v[8:9]
	s_waitcnt vmcnt(0) lgkmcnt(0)
	v_mul_f64 v[24:25], s[16:17], v[2:3]
	v_mul_f64 v[2:3], s[14:15], v[2:3]
	v_fma_f64 v[24:25], s[14:15], v[0:1], -v[24:25]
	v_fma_f64 v[2:3], s[16:17], v[0:1], v[2:3]
	v_add_f64 v[0:1], v[8:9], v[24:25]
	v_add_f64 v[2:3], v[22:23], v[2:3]
	v_add_co_u32 v8, vcc_lo, v28, v4
	v_add_co_ci_u32_e64 v9, null, v29, v5, vcc_lo
	v_mul_f64 v[22:23], s[38:39], v[68:69]
	v_add_co_u32 v30, vcc_lo, v30, s2
	v_add_co_ci_u32_e64 v31, null, s3, v31, vcc_lo
	flat_store_dwordx4 v[6:7], v[0:3] offset:768
	flat_load_dwordx4 v[0:3], v[8:9]
	v_mul_f64 v[6:7], s[40:41], v[68:69]
	v_fma_f64 v[22:23], s[40:41], v[66:67], v[22:23]
	v_fma_f64 v[6:7], s[38:39], v[66:67], -v[6:7]
	s_waitcnt vmcnt(0) lgkmcnt(0)
	v_mul_f64 v[24:25], s[16:17], v[2:3]
	v_mul_f64 v[2:3], s[14:15], v[2:3]
	v_fma_f64 v[24:25], s[14:15], v[0:1], -v[24:25]
	v_fma_f64 v[2:3], s[16:17], v[0:1], v[2:3]
	v_add_f64 v[0:1], v[6:7], v[24:25]
	v_add_f64 v[2:3], v[22:23], v[2:3]
	v_add_co_u32 v6, vcc_lo, v30, v4
	v_add_co_ci_u32_e64 v7, null, v31, v5, vcc_lo
	v_mul_f64 v[22:23], s[40:41], v[60:61]
	v_mul_f64 v[24:25], s[38:39], v[60:61]
	flat_store_dwordx4 v[6:7], v[0:3]
	flat_load_dwordx4 v[0:3], v[8:9] offset:256
	v_fma_f64 v[22:23], s[38:39], v[56:57], -v[22:23]
	v_fma_f64 v[24:25], s[40:41], v[56:57], v[24:25]
	s_waitcnt vmcnt(0) lgkmcnt(0)
	v_mul_f64 v[26:27], s[16:17], v[2:3]
	v_mul_f64 v[2:3], s[14:15], v[2:3]
	v_fma_f64 v[26:27], s[14:15], v[0:1], -v[26:27]
	v_fma_f64 v[2:3], s[16:17], v[0:1], v[2:3]
	v_add_f64 v[0:1], v[22:23], v[26:27]
	v_add_f64 v[2:3], v[24:25], v[2:3]
	v_mul_f64 v[22:23], s[40:41], v[50:51]
	v_mul_f64 v[24:25], s[38:39], v[50:51]
	flat_store_dwordx4 v[6:7], v[0:3] offset:256
	flat_load_dwordx4 v[0:3], v[8:9] offset:512
	v_fma_f64 v[22:23], s[38:39], v[44:45], -v[22:23]
	v_fma_f64 v[24:25], s[40:41], v[44:45], v[24:25]
	s_waitcnt vmcnt(0) lgkmcnt(0)
	v_mul_f64 v[26:27], s[16:17], v[2:3]
	v_mul_f64 v[2:3], s[14:15], v[2:3]
	v_fma_f64 v[26:27], s[14:15], v[0:1], -v[26:27]
	v_fma_f64 v[2:3], s[16:17], v[0:1], v[2:3]
	v_add_f64 v[0:1], v[22:23], v[26:27]
	v_add_f64 v[2:3], v[24:25], v[2:3]
	v_mul_f64 v[22:23], s[38:39], v[40:41]
	flat_store_dwordx4 v[6:7], v[0:3] offset:512
	flat_load_dwordx4 v[0:3], v[8:9] offset:768
	v_mul_f64 v[8:9], s[40:41], v[40:41]
	v_fma_f64 v[22:23], s[40:41], v[38:39], v[22:23]
	v_fma_f64 v[8:9], s[38:39], v[38:39], -v[8:9]
	s_waitcnt vmcnt(0) lgkmcnt(0)
	v_mul_f64 v[24:25], s[16:17], v[2:3]
	v_mul_f64 v[2:3], s[14:15], v[2:3]
	v_fma_f64 v[24:25], s[14:15], v[0:1], -v[24:25]
	v_fma_f64 v[2:3], s[16:17], v[0:1], v[2:3]
	v_add_f64 v[0:1], v[8:9], v[24:25]
	v_add_f64 v[2:3], v[22:23], v[2:3]
	v_add_co_u32 v8, vcc_lo, v28, s0
	v_add_co_ci_u32_e64 v9, null, s1, v29, vcc_lo
	v_add_co_u32 v8, vcc_lo, v8, v4
	v_add_co_ci_u32_e64 v9, null, v9, v5, vcc_lo
	flat_store_dwordx4 v[6:7], v[0:3] offset:768
	flat_load_dwordx4 v[0:3], v[8:9]
	v_mul_f64 v[6:7], s[40:41], v[20:21]
	v_mul_f64 v[20:21], s[38:39], v[20:21]
	v_fma_f64 v[6:7], s[38:39], v[18:19], -v[6:7]
	v_fma_f64 v[18:19], s[40:41], v[18:19], v[20:21]
	s_waitcnt vmcnt(0) lgkmcnt(0)
	v_mul_f64 v[22:23], s[16:17], v[2:3]
	v_mul_f64 v[2:3], s[14:15], v[2:3]
	v_fma_f64 v[20:21], s[14:15], v[0:1], -v[22:23]
	v_fma_f64 v[2:3], s[16:17], v[0:1], v[2:3]
	v_add_f64 v[0:1], v[6:7], v[20:21]
	v_add_f64 v[2:3], v[18:19], v[2:3]
	v_add_co_u32 v6, vcc_lo, v30, s2
	v_add_co_ci_u32_e64 v7, null, s3, v31, vcc_lo
	v_add_co_u32 v6, vcc_lo, v6, v4
	v_add_co_ci_u32_e64 v7, null, v7, v5, vcc_lo
	v_mul_f64 v[4:5], s[40:41], v[16:17]
	v_mul_f64 v[16:17], s[38:39], v[16:17]
	flat_store_dwordx4 v[6:7], v[0:3]
	flat_load_dwordx4 v[0:3], v[8:9] offset:256
	v_fma_f64 v[4:5], s[38:39], v[14:15], -v[4:5]
	v_fma_f64 v[14:15], s[40:41], v[14:15], v[16:17]
	s_waitcnt vmcnt(0) lgkmcnt(0)
	v_mul_f64 v[18:19], s[16:17], v[2:3]
	v_mul_f64 v[2:3], s[14:15], v[2:3]
	v_fma_f64 v[16:17], s[14:15], v[0:1], -v[18:19]
	v_fma_f64 v[2:3], s[16:17], v[0:1], v[2:3]
	v_add_f64 v[0:1], v[4:5], v[16:17]
	v_add_f64 v[2:3], v[14:15], v[2:3]
	v_mul_f64 v[4:5], s[40:41], v[12:13]
	v_mul_f64 v[12:13], s[38:39], v[12:13]
	flat_store_dwordx4 v[6:7], v[0:3] offset:256
	flat_load_dwordx4 v[0:3], v[8:9] offset:512
	v_fma_f64 v[4:5], s[38:39], v[10:11], -v[4:5]
	v_fma_f64 v[10:11], s[40:41], v[10:11], v[12:13]
	s_waitcnt vmcnt(0) lgkmcnt(0)
	v_mul_f64 v[14:15], s[16:17], v[2:3]
	v_mul_f64 v[2:3], s[14:15], v[2:3]
	v_fma_f64 v[12:13], s[14:15], v[0:1], -v[14:15]
	v_fma_f64 v[2:3], s[16:17], v[0:1], v[2:3]
	v_add_f64 v[0:1], v[4:5], v[12:13]
	v_add_f64 v[2:3], v[10:11], v[2:3]
	v_mul_f64 v[4:5], s[40:41], v[76:77]
	flat_store_dwordx4 v[6:7], v[0:3] offset:512
	flat_load_dwordx4 v[0:3], v[8:9] offset:768
	v_mul_f64 v[8:9], s[38:39], v[76:77]
	v_fma_f64 v[4:5], s[38:39], v[74:75], -v[4:5]
	v_fma_f64 v[8:9], s[40:41], v[74:75], v[8:9]
	s_waitcnt vmcnt(0) lgkmcnt(0)
	v_mul_f64 v[10:11], s[16:17], v[2:3]
	v_mul_f64 v[2:3], s[14:15], v[2:3]
	v_fma_f64 v[10:11], s[14:15], v[0:1], -v[10:11]
	v_fma_f64 v[0:1], s[16:17], v[0:1], v[2:3]
	v_add_f64 v[10:11], v[4:5], v[10:11]
	v_add_f64 v[2:3], v[8:9], v[0:1]
	v_add_co_u32 v4, vcc_lo, 0x300, v6
	v_add_co_ci_u32_e64 v5, null, 0, v7, vcc_lo
	flat_store_dwordx2 v[6:7], v[10:11] offset:768
.LBB256_8:
	flat_store_dwordx2 v[4:5], v[2:3] offset:8
	s_endpgm
	.section	.rodata,"a",@progbits
	.p2align	6, 0x0
	.amdhsa_kernel _ZN12_GLOBAL__N_127rocblas_gemm_batched_kernelI19rocblas_complex_numIdELi16ELi16ELi64ELi64ELi4ELi64ELi4ELi4ELi64ELc67ELc78EKPKS2_S5_KPS2_EEvlllT_PT11_llSA_llS8_PT12_llPT13_lli
		.amdhsa_group_segment_fixed_size 8192
		.amdhsa_private_segment_fixed_size 0
		.amdhsa_kernarg_size 156
		.amdhsa_user_sgpr_count 6
		.amdhsa_user_sgpr_private_segment_buffer 1
		.amdhsa_user_sgpr_dispatch_ptr 0
		.amdhsa_user_sgpr_queue_ptr 0
		.amdhsa_user_sgpr_kernarg_segment_ptr 1
		.amdhsa_user_sgpr_dispatch_id 0
		.amdhsa_user_sgpr_flat_scratch_init 0
		.amdhsa_user_sgpr_private_segment_size 0
		.amdhsa_wavefront_size32 1
		.amdhsa_uses_dynamic_stack 0
		.amdhsa_system_sgpr_private_segment_wavefront_offset 0
		.amdhsa_system_sgpr_workgroup_id_x 1
		.amdhsa_system_sgpr_workgroup_id_y 1
		.amdhsa_system_sgpr_workgroup_id_z 1
		.amdhsa_system_sgpr_workgroup_info 0
		.amdhsa_system_vgpr_workitem_id 1
		.amdhsa_next_free_vgpr 138
		.amdhsa_next_free_sgpr 52
		.amdhsa_reserve_vcc 1
		.amdhsa_reserve_flat_scratch 0
		.amdhsa_float_round_mode_32 0
		.amdhsa_float_round_mode_16_64 0
		.amdhsa_float_denorm_mode_32 3
		.amdhsa_float_denorm_mode_16_64 3
		.amdhsa_dx10_clamp 1
		.amdhsa_ieee_mode 1
		.amdhsa_fp16_overflow 0
		.amdhsa_workgroup_processor_mode 1
		.amdhsa_memory_ordered 1
		.amdhsa_forward_progress 1
		.amdhsa_shared_vgpr_count 0
		.amdhsa_exception_fp_ieee_invalid_op 0
		.amdhsa_exception_fp_denorm_src 0
		.amdhsa_exception_fp_ieee_div_zero 0
		.amdhsa_exception_fp_ieee_overflow 0
		.amdhsa_exception_fp_ieee_underflow 0
		.amdhsa_exception_fp_ieee_inexact 0
		.amdhsa_exception_int_div_zero 0
	.end_amdhsa_kernel
	.section	.text._ZN12_GLOBAL__N_127rocblas_gemm_batched_kernelI19rocblas_complex_numIdELi16ELi16ELi64ELi64ELi4ELi64ELi4ELi4ELi64ELc67ELc78EKPKS2_S5_KPS2_EEvlllT_PT11_llSA_llS8_PT12_llPT13_lli,"axG",@progbits,_ZN12_GLOBAL__N_127rocblas_gemm_batched_kernelI19rocblas_complex_numIdELi16ELi16ELi64ELi64ELi4ELi64ELi4ELi4ELi64ELc67ELc78EKPKS2_S5_KPS2_EEvlllT_PT11_llSA_llS8_PT12_llPT13_lli,comdat
.Lfunc_end256:
	.size	_ZN12_GLOBAL__N_127rocblas_gemm_batched_kernelI19rocblas_complex_numIdELi16ELi16ELi64ELi64ELi4ELi64ELi4ELi4ELi64ELc67ELc78EKPKS2_S5_KPS2_EEvlllT_PT11_llSA_llS8_PT12_llPT13_lli, .Lfunc_end256-_ZN12_GLOBAL__N_127rocblas_gemm_batched_kernelI19rocblas_complex_numIdELi16ELi16ELi64ELi64ELi4ELi64ELi4ELi4ELi64ELc67ELc78EKPKS2_S5_KPS2_EEvlllT_PT11_llSA_llS8_PT12_llPT13_lli
                                        ; -- End function
	.set _ZN12_GLOBAL__N_127rocblas_gemm_batched_kernelI19rocblas_complex_numIdELi16ELi16ELi64ELi64ELi4ELi64ELi4ELi4ELi64ELc67ELc78EKPKS2_S5_KPS2_EEvlllT_PT11_llSA_llS8_PT12_llPT13_lli.num_vgpr, 138
	.set _ZN12_GLOBAL__N_127rocblas_gemm_batched_kernelI19rocblas_complex_numIdELi16ELi16ELi64ELi64ELi4ELi64ELi4ELi4ELi64ELc67ELc78EKPKS2_S5_KPS2_EEvlllT_PT11_llSA_llS8_PT12_llPT13_lli.num_agpr, 0
	.set _ZN12_GLOBAL__N_127rocblas_gemm_batched_kernelI19rocblas_complex_numIdELi16ELi16ELi64ELi64ELi4ELi64ELi4ELi4ELi64ELc67ELc78EKPKS2_S5_KPS2_EEvlllT_PT11_llSA_llS8_PT12_llPT13_lli.numbered_sgpr, 52
	.set _ZN12_GLOBAL__N_127rocblas_gemm_batched_kernelI19rocblas_complex_numIdELi16ELi16ELi64ELi64ELi4ELi64ELi4ELi4ELi64ELc67ELc78EKPKS2_S5_KPS2_EEvlllT_PT11_llSA_llS8_PT12_llPT13_lli.num_named_barrier, 0
	.set _ZN12_GLOBAL__N_127rocblas_gemm_batched_kernelI19rocblas_complex_numIdELi16ELi16ELi64ELi64ELi4ELi64ELi4ELi4ELi64ELc67ELc78EKPKS2_S5_KPS2_EEvlllT_PT11_llSA_llS8_PT12_llPT13_lli.private_seg_size, 0
	.set _ZN12_GLOBAL__N_127rocblas_gemm_batched_kernelI19rocblas_complex_numIdELi16ELi16ELi64ELi64ELi4ELi64ELi4ELi4ELi64ELc67ELc78EKPKS2_S5_KPS2_EEvlllT_PT11_llSA_llS8_PT12_llPT13_lli.uses_vcc, 1
	.set _ZN12_GLOBAL__N_127rocblas_gemm_batched_kernelI19rocblas_complex_numIdELi16ELi16ELi64ELi64ELi4ELi64ELi4ELi4ELi64ELc67ELc78EKPKS2_S5_KPS2_EEvlllT_PT11_llSA_llS8_PT12_llPT13_lli.uses_flat_scratch, 0
	.set _ZN12_GLOBAL__N_127rocblas_gemm_batched_kernelI19rocblas_complex_numIdELi16ELi16ELi64ELi64ELi4ELi64ELi4ELi4ELi64ELc67ELc78EKPKS2_S5_KPS2_EEvlllT_PT11_llSA_llS8_PT12_llPT13_lli.has_dyn_sized_stack, 0
	.set _ZN12_GLOBAL__N_127rocblas_gemm_batched_kernelI19rocblas_complex_numIdELi16ELi16ELi64ELi64ELi4ELi64ELi4ELi4ELi64ELc67ELc78EKPKS2_S5_KPS2_EEvlllT_PT11_llSA_llS8_PT12_llPT13_lli.has_recursion, 0
	.set _ZN12_GLOBAL__N_127rocblas_gemm_batched_kernelI19rocblas_complex_numIdELi16ELi16ELi64ELi64ELi4ELi64ELi4ELi4ELi64ELc67ELc78EKPKS2_S5_KPS2_EEvlllT_PT11_llSA_llS8_PT12_llPT13_lli.has_indirect_call, 0
	.section	.AMDGPU.csdata,"",@progbits
; Kernel info:
; codeLenInByte = 7436
; TotalNumSgprs: 54
; NumVgprs: 138
; ScratchSize: 0
; MemoryBound: 0
; FloatMode: 240
; IeeeMode: 1
; LDSByteSize: 8192 bytes/workgroup (compile time only)
; SGPRBlocks: 0
; VGPRBlocks: 17
; NumSGPRsForWavesPerEU: 54
; NumVGPRsForWavesPerEU: 138
; Occupancy: 7
; WaveLimiterHint : 1
; COMPUTE_PGM_RSRC2:SCRATCH_EN: 0
; COMPUTE_PGM_RSRC2:USER_SGPR: 6
; COMPUTE_PGM_RSRC2:TRAP_HANDLER: 0
; COMPUTE_PGM_RSRC2:TGID_X_EN: 1
; COMPUTE_PGM_RSRC2:TGID_Y_EN: 1
; COMPUTE_PGM_RSRC2:TGID_Z_EN: 1
; COMPUTE_PGM_RSRC2:TIDIG_COMP_CNT: 1
	.section	.text._ZN12_GLOBAL__N_127rocblas_gemm_batched_kernelI19rocblas_complex_numIdELi16ELi16ELi64ELi64ELi4ELi64ELi4ELi4ELi64ELc67ELc84EKPKS2_S5_KPS2_EEvlllT_PT11_llSA_llS8_PT12_llPT13_lli,"axG",@progbits,_ZN12_GLOBAL__N_127rocblas_gemm_batched_kernelI19rocblas_complex_numIdELi16ELi16ELi64ELi64ELi4ELi64ELi4ELi4ELi64ELc67ELc84EKPKS2_S5_KPS2_EEvlllT_PT11_llSA_llS8_PT12_llPT13_lli,comdat
	.globl	_ZN12_GLOBAL__N_127rocblas_gemm_batched_kernelI19rocblas_complex_numIdELi16ELi16ELi64ELi64ELi4ELi64ELi4ELi4ELi64ELc67ELc84EKPKS2_S5_KPS2_EEvlllT_PT11_llSA_llS8_PT12_llPT13_lli ; -- Begin function _ZN12_GLOBAL__N_127rocblas_gemm_batched_kernelI19rocblas_complex_numIdELi16ELi16ELi64ELi64ELi4ELi64ELi4ELi4ELi64ELc67ELc84EKPKS2_S5_KPS2_EEvlllT_PT11_llSA_llS8_PT12_llPT13_lli
	.p2align	8
	.type	_ZN12_GLOBAL__N_127rocblas_gemm_batched_kernelI19rocblas_complex_numIdELi16ELi16ELi64ELi64ELi4ELi64ELi4ELi4ELi64ELc67ELc84EKPKS2_S5_KPS2_EEvlllT_PT11_llSA_llS8_PT12_llPT13_lli,@function
_ZN12_GLOBAL__N_127rocblas_gemm_batched_kernelI19rocblas_complex_numIdELi16ELi16ELi64ELi64ELi4ELi64ELi4ELi4ELi64ELc67ELc84EKPKS2_S5_KPS2_EEvlllT_PT11_llSA_llS8_PT12_llPT13_lli: ; @_ZN12_GLOBAL__N_127rocblas_gemm_batched_kernelI19rocblas_complex_numIdELi16ELi16ELi64ELi64ELi4ELi64ELi4ELi4ELi64ELc67ELc84EKPKS2_S5_KPS2_EEvlllT_PT11_llSA_llS8_PT12_llPT13_lli
; %bb.0:
	s_clause 0x1
	s_load_dwordx16 s[12:27], s[4:5], 0x50
	s_load_dwordx16 s[36:51], s[4:5], 0x10
	s_mov_b32 s9, 0
	s_mov_b32 s28, s7
	s_lshl_b64 s[10:11], s[8:9], 3
	s_waitcnt lgkmcnt(0)
	s_add_u32 s0, s18, s10
	s_addc_u32 s1, s19, s11
	s_add_u32 s2, s24, s10
	s_addc_u32 s3, s25, s11
	s_load_dwordx2 s[0:1], s[0:1], 0x0
	s_load_dwordx2 s[2:3], s[2:3], 0x0
	v_cmp_lt_i64_e64 s8, s[36:37], 1
	s_ashr_i32 s7, s6, 31
	s_ashr_i32 s29, s28, 31
	s_lshl_b64 s[6:7], s[6:7], 6
	s_and_b32 vcc_lo, exec_lo, s8
	s_lshl_b64 s[8:9], s[28:29], 6
	s_cbranch_vccnz .LBB257_3
; %bb.1:
	v_lshl_add_u32 v6, v1, 4, v0
	v_and_b32_e32 v7, 3, v0
	v_mov_b32_e32 v76, 0
	v_mov_b32_e32 v74, 0
	;; [unrolled: 1-line block ×3, first 2 shown]
	v_lshrrev_b32_e32 v8, 2, v6
	v_and_b32_e32 v9, 63, v6
	v_lshrrev_b32_e32 v12, 6, v6
	v_lshlrev_b32_e32 v13, 4, v7
	v_mov_b32_e32 v14, 0
	v_add_co_u32 v2, s18, v8, s8
	v_add_co_ci_u32_e64 v3, null, 0, s9, s18
	v_add_co_u32 v4, s18, s6, v9
	v_add_co_ci_u32_e64 v5, null, s7, 0, s18
	v_mad_u64_u32 v[2:3], null, s50, v7, v[2:3]
	v_mul_lo_u32 v10, s45, v4
	v_mul_lo_u32 v11, s44, v5
	v_mad_u64_u32 v[4:5], null, s44, v4, 0
	s_add_u32 s18, s42, s10
	s_addc_u32 s19, s43, s11
	s_add_u32 s10, s48, s10
	s_addc_u32 s11, s49, s11
	s_load_dwordx2 s[18:19], s[18:19], 0x0
	s_load_dwordx2 s[10:11], s[10:11], 0x0
	v_add3_u32 v5, v5, v11, v10
	v_mad_u64_u32 v[6:7], null, s51, v7, v[3:4]
	v_lshlrev_b32_e32 v3, 4, v9
	s_lshl_b64 s[24:25], s[46:47], 4
	v_lshlrev_b64 v[4:5], 4, v[4:5]
	s_lshl_b64 s[12:13], s[12:13], 4
	v_lshl_or_b32 v7, v8, 6, v13
	v_lshl_or_b32 v90, v12, 10, v3
	v_mov_b32_e32 v3, v6
	v_lshlrev_b32_e32 v6, 4, v12
	v_add_co_u32 v4, vcc_lo, v4, s24
	v_add_co_ci_u32_e64 v5, null, s25, v5, vcc_lo
	v_lshlrev_b64 v[2:3], 4, v[2:3]
	v_add_co_u32 v4, vcc_lo, v4, v6
	v_add_co_ci_u32_e64 v5, null, 0, v5, vcc_lo
	s_waitcnt lgkmcnt(0)
	s_add_u32 s10, s10, s12
	v_add_co_u32 v26, vcc_lo, s18, v4
	v_add_co_ci_u32_e64 v27, null, s19, v5, vcc_lo
	s_addc_u32 s11, s11, s13
	v_add_co_u32 v28, vcc_lo, s10, v2
	v_mov_b32_e32 v12, 0
	v_mov_b32_e32 v10, 0
	;; [unrolled: 1-line block ×28, first 2 shown]
	v_add_nc_u32_e32 v91, 0x1000, v7
	v_lshlrev_b32_e32 v92, 4, v0
	v_lshl_add_u32 v93, v1, 6, 0x1000
	v_mov_b32_e32 v77, 0
	v_mov_b32_e32 v75, 0
	;; [unrolled: 1-line block ×32, first 2 shown]
	v_add_co_ci_u32_e64 v29, null, s11, v3, vcc_lo
	s_lshl_b64 s[10:11], s[50:51], 6
	s_mov_b64 s[12:13], 0
.LBB257_2:                              ; =>This Inner Loop Header: Depth=1
	flat_load_dwordx4 v[2:5], v[26:27]
	s_add_u32 s12, s12, 4
	s_addc_u32 s13, s13, 0
	v_add_co_u32 v26, vcc_lo, v26, 64
	v_cmp_lt_i64_e64 s18, s[12:13], s[36:37]
	v_add_co_ci_u32_e64 v27, null, 0, v27, vcc_lo
	s_waitcnt vmcnt(0) lgkmcnt(0)
	v_xor_b32_e32 v5, 0x80000000, v5
	ds_write_b128 v90, v[2:5]
	flat_load_dwordx4 v[2:5], v[28:29]
	v_add_co_u32 v28, vcc_lo, v28, s10
	v_add_co_ci_u32_e64 v29, null, s11, v29, vcc_lo
	s_and_b32 vcc_lo, exec_lo, s18
	s_waitcnt vmcnt(0) lgkmcnt(0)
	ds_write2_b64 v91, v[2:3], v[4:5] offset1:1
	s_waitcnt lgkmcnt(0)
	s_barrier
	buffer_gl0_inv
	ds_read_b128 v[78:81], v93
	ds_read_b128 v[82:85], v93 offset:16
	ds_read_b128 v[6:9], v93 offset:32
	;; [unrolled: 1-line block ×3, first 2 shown]
	ds_read_b128 v[86:89], v92
	s_waitcnt lgkmcnt(0)
	v_mul_f64 v[94:95], v[80:81], v[88:89]
	v_mul_f64 v[96:97], v[78:79], v[88:89]
	v_fma_f64 v[94:95], v[78:79], v[86:87], -v[94:95]
	v_fma_f64 v[96:97], v[80:81], v[86:87], v[96:97]
	v_add_f64 v[98:99], v[48:49], v[94:95]
	v_add_f64 v[100:101], v[96:97], v[52:53]
	ds_read_b128 v[94:97], v92 offset:256
	s_waitcnt lgkmcnt(0)
	v_mul_f64 v[48:49], v[80:81], v[96:97]
	v_mul_f64 v[52:53], v[78:79], v[96:97]
	v_fma_f64 v[48:49], v[78:79], v[94:95], -v[48:49]
	v_fma_f64 v[52:53], v[80:81], v[94:95], v[52:53]
	v_add_f64 v[102:103], v[34:35], v[48:49]
	v_add_f64 v[104:105], v[52:53], v[36:37]
	ds_read_b128 v[34:37], v92 offset:512
	;; [unrolled: 8-line block ×4, first 2 shown]
	s_waitcnt lgkmcnt(0)
	v_mul_f64 v[48:49], v[24:25], v[88:89]
	v_mul_f64 v[52:53], v[22:23], v[88:89]
	v_fma_f64 v[48:49], v[22:23], v[86:87], -v[48:49]
	v_fma_f64 v[52:53], v[24:25], v[86:87], v[52:53]
	v_add_f64 v[70:71], v[70:71], v[48:49]
	v_mul_f64 v[48:49], v[24:25], v[96:97]
	v_add_f64 v[72:73], v[52:53], v[72:73]
	v_mul_f64 v[52:53], v[22:23], v[96:97]
	v_fma_f64 v[48:49], v[22:23], v[94:95], -v[48:49]
	v_fma_f64 v[52:53], v[24:25], v[94:95], v[52:53]
	v_add_f64 v[110:111], v[62:63], v[48:49]
	v_mul_f64 v[48:49], v[24:25], v[36:37]
	v_add_f64 v[112:113], v[52:53], v[64:65]
	;; [unrolled: 6-line block ×3, first 2 shown]
	v_fma_f64 v[48:49], v[22:23], v[30:31], -v[48:49]
	v_mul_f64 v[22:23], v[22:23], v[32:33]
	v_add_f64 v[118:119], v[42:43], v[48:49]
	v_fma_f64 v[22:23], v[24:25], v[30:31], v[22:23]
	v_add_f64 v[120:121], v[22:23], v[46:47]
	ds_read_b128 v[22:25], v93 offset:2048
	s_waitcnt lgkmcnt(0)
	v_mul_f64 v[42:43], v[24:25], v[88:89]
	v_mul_f64 v[46:47], v[22:23], v[88:89]
	v_fma_f64 v[42:43], v[22:23], v[86:87], -v[42:43]
	v_fma_f64 v[46:47], v[24:25], v[86:87], v[46:47]
	v_add_f64 v[122:123], v[66:67], v[42:43]
	v_mul_f64 v[42:43], v[24:25], v[96:97]
	v_add_f64 v[124:125], v[46:47], v[68:69]
	v_mul_f64 v[46:47], v[22:23], v[96:97]
	v_fma_f64 v[42:43], v[22:23], v[94:95], -v[42:43]
	v_fma_f64 v[46:47], v[24:25], v[94:95], v[46:47]
	v_add_f64 v[126:127], v[56:57], v[42:43]
	v_mul_f64 v[42:43], v[24:25], v[36:37]
	v_add_f64 v[128:129], v[46:47], v[60:61]
	;; [unrolled: 6-line block ×3, first 2 shown]
	v_fma_f64 v[42:43], v[22:23], v[30:31], -v[42:43]
	v_mul_f64 v[22:23], v[22:23], v[32:33]
	v_add_f64 v[134:135], v[38:39], v[42:43]
	v_fma_f64 v[22:23], v[24:25], v[30:31], v[22:23]
	v_add_f64 v[136:137], v[22:23], v[40:41]
	ds_read_b128 v[22:25], v93 offset:3072
	s_waitcnt lgkmcnt(0)
	v_mul_f64 v[38:39], v[24:25], v[88:89]
	v_mul_f64 v[40:41], v[22:23], v[88:89]
	v_fma_f64 v[38:39], v[22:23], v[86:87], -v[38:39]
	v_fma_f64 v[40:41], v[24:25], v[86:87], v[40:41]
	v_add_f64 v[58:59], v[18:19], v[38:39]
	v_add_f64 v[60:61], v[40:41], v[20:21]
	v_mul_f64 v[18:19], v[24:25], v[96:97]
	v_mul_f64 v[20:21], v[22:23], v[96:97]
	v_fma_f64 v[18:19], v[22:23], v[94:95], -v[18:19]
	v_fma_f64 v[20:21], v[24:25], v[94:95], v[20:21]
	v_add_f64 v[54:55], v[14:15], v[18:19]
	v_add_f64 v[56:57], v[20:21], v[16:17]
	v_mul_f64 v[14:15], v[24:25], v[36:37]
	v_mul_f64 v[16:17], v[22:23], v[36:37]
	ds_read_b128 v[18:21], v92 offset:1280
	v_fma_f64 v[14:15], v[22:23], v[34:35], -v[14:15]
	v_fma_f64 v[16:17], v[24:25], v[34:35], v[16:17]
	v_add_f64 v[50:51], v[10:11], v[14:15]
	v_add_f64 v[52:53], v[16:17], v[12:13]
	v_mul_f64 v[10:11], v[24:25], v[32:33]
	v_mul_f64 v[12:13], v[22:23], v[32:33]
	ds_read_b128 v[14:17], v92 offset:1536
	v_fma_f64 v[10:11], v[22:23], v[30:31], -v[10:11]
	v_fma_f64 v[12:13], v[24:25], v[30:31], v[12:13]
	ds_read_b128 v[22:25], v92 offset:1024
	v_add_f64 v[46:47], v[74:75], v[10:11]
	v_add_f64 v[48:49], v[12:13], v[76:77]
	s_waitcnt lgkmcnt(0)
	v_mul_f64 v[10:11], v[84:85], v[24:25]
	v_mul_f64 v[12:13], v[82:83], v[24:25]
	ds_read_b128 v[74:77], v93 offset:1040
	v_fma_f64 v[10:11], v[82:83], v[22:23], -v[10:11]
	v_fma_f64 v[12:13], v[84:85], v[22:23], v[12:13]
	s_waitcnt lgkmcnt(0)
	v_mul_f64 v[62:63], v[76:77], v[24:25]
	v_mul_f64 v[64:65], v[74:75], v[24:25]
	;; [unrolled: 1-line block ×4, first 2 shown]
	v_add_f64 v[42:43], v[98:99], v[10:11]
	v_add_f64 v[44:45], v[12:13], v[100:101]
	v_mul_f64 v[10:11], v[84:85], v[20:21]
	v_mul_f64 v[12:13], v[82:83], v[20:21]
	v_fma_f64 v[62:63], v[74:75], v[22:23], -v[62:63]
	v_fma_f64 v[64:65], v[76:77], v[22:23], v[64:65]
	v_fma_f64 v[66:67], v[74:75], v[18:19], -v[66:67]
	v_fma_f64 v[68:69], v[76:77], v[18:19], v[68:69]
	;; [unrolled: 2-line block ×3, first 2 shown]
	v_add_f64 v[62:63], v[70:71], v[62:63]
	v_mul_f64 v[70:71], v[76:77], v[16:17]
	v_add_f64 v[64:65], v[64:65], v[72:73]
	v_mul_f64 v[72:73], v[74:75], v[16:17]
	v_add_f64 v[66:67], v[110:111], v[66:67]
	v_add_f64 v[68:69], v[68:69], v[112:113]
	;; [unrolled: 1-line block ×4, first 2 shown]
	v_mul_f64 v[10:11], v[84:85], v[16:17]
	v_mul_f64 v[12:13], v[82:83], v[16:17]
	v_fma_f64 v[70:71], v[74:75], v[14:15], -v[70:71]
	v_fma_f64 v[72:73], v[76:77], v[14:15], v[72:73]
	v_fma_f64 v[10:11], v[82:83], v[14:15], -v[10:11]
	v_fma_f64 v[12:13], v[84:85], v[14:15], v[12:13]
	v_add_f64 v[70:71], v[114:115], v[70:71]
	v_add_f64 v[72:73], v[72:73], v[116:117]
	;; [unrolled: 1-line block ×4, first 2 shown]
	ds_read_b128 v[10:13], v92 offset:1792
	s_waitcnt lgkmcnt(0)
	v_mul_f64 v[30:31], v[84:85], v[12:13]
	v_mul_f64 v[32:33], v[82:83], v[12:13]
	v_fma_f64 v[30:31], v[82:83], v[10:11], -v[30:31]
	v_fma_f64 v[32:33], v[84:85], v[10:11], v[32:33]
	v_add_f64 v[30:31], v[78:79], v[30:31]
	v_mul_f64 v[78:79], v[76:77], v[12:13]
	v_add_f64 v[32:33], v[32:33], v[80:81]
	v_fma_f64 v[78:79], v[74:75], v[10:11], -v[78:79]
	v_mul_f64 v[74:75], v[74:75], v[12:13]
	v_fma_f64 v[76:77], v[76:77], v[10:11], v[74:75]
	v_add_f64 v[74:75], v[118:119], v[78:79]
	ds_read_b128 v[78:81], v93 offset:2064
	s_waitcnt lgkmcnt(0)
	v_mul_f64 v[82:83], v[80:81], v[24:25]
	v_mul_f64 v[86:87], v[80:81], v[20:21]
	;; [unrolled: 1-line block ×7, first 2 shown]
	v_add_f64 v[76:77], v[76:77], v[120:121]
	v_fma_f64 v[82:83], v[78:79], v[22:23], -v[82:83]
	v_fma_f64 v[86:87], v[78:79], v[18:19], -v[86:87]
	;; [unrolled: 1-line block ×4, first 2 shown]
	v_mul_f64 v[78:79], v[78:79], v[12:13]
	v_fma_f64 v[84:85], v[80:81], v[22:23], v[84:85]
	v_fma_f64 v[88:89], v[80:81], v[18:19], v[88:89]
	;; [unrolled: 1-line block ×3, first 2 shown]
	v_add_f64 v[82:83], v[122:123], v[82:83]
	v_add_f64 v[86:87], v[126:127], v[86:87]
	;; [unrolled: 1-line block ×4, first 2 shown]
	v_fma_f64 v[78:79], v[80:81], v[10:11], v[78:79]
	v_add_f64 v[84:85], v[84:85], v[124:125]
	v_add_f64 v[88:89], v[88:89], v[128:129]
	;; [unrolled: 1-line block ×4, first 2 shown]
	ds_read_b128 v[78:81], v93 offset:3088
	s_waitcnt lgkmcnt(0)
	v_mul_f64 v[102:103], v[80:81], v[24:25]
	v_mul_f64 v[24:25], v[78:79], v[24:25]
	v_fma_f64 v[102:103], v[78:79], v[22:23], -v[102:103]
	v_fma_f64 v[22:23], v[80:81], v[22:23], v[24:25]
	v_add_f64 v[58:59], v[58:59], v[102:103]
	v_add_f64 v[60:61], v[22:23], v[60:61]
	v_mul_f64 v[22:23], v[80:81], v[20:21]
	v_mul_f64 v[20:21], v[78:79], v[20:21]
	v_fma_f64 v[22:23], v[78:79], v[18:19], -v[22:23]
	v_fma_f64 v[18:19], v[80:81], v[18:19], v[20:21]
	v_add_f64 v[54:55], v[54:55], v[22:23]
	v_add_f64 v[56:57], v[18:19], v[56:57]
	v_mul_f64 v[18:19], v[80:81], v[16:17]
	v_mul_f64 v[16:17], v[78:79], v[16:17]
	v_fma_f64 v[18:19], v[78:79], v[14:15], -v[18:19]
	v_fma_f64 v[14:15], v[80:81], v[14:15], v[16:17]
	v_add_f64 v[50:51], v[50:51], v[18:19]
	v_add_f64 v[52:53], v[14:15], v[52:53]
	v_mul_f64 v[14:15], v[80:81], v[12:13]
	v_mul_f64 v[12:13], v[78:79], v[12:13]
	v_fma_f64 v[14:15], v[78:79], v[10:11], -v[14:15]
	v_fma_f64 v[10:11], v[80:81], v[10:11], v[12:13]
	v_add_f64 v[46:47], v[46:47], v[14:15]
	v_add_f64 v[48:49], v[10:11], v[48:49]
	ds_read_b128 v[10:13], v92 offset:2048
	s_waitcnt lgkmcnt(0)
	v_mul_f64 v[14:15], v[8:9], v[12:13]
	v_mul_f64 v[16:17], v[6:7], v[12:13]
	v_fma_f64 v[14:15], v[6:7], v[10:11], -v[14:15]
	v_fma_f64 v[16:17], v[8:9], v[10:11], v[16:17]
	v_add_f64 v[42:43], v[42:43], v[14:15]
	v_add_f64 v[44:45], v[16:17], v[44:45]
	ds_read_b128 v[14:17], v92 offset:2304
	s_waitcnt lgkmcnt(0)
	v_mul_f64 v[18:19], v[8:9], v[16:17]
	v_mul_f64 v[20:21], v[6:7], v[16:17]
	v_fma_f64 v[18:19], v[6:7], v[14:15], -v[18:19]
	v_fma_f64 v[20:21], v[8:9], v[14:15], v[20:21]
	v_add_f64 v[38:39], v[38:39], v[18:19]
	v_add_f64 v[40:41], v[20:21], v[40:41]
	;; [unrolled: 8-line block ×3, first 2 shown]
	ds_read_b128 v[22:25], v92 offset:2816
	s_waitcnt lgkmcnt(0)
	v_mul_f64 v[34:35], v[8:9], v[24:25]
	v_fma_f64 v[34:35], v[6:7], v[22:23], -v[34:35]
	v_mul_f64 v[6:7], v[6:7], v[24:25]
	v_add_f64 v[106:107], v[30:31], v[34:35]
	v_fma_f64 v[6:7], v[8:9], v[22:23], v[6:7]
	v_add_f64 v[108:109], v[6:7], v[32:33]
	ds_read_b128 v[6:9], v93 offset:1056
	s_waitcnt lgkmcnt(0)
	v_mul_f64 v[30:31], v[8:9], v[12:13]
	v_mul_f64 v[32:33], v[6:7], v[12:13]
	v_fma_f64 v[30:31], v[6:7], v[10:11], -v[30:31]
	v_fma_f64 v[32:33], v[8:9], v[10:11], v[32:33]
	v_add_f64 v[62:63], v[62:63], v[30:31]
	v_mul_f64 v[30:31], v[8:9], v[16:17]
	v_add_f64 v[64:65], v[32:33], v[64:65]
	v_mul_f64 v[32:33], v[6:7], v[16:17]
	v_fma_f64 v[30:31], v[6:7], v[14:15], -v[30:31]
	v_fma_f64 v[32:33], v[8:9], v[14:15], v[32:33]
	v_add_f64 v[66:67], v[66:67], v[30:31]
	v_mul_f64 v[30:31], v[8:9], v[20:21]
	v_add_f64 v[68:69], v[32:33], v[68:69]
	v_mul_f64 v[32:33], v[6:7], v[20:21]
	v_fma_f64 v[30:31], v[6:7], v[18:19], -v[30:31]
	v_fma_f64 v[32:33], v[8:9], v[18:19], v[32:33]
	v_add_f64 v[110:111], v[70:71], v[30:31]
	v_mul_f64 v[30:31], v[8:9], v[24:25]
	v_add_f64 v[112:113], v[32:33], v[72:73]
	v_fma_f64 v[30:31], v[6:7], v[22:23], -v[30:31]
	v_mul_f64 v[6:7], v[6:7], v[24:25]
	v_add_f64 v[114:115], v[74:75], v[30:31]
	v_fma_f64 v[6:7], v[8:9], v[22:23], v[6:7]
	v_add_f64 v[116:117], v[6:7], v[76:77]
	ds_read_b128 v[6:9], v93 offset:2080
	s_waitcnt lgkmcnt(0)
	v_mul_f64 v[30:31], v[8:9], v[12:13]
	v_mul_f64 v[32:33], v[6:7], v[12:13]
	v_fma_f64 v[30:31], v[6:7], v[10:11], -v[30:31]
	v_fma_f64 v[32:33], v[8:9], v[10:11], v[32:33]
	v_add_f64 v[118:119], v[82:83], v[30:31]
	v_mul_f64 v[30:31], v[8:9], v[16:17]
	v_add_f64 v[120:121], v[32:33], v[84:85]
	v_mul_f64 v[32:33], v[6:7], v[16:17]
	v_fma_f64 v[30:31], v[6:7], v[14:15], -v[30:31]
	v_fma_f64 v[32:33], v[8:9], v[14:15], v[32:33]
	v_add_f64 v[122:123], v[86:87], v[30:31]
	v_mul_f64 v[30:31], v[8:9], v[20:21]
	v_add_f64 v[124:125], v[32:33], v[88:89]
	;; [unrolled: 6-line block ×3, first 2 shown]
	v_fma_f64 v[30:31], v[6:7], v[22:23], -v[30:31]
	v_mul_f64 v[6:7], v[6:7], v[24:25]
	v_add_f64 v[98:99], v[98:99], v[30:31]
	v_fma_f64 v[6:7], v[8:9], v[22:23], v[6:7]
	v_add_f64 v[100:101], v[6:7], v[100:101]
	ds_read_b128 v[6:9], v93 offset:3104
	s_waitcnt lgkmcnt(0)
	v_mul_f64 v[30:31], v[8:9], v[12:13]
	v_mul_f64 v[12:13], v[6:7], v[12:13]
	v_fma_f64 v[30:31], v[6:7], v[10:11], -v[30:31]
	v_fma_f64 v[10:11], v[8:9], v[10:11], v[12:13]
	v_mul_f64 v[12:13], v[6:7], v[16:17]
	v_add_f64 v[86:87], v[58:59], v[30:31]
	v_add_f64 v[88:89], v[10:11], v[60:61]
	v_mul_f64 v[10:11], v[8:9], v[16:17]
	v_fma_f64 v[12:13], v[8:9], v[14:15], v[12:13]
	v_fma_f64 v[10:11], v[6:7], v[14:15], -v[10:11]
	v_add_f64 v[84:85], v[12:13], v[56:57]
	v_mul_f64 v[12:13], v[6:7], v[20:21]
	ds_read_b128 v[14:17], v92 offset:3328
	v_add_f64 v[82:83], v[54:55], v[10:11]
	v_mul_f64 v[10:11], v[8:9], v[20:21]
	v_fma_f64 v[12:13], v[8:9], v[18:19], v[12:13]
	v_fma_f64 v[10:11], v[6:7], v[18:19], -v[10:11]
	ds_read_b128 v[18:21], v92 offset:3072
	v_add_f64 v[80:81], v[12:13], v[52:53]
	v_add_f64 v[78:79], v[50:51], v[10:11]
	v_mul_f64 v[10:11], v[8:9], v[24:25]
	v_fma_f64 v[10:11], v[6:7], v[22:23], -v[10:11]
	v_mul_f64 v[6:7], v[6:7], v[24:25]
	v_add_f64 v[74:75], v[46:47], v[10:11]
	v_fma_f64 v[6:7], v[8:9], v[22:23], v[6:7]
	s_waitcnt lgkmcnt(0)
	v_mul_f64 v[8:9], v[2:3], v[20:21]
	ds_read_b128 v[10:13], v92 offset:3584
	v_add_f64 v[76:77], v[6:7], v[48:49]
	v_mul_f64 v[6:7], v[4:5], v[20:21]
	v_fma_f64 v[8:9], v[4:5], v[18:19], v[8:9]
	v_fma_f64 v[6:7], v[2:3], v[18:19], -v[6:7]
	v_add_f64 v[52:53], v[8:9], v[44:45]
	v_mul_f64 v[8:9], v[2:3], v[16:17]
	v_add_f64 v[48:49], v[42:43], v[6:7]
	v_mul_f64 v[6:7], v[4:5], v[16:17]
	v_fma_f64 v[8:9], v[4:5], v[14:15], v[8:9]
	v_fma_f64 v[6:7], v[2:3], v[14:15], -v[6:7]
	v_add_f64 v[36:37], v[8:9], v[40:41]
	s_waitcnt lgkmcnt(0)
	v_mul_f64 v[8:9], v[2:3], v[12:13]
	v_add_f64 v[34:35], v[38:39], v[6:7]
	v_mul_f64 v[6:7], v[4:5], v[12:13]
	v_fma_f64 v[8:9], v[4:5], v[10:11], v[8:9]
	v_fma_f64 v[6:7], v[2:3], v[10:11], -v[6:7]
	v_add_f64 v[32:33], v[8:9], v[104:105]
	v_add_f64 v[30:31], v[102:103], v[6:7]
	ds_read_b128 v[6:9], v92 offset:3840
	s_waitcnt lgkmcnt(0)
	v_mul_f64 v[22:23], v[4:5], v[8:9]
	v_fma_f64 v[22:23], v[2:3], v[6:7], -v[22:23]
	v_mul_f64 v[2:3], v[2:3], v[8:9]
	v_add_f64 v[22:23], v[106:107], v[22:23]
	v_fma_f64 v[2:3], v[4:5], v[6:7], v[2:3]
	v_add_f64 v[24:25], v[2:3], v[108:109]
	ds_read_b128 v[2:5], v93 offset:1072
	s_waitcnt lgkmcnt(0)
	v_mul_f64 v[38:39], v[4:5], v[20:21]
	v_mul_f64 v[40:41], v[2:3], v[20:21]
	v_fma_f64 v[38:39], v[2:3], v[18:19], -v[38:39]
	v_fma_f64 v[40:41], v[4:5], v[18:19], v[40:41]
	v_add_f64 v[70:71], v[62:63], v[38:39]
	v_mul_f64 v[38:39], v[4:5], v[16:17]
	v_add_f64 v[72:73], v[40:41], v[64:65]
	v_mul_f64 v[40:41], v[2:3], v[16:17]
	v_fma_f64 v[38:39], v[2:3], v[14:15], -v[38:39]
	v_fma_f64 v[40:41], v[4:5], v[14:15], v[40:41]
	v_add_f64 v[62:63], v[66:67], v[38:39]
	v_mul_f64 v[38:39], v[4:5], v[12:13]
	v_add_f64 v[64:65], v[40:41], v[68:69]
	;; [unrolled: 6-line block ×3, first 2 shown]
	v_fma_f64 v[38:39], v[2:3], v[6:7], -v[38:39]
	v_mul_f64 v[2:3], v[2:3], v[8:9]
	v_add_f64 v[42:43], v[114:115], v[38:39]
	v_fma_f64 v[2:3], v[4:5], v[6:7], v[2:3]
	v_add_f64 v[46:47], v[2:3], v[116:117]
	ds_read_b128 v[2:5], v93 offset:2096
	s_waitcnt lgkmcnt(0)
	v_mul_f64 v[38:39], v[4:5], v[20:21]
	v_mul_f64 v[40:41], v[2:3], v[20:21]
	v_fma_f64 v[38:39], v[2:3], v[18:19], -v[38:39]
	v_fma_f64 v[40:41], v[4:5], v[18:19], v[40:41]
	v_add_f64 v[66:67], v[118:119], v[38:39]
	v_mul_f64 v[38:39], v[4:5], v[16:17]
	v_add_f64 v[68:69], v[40:41], v[120:121]
	v_mul_f64 v[40:41], v[2:3], v[16:17]
	v_fma_f64 v[38:39], v[2:3], v[14:15], -v[38:39]
	v_fma_f64 v[40:41], v[4:5], v[14:15], v[40:41]
	v_add_f64 v[56:57], v[122:123], v[38:39]
	v_mul_f64 v[38:39], v[4:5], v[12:13]
	v_add_f64 v[60:61], v[40:41], v[124:125]
	v_mul_f64 v[40:41], v[2:3], v[12:13]
	v_fma_f64 v[38:39], v[2:3], v[10:11], -v[38:39]
	v_fma_f64 v[40:41], v[4:5], v[10:11], v[40:41]
	v_add_f64 v[44:45], v[94:95], v[38:39]
	v_mul_f64 v[38:39], v[4:5], v[8:9]
	v_add_f64 v[50:51], v[40:41], v[96:97]
	v_fma_f64 v[38:39], v[2:3], v[6:7], -v[38:39]
	v_mul_f64 v[2:3], v[2:3], v[8:9]
	v_add_f64 v[38:39], v[98:99], v[38:39]
	v_fma_f64 v[2:3], v[4:5], v[6:7], v[2:3]
	v_add_f64 v[40:41], v[2:3], v[100:101]
	ds_read_b128 v[2:5], v93 offset:3120
	s_waitcnt lgkmcnt(0)
	s_barrier
	buffer_gl0_inv
	v_mul_f64 v[94:95], v[4:5], v[20:21]
	v_mul_f64 v[20:21], v[2:3], v[20:21]
	v_fma_f64 v[94:95], v[2:3], v[18:19], -v[94:95]
	v_fma_f64 v[20:21], v[4:5], v[18:19], v[20:21]
	v_add_f64 v[18:19], v[86:87], v[94:95]
	v_mul_f64 v[86:87], v[4:5], v[16:17]
	v_mul_f64 v[16:17], v[2:3], v[16:17]
	v_add_f64 v[20:21], v[20:21], v[88:89]
	v_fma_f64 v[86:87], v[2:3], v[14:15], -v[86:87]
	v_fma_f64 v[16:17], v[4:5], v[14:15], v[16:17]
	v_add_f64 v[14:15], v[82:83], v[86:87]
	v_mul_f64 v[82:83], v[4:5], v[12:13]
	v_mul_f64 v[12:13], v[2:3], v[12:13]
	v_add_f64 v[16:17], v[16:17], v[84:85]
	v_fma_f64 v[82:83], v[2:3], v[10:11], -v[82:83]
	v_fma_f64 v[12:13], v[4:5], v[10:11], v[12:13]
	v_add_f64 v[10:11], v[78:79], v[82:83]
	v_mul_f64 v[78:79], v[4:5], v[8:9]
	v_add_f64 v[12:13], v[12:13], v[80:81]
	v_fma_f64 v[78:79], v[2:3], v[6:7], -v[78:79]
	v_mul_f64 v[2:3], v[2:3], v[8:9]
	v_add_f64 v[74:75], v[74:75], v[78:79]
	v_fma_f64 v[2:3], v[4:5], v[6:7], v[2:3]
	v_add_f64 v[76:77], v[2:3], v[76:77]
	s_cbranch_vccnz .LBB257_2
	s_branch .LBB257_4
.LBB257_3:
	v_mov_b32_e32 v48, 0
	v_mov_b32_e32 v52, 0
	;; [unrolled: 1-line block ×64, first 2 shown]
.LBB257_4:
	s_load_dwordx2 s[4:5], s[4:5], 0x90
	v_cmp_neq_f64_e64 s10, s[14:15], 0
	v_cmp_neq_f64_e64 s11, s[16:17], 0
	v_add_co_u32 v6, s8, s8, v1
	v_add_co_ci_u32_e64 v7, null, s9, 0, s8
	s_waitcnt lgkmcnt(0)
	s_lshl_b64 s[4:5], s[4:5], 4
	s_add_u32 s4, s2, s4
	s_addc_u32 s5, s3, s5
	v_add_co_u32 v0, s3, s6, v0
	v_add_co_ci_u32_e64 v1, null, s7, 0, s3
	s_or_b32 s2, s10, s11
	s_and_b32 vcc_lo, exec_lo, s2
	s_cbranch_vccnz .LBB257_6
; %bb.5:
	v_mul_f64 v[4:5], s[40:41], v[52:53]
	v_mul_f64 v[8:9], s[38:39], v[52:53]
	v_mul_lo_u32 v78, v7, s26
	v_mul_lo_u32 v79, v6, s27
	v_mad_u64_u32 v[2:3], null, v6, s26, 0
	v_mul_f64 v[26:27], s[40:41], v[36:37]
	v_mul_f64 v[28:29], s[38:39], v[36:37]
	;; [unrolled: 1-line block ×6, first 2 shown]
	v_add3_u32 v3, v3, v79, v78
	v_mul_f64 v[78:79], s[40:41], v[32:33]
	v_mul_f64 v[88:89], s[38:39], v[72:73]
	;; [unrolled: 1-line block ×4, first 2 shown]
	v_lshlrev_b64 v[2:3], 4, v[2:3]
	v_mul_f64 v[94:95], s[40:41], v[58:59]
	v_mul_f64 v[96:97], s[38:39], v[58:59]
	;; [unrolled: 1-line block ×4, first 2 shown]
	s_lshl_b64 s[2:3], s[26:27], 8
	v_add_co_u32 v104, vcc_lo, s4, v2
	v_add_co_ci_u32_e64 v105, null, s5, v3, vcc_lo
	v_fma_f64 v[2:3], s[38:39], v[48:49], -v[4:5]
	v_fma_f64 v[4:5], s[40:41], v[48:49], v[8:9]
	v_lshlrev_b64 v[8:9], 4, v[0:1]
	v_fma_f64 v[26:27], s[38:39], v[34:35], -v[26:27]
	v_fma_f64 v[28:29], s[40:41], v[34:35], v[28:29]
	v_fma_f64 v[80:81], s[40:41], v[30:31], v[80:81]
	v_fma_f64 v[82:83], s[38:39], v[22:23], -v[82:83]
	v_fma_f64 v[84:85], s[40:41], v[22:23], v[84:85]
	v_add_co_u32 v102, vcc_lo, v104, v8
	v_fma_f64 v[78:79], s[38:39], v[30:31], -v[78:79]
	v_add_co_ci_u32_e64 v103, null, v105, v9, vcc_lo
	v_fma_f64 v[86:87], s[38:39], v[70:71], -v[86:87]
	v_fma_f64 v[88:89], s[40:41], v[70:71], v[88:89]
	v_fma_f64 v[90:91], s[38:39], v[62:63], -v[90:91]
	v_fma_f64 v[92:93], s[40:41], v[62:63], v[92:93]
	;; [unrolled: 2-line block ×3, first 2 shown]
	v_add_co_u32 v106, vcc_lo, v104, s2
	v_add_co_ci_u32_e64 v107, null, s3, v105, vcc_lo
	flat_store_dwordx4 v[102:103], v[2:5]
	v_fma_f64 v[2:3], s[38:39], v[42:43], -v[98:99]
	v_fma_f64 v[4:5], s[40:41], v[42:43], v[100:101]
	v_add_co_u32 v104, vcc_lo, v106, v8
	v_add_co_ci_u32_e64 v105, null, v107, v9, vcc_lo
	flat_store_dwordx4 v[102:103], v[26:29] offset:256
	flat_store_dwordx4 v[102:103], v[78:81] offset:512
	;; [unrolled: 1-line block ×3, first 2 shown]
	flat_store_dwordx4 v[104:105], v[86:89]
	flat_store_dwordx4 v[104:105], v[90:93] offset:256
	flat_store_dwordx4 v[104:105], v[94:97] offset:512
	v_mul_f64 v[26:27], s[40:41], v[68:69]
	v_mul_f64 v[28:29], s[38:39], v[68:69]
	;; [unrolled: 1-line block ×12, first 2 shown]
	flat_store_dwordx4 v[104:105], v[2:5] offset:768
	v_mul_f64 v[2:3], s[40:41], v[76:77]
	v_mul_f64 v[4:5], s[38:39], v[76:77]
	v_mul_f64 v[98:99], s[40:41], v[12:13]
	v_mul_f64 v[100:101], s[38:39], v[12:13]
	v_add_co_u32 v104, vcc_lo, v106, s2
	v_add_co_ci_u32_e64 v105, null, s3, v107, vcc_lo
	v_fma_f64 v[26:27], s[38:39], v[66:67], -v[26:27]
	v_fma_f64 v[28:29], s[40:41], v[66:67], v[28:29]
	v_fma_f64 v[78:79], s[38:39], v[56:57], -v[78:79]
	v_fma_f64 v[80:81], s[40:41], v[56:57], v[80:81]
	v_fma_f64 v[82:83], s[38:39], v[44:45], -v[82:83]
	v_fma_f64 v[84:85], s[40:41], v[44:45], v[84:85]
	v_fma_f64 v[86:87], s[38:39], v[38:39], -v[86:87]
	v_fma_f64 v[88:89], s[40:41], v[38:39], v[88:89]
	v_fma_f64 v[90:91], s[38:39], v[18:19], -v[90:91]
	v_fma_f64 v[92:93], s[40:41], v[18:19], v[92:93]
	v_fma_f64 v[94:95], s[38:39], v[14:15], -v[94:95]
	v_fma_f64 v[96:97], s[40:41], v[14:15], v[96:97]
	v_add_co_u32 v106, vcc_lo, v104, s2
	v_fma_f64 v[102:103], s[38:39], v[74:75], -v[2:3]
	v_fma_f64 v[2:3], s[40:41], v[74:75], v[4:5]
	v_fma_f64 v[98:99], s[38:39], v[10:11], -v[98:99]
	v_fma_f64 v[100:101], s[40:41], v[10:11], v[100:101]
	v_add_co_ci_u32_e64 v107, null, s3, v105, vcc_lo
	v_add_co_u32 v4, vcc_lo, v104, v8
	v_add_co_ci_u32_e64 v5, null, v105, v9, vcc_lo
	v_add_co_u32 v8, vcc_lo, v106, v8
	v_add_co_ci_u32_e64 v9, null, v107, v9, vcc_lo
	flat_store_dwordx4 v[4:5], v[26:29]
	flat_store_dwordx4 v[4:5], v[78:81] offset:256
	flat_store_dwordx4 v[4:5], v[82:85] offset:512
	flat_store_dwordx4 v[4:5], v[86:89] offset:768
	flat_store_dwordx4 v[8:9], v[90:93]
	v_add_co_u32 v4, vcc_lo, 0x300, v8
	v_add_co_ci_u32_e64 v5, null, 0, v9, vcc_lo
	flat_store_dwordx4 v[8:9], v[94:97] offset:256
	flat_store_dwordx4 v[8:9], v[98:101] offset:512
	flat_store_dwordx2 v[8:9], v[102:103] offset:768
	s_cbranch_execz .LBB257_7
	s_branch .LBB257_8
.LBB257_6:
                                        ; implicit-def: $vgpr2_vgpr3
                                        ; implicit-def: $vgpr4_vgpr5
.LBB257_7:
	v_mul_lo_u32 v4, v7, s20
	v_mul_lo_u32 v5, v6, s21
	v_mad_u64_u32 v[2:3], null, v6, s20, 0
	s_lshl_b64 s[2:3], s[22:23], 4
	v_mul_f64 v[26:27], s[40:41], v[52:53]
	s_add_u32 s0, s0, s2
	s_addc_u32 s1, s1, s3
	v_mul_f64 v[28:29], s[38:39], v[52:53]
	s_lshl_b64 s[2:3], s[26:27], 8
	v_add3_u32 v3, v3, v5, v4
	v_lshlrev_b64 v[4:5], 4, v[0:1]
	v_lshlrev_b64 v[2:3], 4, v[2:3]
	v_add_co_u32 v78, vcc_lo, s0, v2
	v_add_co_ci_u32_e64 v79, null, s1, v3, vcc_lo
	s_lshl_b64 s[0:1], s[20:21], 8
	v_add_co_u32 v8, vcc_lo, v78, v4
	v_add_co_ci_u32_e64 v9, null, v79, v5, vcc_lo
	v_fma_f64 v[26:27], s[38:39], v[48:49], -v[26:27]
	v_fma_f64 v[28:29], s[40:41], v[48:49], v[28:29]
	flat_load_dwordx4 v[0:3], v[8:9]
	s_waitcnt vmcnt(0) lgkmcnt(0)
	v_mul_f64 v[52:53], s[16:17], v[2:3]
	v_mul_f64 v[2:3], s[14:15], v[2:3]
	v_fma_f64 v[48:49], s[14:15], v[0:1], -v[52:53]
	v_fma_f64 v[2:3], s[16:17], v[0:1], v[2:3]
	v_mul_lo_u32 v0, v7, s26
	v_mul_lo_u32 v1, v6, s27
	v_mad_u64_u32 v[6:7], null, v6, s26, 0
	v_add3_u32 v7, v7, v1, v0
	v_lshlrev_b64 v[6:7], 4, v[6:7]
	v_add_f64 v[0:1], v[26:27], v[48:49]
	v_add_f64 v[2:3], v[28:29], v[2:3]
	v_add_co_u32 v48, vcc_lo, s4, v6
	v_add_co_ci_u32_e64 v49, null, s5, v7, vcc_lo
	v_mul_f64 v[26:27], s[40:41], v[36:37]
	v_add_co_u32 v6, vcc_lo, v48, v4
	v_add_co_ci_u32_e64 v7, null, v49, v5, vcc_lo
	v_mul_f64 v[28:29], s[38:39], v[36:37]
	flat_store_dwordx4 v[6:7], v[0:3]
	flat_load_dwordx4 v[0:3], v[8:9] offset:256
	v_fma_f64 v[26:27], s[38:39], v[34:35], -v[26:27]
	v_fma_f64 v[28:29], s[40:41], v[34:35], v[28:29]
	s_waitcnt vmcnt(0) lgkmcnt(0)
	v_mul_f64 v[36:37], s[16:17], v[2:3]
	v_mul_f64 v[2:3], s[14:15], v[2:3]
	v_fma_f64 v[34:35], s[14:15], v[0:1], -v[36:37]
	v_fma_f64 v[2:3], s[16:17], v[0:1], v[2:3]
	v_add_f64 v[0:1], v[26:27], v[34:35]
	v_add_f64 v[2:3], v[28:29], v[2:3]
	v_mul_f64 v[26:27], s[40:41], v[32:33]
	v_mul_f64 v[28:29], s[38:39], v[32:33]
	flat_store_dwordx4 v[6:7], v[0:3] offset:256
	flat_load_dwordx4 v[0:3], v[8:9] offset:512
	v_fma_f64 v[26:27], s[38:39], v[30:31], -v[26:27]
	v_fma_f64 v[28:29], s[40:41], v[30:31], v[28:29]
	s_waitcnt vmcnt(0) lgkmcnt(0)
	v_mul_f64 v[32:33], s[16:17], v[2:3]
	v_mul_f64 v[2:3], s[14:15], v[2:3]
	v_fma_f64 v[30:31], s[14:15], v[0:1], -v[32:33]
	v_fma_f64 v[2:3], s[16:17], v[0:1], v[2:3]
	v_add_f64 v[0:1], v[26:27], v[30:31]
	v_add_f64 v[2:3], v[28:29], v[2:3]
	v_add_co_u32 v28, vcc_lo, v78, s0
	v_add_co_ci_u32_e64 v29, null, s1, v79, vcc_lo
	flat_store_dwordx4 v[6:7], v[0:3] offset:512
	flat_load_dwordx4 v[0:3], v[8:9] offset:768
	v_mul_f64 v[8:9], s[40:41], v[24:25]
	v_mul_f64 v[24:25], s[38:39], v[24:25]
	v_fma_f64 v[8:9], s[38:39], v[22:23], -v[8:9]
	v_fma_f64 v[22:23], s[40:41], v[22:23], v[24:25]
	s_waitcnt vmcnt(0) lgkmcnt(0)
	v_mul_f64 v[26:27], s[16:17], v[2:3]
	v_mul_f64 v[2:3], s[14:15], v[2:3]
	v_fma_f64 v[24:25], s[14:15], v[0:1], -v[26:27]
	v_fma_f64 v[2:3], s[16:17], v[0:1], v[2:3]
	v_add_f64 v[0:1], v[8:9], v[24:25]
	v_add_f64 v[2:3], v[22:23], v[2:3]
	v_add_co_u32 v8, vcc_lo, v28, v4
	v_add_co_ci_u32_e64 v9, null, v29, v5, vcc_lo
	v_mul_f64 v[22:23], s[38:39], v[72:73]
	v_add_co_u32 v30, vcc_lo, v48, s2
	v_add_co_ci_u32_e64 v31, null, s3, v49, vcc_lo
	flat_store_dwordx4 v[6:7], v[0:3] offset:768
	flat_load_dwordx4 v[0:3], v[8:9]
	v_mul_f64 v[6:7], s[40:41], v[72:73]
	v_fma_f64 v[22:23], s[40:41], v[70:71], v[22:23]
	v_fma_f64 v[6:7], s[38:39], v[70:71], -v[6:7]
	s_waitcnt vmcnt(0) lgkmcnt(0)
	v_mul_f64 v[24:25], s[16:17], v[2:3]
	v_mul_f64 v[2:3], s[14:15], v[2:3]
	v_fma_f64 v[24:25], s[14:15], v[0:1], -v[24:25]
	v_fma_f64 v[2:3], s[16:17], v[0:1], v[2:3]
	v_add_f64 v[0:1], v[6:7], v[24:25]
	v_add_f64 v[2:3], v[22:23], v[2:3]
	v_add_co_u32 v6, vcc_lo, v30, v4
	v_add_co_ci_u32_e64 v7, null, v31, v5, vcc_lo
	v_mul_f64 v[22:23], s[40:41], v[64:65]
	v_mul_f64 v[24:25], s[38:39], v[64:65]
	v_add_co_u32 v28, vcc_lo, v28, s0
	v_add_co_ci_u32_e64 v29, null, s1, v29, vcc_lo
	flat_store_dwordx4 v[6:7], v[0:3]
	flat_load_dwordx4 v[0:3], v[8:9] offset:256
	v_fma_f64 v[22:23], s[38:39], v[62:63], -v[22:23]
	v_fma_f64 v[24:25], s[40:41], v[62:63], v[24:25]
	s_waitcnt vmcnt(0) lgkmcnt(0)
	v_mul_f64 v[26:27], s[16:17], v[2:3]
	v_mul_f64 v[2:3], s[14:15], v[2:3]
	v_fma_f64 v[26:27], s[14:15], v[0:1], -v[26:27]
	v_fma_f64 v[2:3], s[16:17], v[0:1], v[2:3]
	v_add_f64 v[0:1], v[22:23], v[26:27]
	v_add_f64 v[2:3], v[24:25], v[2:3]
	v_mul_f64 v[22:23], s[40:41], v[58:59]
	v_mul_f64 v[24:25], s[38:39], v[58:59]
	flat_store_dwordx4 v[6:7], v[0:3] offset:256
	flat_load_dwordx4 v[0:3], v[8:9] offset:512
	v_fma_f64 v[22:23], s[38:39], v[54:55], -v[22:23]
	v_fma_f64 v[24:25], s[40:41], v[54:55], v[24:25]
	s_waitcnt vmcnt(0) lgkmcnt(0)
	v_mul_f64 v[26:27], s[16:17], v[2:3]
	v_mul_f64 v[2:3], s[14:15], v[2:3]
	v_fma_f64 v[26:27], s[14:15], v[0:1], -v[26:27]
	v_fma_f64 v[2:3], s[16:17], v[0:1], v[2:3]
	v_add_f64 v[0:1], v[22:23], v[26:27]
	v_add_f64 v[2:3], v[24:25], v[2:3]
	v_mul_f64 v[22:23], s[38:39], v[46:47]
	flat_store_dwordx4 v[6:7], v[0:3] offset:512
	flat_load_dwordx4 v[0:3], v[8:9] offset:768
	v_mul_f64 v[8:9], s[40:41], v[46:47]
	v_fma_f64 v[22:23], s[40:41], v[42:43], v[22:23]
	v_fma_f64 v[8:9], s[38:39], v[42:43], -v[8:9]
	s_waitcnt vmcnt(0) lgkmcnt(0)
	v_mul_f64 v[24:25], s[16:17], v[2:3]
	v_mul_f64 v[2:3], s[14:15], v[2:3]
	v_fma_f64 v[24:25], s[14:15], v[0:1], -v[24:25]
	v_fma_f64 v[2:3], s[16:17], v[0:1], v[2:3]
	v_add_f64 v[0:1], v[8:9], v[24:25]
	v_add_f64 v[2:3], v[22:23], v[2:3]
	v_add_co_u32 v8, vcc_lo, v28, v4
	v_add_co_ci_u32_e64 v9, null, v29, v5, vcc_lo
	v_mul_f64 v[22:23], s[38:39], v[68:69]
	v_add_co_u32 v30, vcc_lo, v30, s2
	v_add_co_ci_u32_e64 v31, null, s3, v31, vcc_lo
	flat_store_dwordx4 v[6:7], v[0:3] offset:768
	flat_load_dwordx4 v[0:3], v[8:9]
	v_mul_f64 v[6:7], s[40:41], v[68:69]
	v_fma_f64 v[22:23], s[40:41], v[66:67], v[22:23]
	v_fma_f64 v[6:7], s[38:39], v[66:67], -v[6:7]
	s_waitcnt vmcnt(0) lgkmcnt(0)
	v_mul_f64 v[24:25], s[16:17], v[2:3]
	v_mul_f64 v[2:3], s[14:15], v[2:3]
	v_fma_f64 v[24:25], s[14:15], v[0:1], -v[24:25]
	v_fma_f64 v[2:3], s[16:17], v[0:1], v[2:3]
	v_add_f64 v[0:1], v[6:7], v[24:25]
	v_add_f64 v[2:3], v[22:23], v[2:3]
	v_add_co_u32 v6, vcc_lo, v30, v4
	v_add_co_ci_u32_e64 v7, null, v31, v5, vcc_lo
	v_mul_f64 v[22:23], s[40:41], v[60:61]
	v_mul_f64 v[24:25], s[38:39], v[60:61]
	flat_store_dwordx4 v[6:7], v[0:3]
	flat_load_dwordx4 v[0:3], v[8:9] offset:256
	v_fma_f64 v[22:23], s[38:39], v[56:57], -v[22:23]
	v_fma_f64 v[24:25], s[40:41], v[56:57], v[24:25]
	s_waitcnt vmcnt(0) lgkmcnt(0)
	v_mul_f64 v[26:27], s[16:17], v[2:3]
	v_mul_f64 v[2:3], s[14:15], v[2:3]
	v_fma_f64 v[26:27], s[14:15], v[0:1], -v[26:27]
	v_fma_f64 v[2:3], s[16:17], v[0:1], v[2:3]
	v_add_f64 v[0:1], v[22:23], v[26:27]
	v_add_f64 v[2:3], v[24:25], v[2:3]
	v_mul_f64 v[22:23], s[40:41], v[50:51]
	v_mul_f64 v[24:25], s[38:39], v[50:51]
	flat_store_dwordx4 v[6:7], v[0:3] offset:256
	flat_load_dwordx4 v[0:3], v[8:9] offset:512
	v_fma_f64 v[22:23], s[38:39], v[44:45], -v[22:23]
	v_fma_f64 v[24:25], s[40:41], v[44:45], v[24:25]
	s_waitcnt vmcnt(0) lgkmcnt(0)
	v_mul_f64 v[26:27], s[16:17], v[2:3]
	v_mul_f64 v[2:3], s[14:15], v[2:3]
	v_fma_f64 v[26:27], s[14:15], v[0:1], -v[26:27]
	v_fma_f64 v[2:3], s[16:17], v[0:1], v[2:3]
	v_add_f64 v[0:1], v[22:23], v[26:27]
	v_add_f64 v[2:3], v[24:25], v[2:3]
	v_mul_f64 v[22:23], s[38:39], v[40:41]
	flat_store_dwordx4 v[6:7], v[0:3] offset:512
	flat_load_dwordx4 v[0:3], v[8:9] offset:768
	v_mul_f64 v[8:9], s[40:41], v[40:41]
	v_fma_f64 v[22:23], s[40:41], v[38:39], v[22:23]
	v_fma_f64 v[8:9], s[38:39], v[38:39], -v[8:9]
	s_waitcnt vmcnt(0) lgkmcnt(0)
	v_mul_f64 v[24:25], s[16:17], v[2:3]
	v_mul_f64 v[2:3], s[14:15], v[2:3]
	v_fma_f64 v[24:25], s[14:15], v[0:1], -v[24:25]
	v_fma_f64 v[2:3], s[16:17], v[0:1], v[2:3]
	v_add_f64 v[0:1], v[8:9], v[24:25]
	v_add_f64 v[2:3], v[22:23], v[2:3]
	v_add_co_u32 v8, vcc_lo, v28, s0
	v_add_co_ci_u32_e64 v9, null, s1, v29, vcc_lo
	v_add_co_u32 v8, vcc_lo, v8, v4
	v_add_co_ci_u32_e64 v9, null, v9, v5, vcc_lo
	flat_store_dwordx4 v[6:7], v[0:3] offset:768
	flat_load_dwordx4 v[0:3], v[8:9]
	v_mul_f64 v[6:7], s[40:41], v[20:21]
	v_mul_f64 v[20:21], s[38:39], v[20:21]
	v_fma_f64 v[6:7], s[38:39], v[18:19], -v[6:7]
	v_fma_f64 v[18:19], s[40:41], v[18:19], v[20:21]
	s_waitcnt vmcnt(0) lgkmcnt(0)
	v_mul_f64 v[22:23], s[16:17], v[2:3]
	v_mul_f64 v[2:3], s[14:15], v[2:3]
	v_fma_f64 v[20:21], s[14:15], v[0:1], -v[22:23]
	v_fma_f64 v[2:3], s[16:17], v[0:1], v[2:3]
	v_add_f64 v[0:1], v[6:7], v[20:21]
	v_add_f64 v[2:3], v[18:19], v[2:3]
	v_add_co_u32 v6, vcc_lo, v30, s2
	v_add_co_ci_u32_e64 v7, null, s3, v31, vcc_lo
	v_add_co_u32 v6, vcc_lo, v6, v4
	v_add_co_ci_u32_e64 v7, null, v7, v5, vcc_lo
	v_mul_f64 v[4:5], s[40:41], v[16:17]
	v_mul_f64 v[16:17], s[38:39], v[16:17]
	flat_store_dwordx4 v[6:7], v[0:3]
	flat_load_dwordx4 v[0:3], v[8:9] offset:256
	v_fma_f64 v[4:5], s[38:39], v[14:15], -v[4:5]
	v_fma_f64 v[14:15], s[40:41], v[14:15], v[16:17]
	s_waitcnt vmcnt(0) lgkmcnt(0)
	v_mul_f64 v[18:19], s[16:17], v[2:3]
	v_mul_f64 v[2:3], s[14:15], v[2:3]
	v_fma_f64 v[16:17], s[14:15], v[0:1], -v[18:19]
	v_fma_f64 v[2:3], s[16:17], v[0:1], v[2:3]
	v_add_f64 v[0:1], v[4:5], v[16:17]
	v_add_f64 v[2:3], v[14:15], v[2:3]
	v_mul_f64 v[4:5], s[40:41], v[12:13]
	v_mul_f64 v[12:13], s[38:39], v[12:13]
	flat_store_dwordx4 v[6:7], v[0:3] offset:256
	flat_load_dwordx4 v[0:3], v[8:9] offset:512
	v_fma_f64 v[4:5], s[38:39], v[10:11], -v[4:5]
	v_fma_f64 v[10:11], s[40:41], v[10:11], v[12:13]
	s_waitcnt vmcnt(0) lgkmcnt(0)
	v_mul_f64 v[14:15], s[16:17], v[2:3]
	v_mul_f64 v[2:3], s[14:15], v[2:3]
	v_fma_f64 v[12:13], s[14:15], v[0:1], -v[14:15]
	v_fma_f64 v[2:3], s[16:17], v[0:1], v[2:3]
	v_add_f64 v[0:1], v[4:5], v[12:13]
	v_add_f64 v[2:3], v[10:11], v[2:3]
	v_mul_f64 v[4:5], s[40:41], v[76:77]
	flat_store_dwordx4 v[6:7], v[0:3] offset:512
	flat_load_dwordx4 v[0:3], v[8:9] offset:768
	v_mul_f64 v[8:9], s[38:39], v[76:77]
	v_fma_f64 v[4:5], s[38:39], v[74:75], -v[4:5]
	v_fma_f64 v[8:9], s[40:41], v[74:75], v[8:9]
	s_waitcnt vmcnt(0) lgkmcnt(0)
	v_mul_f64 v[10:11], s[16:17], v[2:3]
	v_mul_f64 v[2:3], s[14:15], v[2:3]
	v_fma_f64 v[10:11], s[14:15], v[0:1], -v[10:11]
	v_fma_f64 v[0:1], s[16:17], v[0:1], v[2:3]
	v_add_f64 v[10:11], v[4:5], v[10:11]
	v_add_f64 v[2:3], v[8:9], v[0:1]
	v_add_co_u32 v4, vcc_lo, 0x300, v6
	v_add_co_ci_u32_e64 v5, null, 0, v7, vcc_lo
	flat_store_dwordx2 v[6:7], v[10:11] offset:768
.LBB257_8:
	flat_store_dwordx2 v[4:5], v[2:3] offset:8
	s_endpgm
	.section	.rodata,"a",@progbits
	.p2align	6, 0x0
	.amdhsa_kernel _ZN12_GLOBAL__N_127rocblas_gemm_batched_kernelI19rocblas_complex_numIdELi16ELi16ELi64ELi64ELi4ELi64ELi4ELi4ELi64ELc67ELc84EKPKS2_S5_KPS2_EEvlllT_PT11_llSA_llS8_PT12_llPT13_lli
		.amdhsa_group_segment_fixed_size 8192
		.amdhsa_private_segment_fixed_size 0
		.amdhsa_kernarg_size 156
		.amdhsa_user_sgpr_count 6
		.amdhsa_user_sgpr_private_segment_buffer 1
		.amdhsa_user_sgpr_dispatch_ptr 0
		.amdhsa_user_sgpr_queue_ptr 0
		.amdhsa_user_sgpr_kernarg_segment_ptr 1
		.amdhsa_user_sgpr_dispatch_id 0
		.amdhsa_user_sgpr_flat_scratch_init 0
		.amdhsa_user_sgpr_private_segment_size 0
		.amdhsa_wavefront_size32 1
		.amdhsa_uses_dynamic_stack 0
		.amdhsa_system_sgpr_private_segment_wavefront_offset 0
		.amdhsa_system_sgpr_workgroup_id_x 1
		.amdhsa_system_sgpr_workgroup_id_y 1
		.amdhsa_system_sgpr_workgroup_id_z 1
		.amdhsa_system_sgpr_workgroup_info 0
		.amdhsa_system_vgpr_workitem_id 1
		.amdhsa_next_free_vgpr 138
		.amdhsa_next_free_sgpr 52
		.amdhsa_reserve_vcc 1
		.amdhsa_reserve_flat_scratch 0
		.amdhsa_float_round_mode_32 0
		.amdhsa_float_round_mode_16_64 0
		.amdhsa_float_denorm_mode_32 3
		.amdhsa_float_denorm_mode_16_64 3
		.amdhsa_dx10_clamp 1
		.amdhsa_ieee_mode 1
		.amdhsa_fp16_overflow 0
		.amdhsa_workgroup_processor_mode 1
		.amdhsa_memory_ordered 1
		.amdhsa_forward_progress 1
		.amdhsa_shared_vgpr_count 0
		.amdhsa_exception_fp_ieee_invalid_op 0
		.amdhsa_exception_fp_denorm_src 0
		.amdhsa_exception_fp_ieee_div_zero 0
		.amdhsa_exception_fp_ieee_overflow 0
		.amdhsa_exception_fp_ieee_underflow 0
		.amdhsa_exception_fp_ieee_inexact 0
		.amdhsa_exception_int_div_zero 0
	.end_amdhsa_kernel
	.section	.text._ZN12_GLOBAL__N_127rocblas_gemm_batched_kernelI19rocblas_complex_numIdELi16ELi16ELi64ELi64ELi4ELi64ELi4ELi4ELi64ELc67ELc84EKPKS2_S5_KPS2_EEvlllT_PT11_llSA_llS8_PT12_llPT13_lli,"axG",@progbits,_ZN12_GLOBAL__N_127rocblas_gemm_batched_kernelI19rocblas_complex_numIdELi16ELi16ELi64ELi64ELi4ELi64ELi4ELi4ELi64ELc67ELc84EKPKS2_S5_KPS2_EEvlllT_PT11_llSA_llS8_PT12_llPT13_lli,comdat
.Lfunc_end257:
	.size	_ZN12_GLOBAL__N_127rocblas_gemm_batched_kernelI19rocblas_complex_numIdELi16ELi16ELi64ELi64ELi4ELi64ELi4ELi4ELi64ELc67ELc84EKPKS2_S5_KPS2_EEvlllT_PT11_llSA_llS8_PT12_llPT13_lli, .Lfunc_end257-_ZN12_GLOBAL__N_127rocblas_gemm_batched_kernelI19rocblas_complex_numIdELi16ELi16ELi64ELi64ELi4ELi64ELi4ELi4ELi64ELc67ELc84EKPKS2_S5_KPS2_EEvlllT_PT11_llSA_llS8_PT12_llPT13_lli
                                        ; -- End function
	.set _ZN12_GLOBAL__N_127rocblas_gemm_batched_kernelI19rocblas_complex_numIdELi16ELi16ELi64ELi64ELi4ELi64ELi4ELi4ELi64ELc67ELc84EKPKS2_S5_KPS2_EEvlllT_PT11_llSA_llS8_PT12_llPT13_lli.num_vgpr, 138
	.set _ZN12_GLOBAL__N_127rocblas_gemm_batched_kernelI19rocblas_complex_numIdELi16ELi16ELi64ELi64ELi4ELi64ELi4ELi4ELi64ELc67ELc84EKPKS2_S5_KPS2_EEvlllT_PT11_llSA_llS8_PT12_llPT13_lli.num_agpr, 0
	.set _ZN12_GLOBAL__N_127rocblas_gemm_batched_kernelI19rocblas_complex_numIdELi16ELi16ELi64ELi64ELi4ELi64ELi4ELi4ELi64ELc67ELc84EKPKS2_S5_KPS2_EEvlllT_PT11_llSA_llS8_PT12_llPT13_lli.numbered_sgpr, 52
	.set _ZN12_GLOBAL__N_127rocblas_gemm_batched_kernelI19rocblas_complex_numIdELi16ELi16ELi64ELi64ELi4ELi64ELi4ELi4ELi64ELc67ELc84EKPKS2_S5_KPS2_EEvlllT_PT11_llSA_llS8_PT12_llPT13_lli.num_named_barrier, 0
	.set _ZN12_GLOBAL__N_127rocblas_gemm_batched_kernelI19rocblas_complex_numIdELi16ELi16ELi64ELi64ELi4ELi64ELi4ELi4ELi64ELc67ELc84EKPKS2_S5_KPS2_EEvlllT_PT11_llSA_llS8_PT12_llPT13_lli.private_seg_size, 0
	.set _ZN12_GLOBAL__N_127rocblas_gemm_batched_kernelI19rocblas_complex_numIdELi16ELi16ELi64ELi64ELi4ELi64ELi4ELi4ELi64ELc67ELc84EKPKS2_S5_KPS2_EEvlllT_PT11_llSA_llS8_PT12_llPT13_lli.uses_vcc, 1
	.set _ZN12_GLOBAL__N_127rocblas_gemm_batched_kernelI19rocblas_complex_numIdELi16ELi16ELi64ELi64ELi4ELi64ELi4ELi4ELi64ELc67ELc84EKPKS2_S5_KPS2_EEvlllT_PT11_llSA_llS8_PT12_llPT13_lli.uses_flat_scratch, 0
	.set _ZN12_GLOBAL__N_127rocblas_gemm_batched_kernelI19rocblas_complex_numIdELi16ELi16ELi64ELi64ELi4ELi64ELi4ELi4ELi64ELc67ELc84EKPKS2_S5_KPS2_EEvlllT_PT11_llSA_llS8_PT12_llPT13_lli.has_dyn_sized_stack, 0
	.set _ZN12_GLOBAL__N_127rocblas_gemm_batched_kernelI19rocblas_complex_numIdELi16ELi16ELi64ELi64ELi4ELi64ELi4ELi4ELi64ELc67ELc84EKPKS2_S5_KPS2_EEvlllT_PT11_llSA_llS8_PT12_llPT13_lli.has_recursion, 0
	.set _ZN12_GLOBAL__N_127rocblas_gemm_batched_kernelI19rocblas_complex_numIdELi16ELi16ELi64ELi64ELi4ELi64ELi4ELi4ELi64ELc67ELc84EKPKS2_S5_KPS2_EEvlllT_PT11_llSA_llS8_PT12_llPT13_lli.has_indirect_call, 0
	.section	.AMDGPU.csdata,"",@progbits
; Kernel info:
; codeLenInByte = 7404
; TotalNumSgprs: 54
; NumVgprs: 138
; ScratchSize: 0
; MemoryBound: 0
; FloatMode: 240
; IeeeMode: 1
; LDSByteSize: 8192 bytes/workgroup (compile time only)
; SGPRBlocks: 0
; VGPRBlocks: 17
; NumSGPRsForWavesPerEU: 54
; NumVGPRsForWavesPerEU: 138
; Occupancy: 7
; WaveLimiterHint : 1
; COMPUTE_PGM_RSRC2:SCRATCH_EN: 0
; COMPUTE_PGM_RSRC2:USER_SGPR: 6
; COMPUTE_PGM_RSRC2:TRAP_HANDLER: 0
; COMPUTE_PGM_RSRC2:TGID_X_EN: 1
; COMPUTE_PGM_RSRC2:TGID_Y_EN: 1
; COMPUTE_PGM_RSRC2:TGID_Z_EN: 1
; COMPUTE_PGM_RSRC2:TIDIG_COMP_CNT: 1
	.section	.text._ZN12_GLOBAL__N_127rocblas_gemm_batched_kernelI19rocblas_complex_numIdELi16ELi16ELi64ELi64ELi4ELi64ELi4ELi4ELi64ELc78ELc67EKPKS2_S5_KPS2_EEvlllT_PT11_llSA_llS8_PT12_llPT13_lli,"axG",@progbits,_ZN12_GLOBAL__N_127rocblas_gemm_batched_kernelI19rocblas_complex_numIdELi16ELi16ELi64ELi64ELi4ELi64ELi4ELi4ELi64ELc78ELc67EKPKS2_S5_KPS2_EEvlllT_PT11_llSA_llS8_PT12_llPT13_lli,comdat
	.globl	_ZN12_GLOBAL__N_127rocblas_gemm_batched_kernelI19rocblas_complex_numIdELi16ELi16ELi64ELi64ELi4ELi64ELi4ELi4ELi64ELc78ELc67EKPKS2_S5_KPS2_EEvlllT_PT11_llSA_llS8_PT12_llPT13_lli ; -- Begin function _ZN12_GLOBAL__N_127rocblas_gemm_batched_kernelI19rocblas_complex_numIdELi16ELi16ELi64ELi64ELi4ELi64ELi4ELi4ELi64ELc78ELc67EKPKS2_S5_KPS2_EEvlllT_PT11_llSA_llS8_PT12_llPT13_lli
	.p2align	8
	.type	_ZN12_GLOBAL__N_127rocblas_gemm_batched_kernelI19rocblas_complex_numIdELi16ELi16ELi64ELi64ELi4ELi64ELi4ELi4ELi64ELc78ELc67EKPKS2_S5_KPS2_EEvlllT_PT11_llSA_llS8_PT12_llPT13_lli,@function
_ZN12_GLOBAL__N_127rocblas_gemm_batched_kernelI19rocblas_complex_numIdELi16ELi16ELi64ELi64ELi4ELi64ELi4ELi4ELi64ELc78ELc67EKPKS2_S5_KPS2_EEvlllT_PT11_llSA_llS8_PT12_llPT13_lli: ; @_ZN12_GLOBAL__N_127rocblas_gemm_batched_kernelI19rocblas_complex_numIdELi16ELi16ELi64ELi64ELi4ELi64ELi4ELi4ELi64ELc78ELc67EKPKS2_S5_KPS2_EEvlllT_PT11_llSA_llS8_PT12_llPT13_lli
; %bb.0:
	s_clause 0x1
	s_load_dwordx16 s[12:27], s[4:5], 0x50
	s_load_dwordx16 s[36:51], s[4:5], 0x10
	s_mov_b32 s9, 0
	s_mov_b32 s28, s7
	s_lshl_b64 s[10:11], s[8:9], 3
	s_waitcnt lgkmcnt(0)
	s_add_u32 s0, s18, s10
	s_addc_u32 s1, s19, s11
	s_add_u32 s2, s24, s10
	s_addc_u32 s3, s25, s11
	s_load_dwordx2 s[0:1], s[0:1], 0x0
	s_load_dwordx2 s[2:3], s[2:3], 0x0
	v_cmp_lt_i64_e64 s8, s[36:37], 1
	s_ashr_i32 s7, s6, 31
	s_ashr_i32 s29, s28, 31
	s_lshl_b64 s[6:7], s[6:7], 6
	s_and_b32 vcc_lo, exec_lo, s8
	s_lshl_b64 s[8:9], s[28:29], 6
	s_cbranch_vccnz .LBB258_3
; %bb.1:
	v_lshl_add_u32 v6, v1, 4, v0
	v_and_b32_e32 v8, 3, v0
	s_add_u32 s18, s42, s10
	s_addc_u32 s19, s43, s11
	s_add_u32 s10, s48, s10
	v_lshrrev_b32_e32 v10, 2, v6
	v_lshrrev_b32_e32 v9, 6, v6
	s_load_dwordx2 s[18:19], s[18:19], 0x0
	s_addc_u32 s11, s49, s11
	v_and_b32_e32 v11, 63, v6
	v_add_co_u32 v4, s24, v10, s8
	v_add_co_ci_u32_e64 v5, null, 0, s9, s24
	v_mad_u64_u32 v[2:3], null, s44, v9, s[6:7]
	s_load_dwordx2 s[24:25], s[10:11], 0x0
	v_mad_u64_u32 v[4:5], null, s50, v8, v[4:5]
	v_lshlrev_b32_e32 v12, 4, v8
	s_lshl_b64 s[10:11], s[46:47], 4
	v_mov_b32_e32 v76, 0
	v_mov_b32_e32 v74, 0
	;; [unrolled: 1-line block ×3, first 2 shown]
	v_lshl_or_b32 v10, v10, 6, v12
	v_mad_u64_u32 v[6:7], null, s45, v9, v[3:4]
	v_mov_b32_e32 v3, v5
	v_add_co_u32 v5, vcc_lo, v2, v11
	v_lshlrev_b32_e32 v7, 4, v11
	s_waitcnt lgkmcnt(0)
	s_add_u32 s10, s18, s10
	v_mad_u64_u32 v[2:3], null, s51, v8, v[3:4]
	v_add_co_ci_u32_e64 v6, null, 0, v6, vcc_lo
	v_lshl_or_b32 v92, v9, 10, v7
	s_addc_u32 s11, s19, s11
	s_lshl_b64 s[12:13], s[12:13], 4
	v_lshlrev_b64 v[6:7], 4, v[5:6]
	v_mov_b32_e32 v5, v2
	v_add_nc_u32_e32 v93, 0x1000, v10
	v_mov_b32_e32 v12, 0
	v_mov_b32_e32 v10, 0
	;; [unrolled: 1-line block ×3, first 2 shown]
	v_lshlrev_b64 v[2:3], 4, v[4:5]
	v_add_co_u32 v26, vcc_lo, s10, v6
	v_add_co_ci_u32_e64 v27, null, s11, v7, vcc_lo
	s_lshl_b64 s[10:11], s[44:45], 6
	s_add_u32 s12, s24, s12
	s_addc_u32 s13, s25, s13
	v_add_co_u32 v28, vcc_lo, s12, v2
	v_mov_b32_e32 v20, 0
	v_mov_b32_e32 v18, 0
	;; [unrolled: 1-line block ×26, first 2 shown]
	v_lshlrev_b32_e32 v90, 4, v0
	v_lshl_add_u32 v91, v1, 6, 0x1000
	v_mov_b32_e32 v77, 0
	v_mov_b32_e32 v75, 0
	v_mov_b32_e32 v13, 0
	v_mov_b32_e32 v11, 0
	v_mov_b32_e32 v17, 0
	v_mov_b32_e32 v15, 0
	v_mov_b32_e32 v21, 0
	v_mov_b32_e32 v19, 0
	v_mov_b32_e32 v41, 0
	v_mov_b32_e32 v39, 0
	v_mov_b32_e32 v51, 0
	v_mov_b32_e32 v45, 0
	v_mov_b32_e32 v61, 0
	v_mov_b32_e32 v57, 0
	v_mov_b32_e32 v69, 0
	v_mov_b32_e32 v67, 0
	v_mov_b32_e32 v47, 0
	v_mov_b32_e32 v43, 0
	v_mov_b32_e32 v59, 0
	v_mov_b32_e32 v55, 0
	v_mov_b32_e32 v65, 0
	v_mov_b32_e32 v63, 0
	v_mov_b32_e32 v73, 0
	v_mov_b32_e32 v71, 0
	v_mov_b32_e32 v25, 0
	v_mov_b32_e32 v23, 0
	v_mov_b32_e32 v33, 0
	v_mov_b32_e32 v31, 0
	v_mov_b32_e32 v37, 0
	v_mov_b32_e32 v35, 0
	v_mov_b32_e32 v53, 0
	v_mov_b32_e32 v49, 0
	v_add_co_ci_u32_e64 v29, null, s13, v3, vcc_lo
	s_lshl_b64 s[12:13], s[50:51], 6
	s_mov_b64 s[18:19], 0
.LBB258_2:                              ; =>This Inner Loop Header: Depth=1
	flat_load_dwordx4 v[2:5], v[26:27]
	s_add_u32 s18, s18, 4
	s_addc_u32 s19, s19, 0
	v_add_co_u32 v26, vcc_lo, v26, s10
	v_cmp_lt_i64_e64 s24, s[18:19], s[36:37]
	v_add_co_ci_u32_e64 v27, null, s11, v27, vcc_lo
	s_waitcnt vmcnt(0) lgkmcnt(0)
	ds_write2_b64 v92, v[2:3], v[4:5] offset1:1
	flat_load_dwordx4 v[2:5], v[28:29]
	v_add_co_u32 v28, vcc_lo, v28, s12
	v_add_co_ci_u32_e64 v29, null, s13, v29, vcc_lo
	s_and_b32 vcc_lo, exec_lo, s24
	s_waitcnt vmcnt(0) lgkmcnt(0)
	v_xor_b32_e32 v5, 0x80000000, v5
	ds_write_b128 v93, v[2:5]
	s_waitcnt lgkmcnt(0)
	s_barrier
	buffer_gl0_inv
	ds_read_b128 v[78:81], v91
	ds_read_b128 v[82:85], v91 offset:16
	ds_read_b128 v[6:9], v91 offset:32
	ds_read_b128 v[2:5], v91 offset:48
	ds_read_b128 v[86:89], v90
	s_waitcnt lgkmcnt(0)
	v_mul_f64 v[94:95], v[80:81], v[88:89]
	v_mul_f64 v[96:97], v[78:79], v[88:89]
	v_fma_f64 v[94:95], v[78:79], v[86:87], -v[94:95]
	v_fma_f64 v[96:97], v[80:81], v[86:87], v[96:97]
	v_add_f64 v[98:99], v[48:49], v[94:95]
	v_add_f64 v[100:101], v[96:97], v[52:53]
	ds_read_b128 v[94:97], v90 offset:256
	s_waitcnt lgkmcnt(0)
	v_mul_f64 v[48:49], v[80:81], v[96:97]
	v_mul_f64 v[52:53], v[78:79], v[96:97]
	v_fma_f64 v[48:49], v[78:79], v[94:95], -v[48:49]
	v_fma_f64 v[52:53], v[80:81], v[94:95], v[52:53]
	v_add_f64 v[102:103], v[34:35], v[48:49]
	v_add_f64 v[104:105], v[52:53], v[36:37]
	ds_read_b128 v[34:37], v90 offset:512
	s_waitcnt lgkmcnt(0)
	v_mul_f64 v[48:49], v[80:81], v[36:37]
	v_mul_f64 v[52:53], v[78:79], v[36:37]
	v_fma_f64 v[48:49], v[78:79], v[34:35], -v[48:49]
	v_fma_f64 v[52:53], v[80:81], v[34:35], v[52:53]
	v_add_f64 v[106:107], v[30:31], v[48:49]
	v_add_f64 v[108:109], v[52:53], v[32:33]
	ds_read_b128 v[30:33], v90 offset:768
	s_waitcnt lgkmcnt(0)
	v_mul_f64 v[48:49], v[80:81], v[32:33]
	v_mul_f64 v[52:53], v[78:79], v[32:33]
	v_fma_f64 v[48:49], v[78:79], v[30:31], -v[48:49]
	v_fma_f64 v[52:53], v[80:81], v[30:31], v[52:53]
	v_add_f64 v[78:79], v[22:23], v[48:49]
	v_add_f64 v[80:81], v[52:53], v[24:25]
	ds_read_b128 v[22:25], v91 offset:1024
	s_waitcnt lgkmcnt(0)
	v_mul_f64 v[48:49], v[24:25], v[88:89]
	v_mul_f64 v[52:53], v[22:23], v[88:89]
	v_fma_f64 v[48:49], v[22:23], v[86:87], -v[48:49]
	v_fma_f64 v[52:53], v[24:25], v[86:87], v[52:53]
	v_add_f64 v[70:71], v[70:71], v[48:49]
	v_mul_f64 v[48:49], v[24:25], v[96:97]
	v_add_f64 v[72:73], v[52:53], v[72:73]
	v_mul_f64 v[52:53], v[22:23], v[96:97]
	v_fma_f64 v[48:49], v[22:23], v[94:95], -v[48:49]
	v_fma_f64 v[52:53], v[24:25], v[94:95], v[52:53]
	v_add_f64 v[110:111], v[62:63], v[48:49]
	v_mul_f64 v[48:49], v[24:25], v[36:37]
	v_add_f64 v[112:113], v[52:53], v[64:65]
	v_mul_f64 v[52:53], v[22:23], v[36:37]
	v_fma_f64 v[48:49], v[22:23], v[34:35], -v[48:49]
	v_fma_f64 v[52:53], v[24:25], v[34:35], v[52:53]
	v_add_f64 v[114:115], v[54:55], v[48:49]
	v_mul_f64 v[48:49], v[24:25], v[32:33]
	v_add_f64 v[116:117], v[52:53], v[58:59]
	v_fma_f64 v[48:49], v[22:23], v[30:31], -v[48:49]
	v_mul_f64 v[22:23], v[22:23], v[32:33]
	v_add_f64 v[118:119], v[42:43], v[48:49]
	v_fma_f64 v[22:23], v[24:25], v[30:31], v[22:23]
	v_add_f64 v[120:121], v[22:23], v[46:47]
	ds_read_b128 v[22:25], v91 offset:2048
	s_waitcnt lgkmcnt(0)
	v_mul_f64 v[42:43], v[24:25], v[88:89]
	v_mul_f64 v[46:47], v[22:23], v[88:89]
	v_fma_f64 v[42:43], v[22:23], v[86:87], -v[42:43]
	v_fma_f64 v[46:47], v[24:25], v[86:87], v[46:47]
	v_add_f64 v[122:123], v[66:67], v[42:43]
	v_mul_f64 v[42:43], v[24:25], v[96:97]
	v_add_f64 v[124:125], v[46:47], v[68:69]
	v_mul_f64 v[46:47], v[22:23], v[96:97]
	v_fma_f64 v[42:43], v[22:23], v[94:95], -v[42:43]
	v_fma_f64 v[46:47], v[24:25], v[94:95], v[46:47]
	v_add_f64 v[126:127], v[56:57], v[42:43]
	v_mul_f64 v[42:43], v[24:25], v[36:37]
	v_add_f64 v[128:129], v[46:47], v[60:61]
	;; [unrolled: 6-line block ×3, first 2 shown]
	v_fma_f64 v[42:43], v[22:23], v[30:31], -v[42:43]
	v_mul_f64 v[22:23], v[22:23], v[32:33]
	v_add_f64 v[134:135], v[38:39], v[42:43]
	v_fma_f64 v[22:23], v[24:25], v[30:31], v[22:23]
	v_add_f64 v[136:137], v[22:23], v[40:41]
	ds_read_b128 v[22:25], v91 offset:3072
	s_waitcnt lgkmcnt(0)
	v_mul_f64 v[38:39], v[24:25], v[88:89]
	v_mul_f64 v[40:41], v[22:23], v[88:89]
	v_fma_f64 v[38:39], v[22:23], v[86:87], -v[38:39]
	v_fma_f64 v[40:41], v[24:25], v[86:87], v[40:41]
	v_add_f64 v[58:59], v[18:19], v[38:39]
	v_add_f64 v[60:61], v[40:41], v[20:21]
	v_mul_f64 v[18:19], v[24:25], v[96:97]
	v_mul_f64 v[20:21], v[22:23], v[96:97]
	v_fma_f64 v[18:19], v[22:23], v[94:95], -v[18:19]
	v_fma_f64 v[20:21], v[24:25], v[94:95], v[20:21]
	v_add_f64 v[54:55], v[14:15], v[18:19]
	v_add_f64 v[56:57], v[20:21], v[16:17]
	v_mul_f64 v[14:15], v[24:25], v[36:37]
	v_mul_f64 v[16:17], v[22:23], v[36:37]
	ds_read_b128 v[18:21], v90 offset:1280
	v_fma_f64 v[14:15], v[22:23], v[34:35], -v[14:15]
	v_fma_f64 v[16:17], v[24:25], v[34:35], v[16:17]
	v_add_f64 v[50:51], v[10:11], v[14:15]
	v_add_f64 v[52:53], v[16:17], v[12:13]
	v_mul_f64 v[10:11], v[24:25], v[32:33]
	v_mul_f64 v[12:13], v[22:23], v[32:33]
	ds_read_b128 v[14:17], v90 offset:1536
	v_fma_f64 v[10:11], v[22:23], v[30:31], -v[10:11]
	v_fma_f64 v[12:13], v[24:25], v[30:31], v[12:13]
	ds_read_b128 v[22:25], v90 offset:1024
	v_add_f64 v[46:47], v[74:75], v[10:11]
	v_add_f64 v[48:49], v[12:13], v[76:77]
	s_waitcnt lgkmcnt(0)
	v_mul_f64 v[10:11], v[84:85], v[24:25]
	v_mul_f64 v[12:13], v[82:83], v[24:25]
	ds_read_b128 v[74:77], v91 offset:1040
	v_fma_f64 v[10:11], v[82:83], v[22:23], -v[10:11]
	v_fma_f64 v[12:13], v[84:85], v[22:23], v[12:13]
	s_waitcnt lgkmcnt(0)
	v_mul_f64 v[62:63], v[76:77], v[24:25]
	v_mul_f64 v[64:65], v[74:75], v[24:25]
	;; [unrolled: 1-line block ×4, first 2 shown]
	v_add_f64 v[42:43], v[98:99], v[10:11]
	v_add_f64 v[44:45], v[12:13], v[100:101]
	v_mul_f64 v[10:11], v[84:85], v[20:21]
	v_mul_f64 v[12:13], v[82:83], v[20:21]
	v_fma_f64 v[62:63], v[74:75], v[22:23], -v[62:63]
	v_fma_f64 v[64:65], v[76:77], v[22:23], v[64:65]
	v_fma_f64 v[66:67], v[74:75], v[18:19], -v[66:67]
	v_fma_f64 v[68:69], v[76:77], v[18:19], v[68:69]
	;; [unrolled: 2-line block ×3, first 2 shown]
	v_add_f64 v[62:63], v[70:71], v[62:63]
	v_mul_f64 v[70:71], v[76:77], v[16:17]
	v_add_f64 v[64:65], v[64:65], v[72:73]
	v_mul_f64 v[72:73], v[74:75], v[16:17]
	v_add_f64 v[66:67], v[110:111], v[66:67]
	v_add_f64 v[68:69], v[68:69], v[112:113]
	;; [unrolled: 1-line block ×4, first 2 shown]
	v_mul_f64 v[10:11], v[84:85], v[16:17]
	v_mul_f64 v[12:13], v[82:83], v[16:17]
	v_fma_f64 v[70:71], v[74:75], v[14:15], -v[70:71]
	v_fma_f64 v[72:73], v[76:77], v[14:15], v[72:73]
	v_fma_f64 v[10:11], v[82:83], v[14:15], -v[10:11]
	v_fma_f64 v[12:13], v[84:85], v[14:15], v[12:13]
	v_add_f64 v[70:71], v[114:115], v[70:71]
	v_add_f64 v[72:73], v[72:73], v[116:117]
	;; [unrolled: 1-line block ×4, first 2 shown]
	ds_read_b128 v[10:13], v90 offset:1792
	s_waitcnt lgkmcnt(0)
	v_mul_f64 v[30:31], v[84:85], v[12:13]
	v_mul_f64 v[32:33], v[82:83], v[12:13]
	v_fma_f64 v[30:31], v[82:83], v[10:11], -v[30:31]
	v_fma_f64 v[32:33], v[84:85], v[10:11], v[32:33]
	v_add_f64 v[30:31], v[78:79], v[30:31]
	v_mul_f64 v[78:79], v[76:77], v[12:13]
	v_add_f64 v[32:33], v[32:33], v[80:81]
	v_fma_f64 v[78:79], v[74:75], v[10:11], -v[78:79]
	v_mul_f64 v[74:75], v[74:75], v[12:13]
	v_fma_f64 v[76:77], v[76:77], v[10:11], v[74:75]
	v_add_f64 v[74:75], v[118:119], v[78:79]
	ds_read_b128 v[78:81], v91 offset:2064
	s_waitcnt lgkmcnt(0)
	v_mul_f64 v[82:83], v[80:81], v[24:25]
	v_mul_f64 v[86:87], v[80:81], v[20:21]
	;; [unrolled: 1-line block ×7, first 2 shown]
	v_add_f64 v[76:77], v[76:77], v[120:121]
	v_fma_f64 v[82:83], v[78:79], v[22:23], -v[82:83]
	v_fma_f64 v[86:87], v[78:79], v[18:19], -v[86:87]
	;; [unrolled: 1-line block ×4, first 2 shown]
	v_mul_f64 v[78:79], v[78:79], v[12:13]
	v_fma_f64 v[84:85], v[80:81], v[22:23], v[84:85]
	v_fma_f64 v[88:89], v[80:81], v[18:19], v[88:89]
	;; [unrolled: 1-line block ×3, first 2 shown]
	v_add_f64 v[82:83], v[122:123], v[82:83]
	v_add_f64 v[86:87], v[126:127], v[86:87]
	;; [unrolled: 1-line block ×4, first 2 shown]
	v_fma_f64 v[78:79], v[80:81], v[10:11], v[78:79]
	v_add_f64 v[84:85], v[84:85], v[124:125]
	v_add_f64 v[88:89], v[88:89], v[128:129]
	;; [unrolled: 1-line block ×4, first 2 shown]
	ds_read_b128 v[78:81], v91 offset:3088
	s_waitcnt lgkmcnt(0)
	v_mul_f64 v[102:103], v[80:81], v[24:25]
	v_mul_f64 v[24:25], v[78:79], v[24:25]
	v_fma_f64 v[102:103], v[78:79], v[22:23], -v[102:103]
	v_fma_f64 v[22:23], v[80:81], v[22:23], v[24:25]
	v_add_f64 v[58:59], v[58:59], v[102:103]
	v_add_f64 v[60:61], v[22:23], v[60:61]
	v_mul_f64 v[22:23], v[80:81], v[20:21]
	v_mul_f64 v[20:21], v[78:79], v[20:21]
	v_fma_f64 v[22:23], v[78:79], v[18:19], -v[22:23]
	v_fma_f64 v[18:19], v[80:81], v[18:19], v[20:21]
	v_add_f64 v[54:55], v[54:55], v[22:23]
	v_add_f64 v[56:57], v[18:19], v[56:57]
	;; [unrolled: 6-line block ×4, first 2 shown]
	ds_read_b128 v[10:13], v90 offset:2048
	s_waitcnt lgkmcnt(0)
	v_mul_f64 v[14:15], v[8:9], v[12:13]
	v_mul_f64 v[16:17], v[6:7], v[12:13]
	v_fma_f64 v[14:15], v[6:7], v[10:11], -v[14:15]
	v_fma_f64 v[16:17], v[8:9], v[10:11], v[16:17]
	v_add_f64 v[42:43], v[42:43], v[14:15]
	v_add_f64 v[44:45], v[16:17], v[44:45]
	ds_read_b128 v[14:17], v90 offset:2304
	s_waitcnt lgkmcnt(0)
	v_mul_f64 v[18:19], v[8:9], v[16:17]
	v_mul_f64 v[20:21], v[6:7], v[16:17]
	v_fma_f64 v[18:19], v[6:7], v[14:15], -v[18:19]
	v_fma_f64 v[20:21], v[8:9], v[14:15], v[20:21]
	v_add_f64 v[38:39], v[38:39], v[18:19]
	v_add_f64 v[40:41], v[20:21], v[40:41]
	;; [unrolled: 8-line block ×3, first 2 shown]
	ds_read_b128 v[22:25], v90 offset:2816
	s_waitcnt lgkmcnt(0)
	v_mul_f64 v[34:35], v[8:9], v[24:25]
	v_fma_f64 v[34:35], v[6:7], v[22:23], -v[34:35]
	v_mul_f64 v[6:7], v[6:7], v[24:25]
	v_add_f64 v[106:107], v[30:31], v[34:35]
	v_fma_f64 v[6:7], v[8:9], v[22:23], v[6:7]
	v_add_f64 v[108:109], v[6:7], v[32:33]
	ds_read_b128 v[6:9], v91 offset:1056
	s_waitcnt lgkmcnt(0)
	v_mul_f64 v[30:31], v[8:9], v[12:13]
	v_mul_f64 v[32:33], v[6:7], v[12:13]
	v_fma_f64 v[30:31], v[6:7], v[10:11], -v[30:31]
	v_fma_f64 v[32:33], v[8:9], v[10:11], v[32:33]
	v_add_f64 v[62:63], v[62:63], v[30:31]
	v_mul_f64 v[30:31], v[8:9], v[16:17]
	v_add_f64 v[64:65], v[32:33], v[64:65]
	v_mul_f64 v[32:33], v[6:7], v[16:17]
	v_fma_f64 v[30:31], v[6:7], v[14:15], -v[30:31]
	v_fma_f64 v[32:33], v[8:9], v[14:15], v[32:33]
	v_add_f64 v[66:67], v[66:67], v[30:31]
	v_mul_f64 v[30:31], v[8:9], v[20:21]
	v_add_f64 v[68:69], v[32:33], v[68:69]
	;; [unrolled: 6-line block ×3, first 2 shown]
	v_fma_f64 v[30:31], v[6:7], v[22:23], -v[30:31]
	v_mul_f64 v[6:7], v[6:7], v[24:25]
	v_add_f64 v[114:115], v[74:75], v[30:31]
	v_fma_f64 v[6:7], v[8:9], v[22:23], v[6:7]
	v_add_f64 v[116:117], v[6:7], v[76:77]
	ds_read_b128 v[6:9], v91 offset:2080
	s_waitcnt lgkmcnt(0)
	v_mul_f64 v[30:31], v[8:9], v[12:13]
	v_mul_f64 v[32:33], v[6:7], v[12:13]
	v_fma_f64 v[30:31], v[6:7], v[10:11], -v[30:31]
	v_fma_f64 v[32:33], v[8:9], v[10:11], v[32:33]
	v_add_f64 v[118:119], v[82:83], v[30:31]
	v_mul_f64 v[30:31], v[8:9], v[16:17]
	v_add_f64 v[120:121], v[32:33], v[84:85]
	v_mul_f64 v[32:33], v[6:7], v[16:17]
	v_fma_f64 v[30:31], v[6:7], v[14:15], -v[30:31]
	v_fma_f64 v[32:33], v[8:9], v[14:15], v[32:33]
	v_add_f64 v[122:123], v[86:87], v[30:31]
	v_mul_f64 v[30:31], v[8:9], v[20:21]
	v_add_f64 v[124:125], v[32:33], v[88:89]
	;; [unrolled: 6-line block ×3, first 2 shown]
	v_fma_f64 v[30:31], v[6:7], v[22:23], -v[30:31]
	v_mul_f64 v[6:7], v[6:7], v[24:25]
	v_add_f64 v[98:99], v[98:99], v[30:31]
	v_fma_f64 v[6:7], v[8:9], v[22:23], v[6:7]
	v_add_f64 v[100:101], v[6:7], v[100:101]
	ds_read_b128 v[6:9], v91 offset:3104
	s_waitcnt lgkmcnt(0)
	v_mul_f64 v[30:31], v[8:9], v[12:13]
	v_mul_f64 v[12:13], v[6:7], v[12:13]
	v_fma_f64 v[30:31], v[6:7], v[10:11], -v[30:31]
	v_fma_f64 v[10:11], v[8:9], v[10:11], v[12:13]
	v_mul_f64 v[12:13], v[6:7], v[16:17]
	v_add_f64 v[86:87], v[58:59], v[30:31]
	v_add_f64 v[88:89], v[10:11], v[60:61]
	v_mul_f64 v[10:11], v[8:9], v[16:17]
	v_fma_f64 v[12:13], v[8:9], v[14:15], v[12:13]
	v_fma_f64 v[10:11], v[6:7], v[14:15], -v[10:11]
	v_add_f64 v[84:85], v[12:13], v[56:57]
	v_mul_f64 v[12:13], v[6:7], v[20:21]
	ds_read_b128 v[14:17], v90 offset:3328
	v_add_f64 v[82:83], v[54:55], v[10:11]
	v_mul_f64 v[10:11], v[8:9], v[20:21]
	v_fma_f64 v[12:13], v[8:9], v[18:19], v[12:13]
	v_fma_f64 v[10:11], v[6:7], v[18:19], -v[10:11]
	ds_read_b128 v[18:21], v90 offset:3072
	v_add_f64 v[80:81], v[12:13], v[52:53]
	v_add_f64 v[78:79], v[50:51], v[10:11]
	v_mul_f64 v[10:11], v[8:9], v[24:25]
	v_fma_f64 v[10:11], v[6:7], v[22:23], -v[10:11]
	v_mul_f64 v[6:7], v[6:7], v[24:25]
	v_add_f64 v[74:75], v[46:47], v[10:11]
	v_fma_f64 v[6:7], v[8:9], v[22:23], v[6:7]
	s_waitcnt lgkmcnt(0)
	v_mul_f64 v[8:9], v[2:3], v[20:21]
	ds_read_b128 v[10:13], v90 offset:3584
	v_add_f64 v[76:77], v[6:7], v[48:49]
	v_mul_f64 v[6:7], v[4:5], v[20:21]
	v_fma_f64 v[8:9], v[4:5], v[18:19], v[8:9]
	v_fma_f64 v[6:7], v[2:3], v[18:19], -v[6:7]
	v_add_f64 v[52:53], v[8:9], v[44:45]
	v_mul_f64 v[8:9], v[2:3], v[16:17]
	v_add_f64 v[48:49], v[42:43], v[6:7]
	v_mul_f64 v[6:7], v[4:5], v[16:17]
	v_fma_f64 v[8:9], v[4:5], v[14:15], v[8:9]
	v_fma_f64 v[6:7], v[2:3], v[14:15], -v[6:7]
	v_add_f64 v[36:37], v[8:9], v[40:41]
	s_waitcnt lgkmcnt(0)
	v_mul_f64 v[8:9], v[2:3], v[12:13]
	v_add_f64 v[34:35], v[38:39], v[6:7]
	v_mul_f64 v[6:7], v[4:5], v[12:13]
	v_fma_f64 v[8:9], v[4:5], v[10:11], v[8:9]
	v_fma_f64 v[6:7], v[2:3], v[10:11], -v[6:7]
	v_add_f64 v[32:33], v[8:9], v[104:105]
	v_add_f64 v[30:31], v[102:103], v[6:7]
	ds_read_b128 v[6:9], v90 offset:3840
	s_waitcnt lgkmcnt(0)
	v_mul_f64 v[22:23], v[4:5], v[8:9]
	v_fma_f64 v[22:23], v[2:3], v[6:7], -v[22:23]
	v_mul_f64 v[2:3], v[2:3], v[8:9]
	v_add_f64 v[22:23], v[106:107], v[22:23]
	v_fma_f64 v[2:3], v[4:5], v[6:7], v[2:3]
	v_add_f64 v[24:25], v[2:3], v[108:109]
	ds_read_b128 v[2:5], v91 offset:1072
	s_waitcnt lgkmcnt(0)
	v_mul_f64 v[38:39], v[4:5], v[20:21]
	v_mul_f64 v[40:41], v[2:3], v[20:21]
	v_fma_f64 v[38:39], v[2:3], v[18:19], -v[38:39]
	v_fma_f64 v[40:41], v[4:5], v[18:19], v[40:41]
	v_add_f64 v[70:71], v[62:63], v[38:39]
	v_mul_f64 v[38:39], v[4:5], v[16:17]
	v_add_f64 v[72:73], v[40:41], v[64:65]
	v_mul_f64 v[40:41], v[2:3], v[16:17]
	v_fma_f64 v[38:39], v[2:3], v[14:15], -v[38:39]
	v_fma_f64 v[40:41], v[4:5], v[14:15], v[40:41]
	v_add_f64 v[62:63], v[66:67], v[38:39]
	v_mul_f64 v[38:39], v[4:5], v[12:13]
	v_add_f64 v[64:65], v[40:41], v[68:69]
	;; [unrolled: 6-line block ×3, first 2 shown]
	v_fma_f64 v[38:39], v[2:3], v[6:7], -v[38:39]
	v_mul_f64 v[2:3], v[2:3], v[8:9]
	v_add_f64 v[42:43], v[114:115], v[38:39]
	v_fma_f64 v[2:3], v[4:5], v[6:7], v[2:3]
	v_add_f64 v[46:47], v[2:3], v[116:117]
	ds_read_b128 v[2:5], v91 offset:2096
	s_waitcnt lgkmcnt(0)
	v_mul_f64 v[38:39], v[4:5], v[20:21]
	v_mul_f64 v[40:41], v[2:3], v[20:21]
	v_fma_f64 v[38:39], v[2:3], v[18:19], -v[38:39]
	v_fma_f64 v[40:41], v[4:5], v[18:19], v[40:41]
	v_add_f64 v[66:67], v[118:119], v[38:39]
	v_mul_f64 v[38:39], v[4:5], v[16:17]
	v_add_f64 v[68:69], v[40:41], v[120:121]
	v_mul_f64 v[40:41], v[2:3], v[16:17]
	v_fma_f64 v[38:39], v[2:3], v[14:15], -v[38:39]
	v_fma_f64 v[40:41], v[4:5], v[14:15], v[40:41]
	v_add_f64 v[56:57], v[122:123], v[38:39]
	v_mul_f64 v[38:39], v[4:5], v[12:13]
	v_add_f64 v[60:61], v[40:41], v[124:125]
	;; [unrolled: 6-line block ×3, first 2 shown]
	v_fma_f64 v[38:39], v[2:3], v[6:7], -v[38:39]
	v_mul_f64 v[2:3], v[2:3], v[8:9]
	v_add_f64 v[38:39], v[98:99], v[38:39]
	v_fma_f64 v[2:3], v[4:5], v[6:7], v[2:3]
	v_add_f64 v[40:41], v[2:3], v[100:101]
	ds_read_b128 v[2:5], v91 offset:3120
	s_waitcnt lgkmcnt(0)
	s_barrier
	buffer_gl0_inv
	v_mul_f64 v[94:95], v[4:5], v[20:21]
	v_mul_f64 v[20:21], v[2:3], v[20:21]
	v_fma_f64 v[94:95], v[2:3], v[18:19], -v[94:95]
	v_fma_f64 v[20:21], v[4:5], v[18:19], v[20:21]
	v_add_f64 v[18:19], v[86:87], v[94:95]
	v_mul_f64 v[86:87], v[4:5], v[16:17]
	v_mul_f64 v[16:17], v[2:3], v[16:17]
	v_add_f64 v[20:21], v[20:21], v[88:89]
	v_fma_f64 v[86:87], v[2:3], v[14:15], -v[86:87]
	v_fma_f64 v[16:17], v[4:5], v[14:15], v[16:17]
	v_add_f64 v[14:15], v[82:83], v[86:87]
	v_mul_f64 v[82:83], v[4:5], v[12:13]
	v_mul_f64 v[12:13], v[2:3], v[12:13]
	v_add_f64 v[16:17], v[16:17], v[84:85]
	v_fma_f64 v[82:83], v[2:3], v[10:11], -v[82:83]
	v_fma_f64 v[12:13], v[4:5], v[10:11], v[12:13]
	v_add_f64 v[10:11], v[78:79], v[82:83]
	v_mul_f64 v[78:79], v[4:5], v[8:9]
	v_add_f64 v[12:13], v[12:13], v[80:81]
	v_fma_f64 v[78:79], v[2:3], v[6:7], -v[78:79]
	v_mul_f64 v[2:3], v[2:3], v[8:9]
	v_add_f64 v[74:75], v[74:75], v[78:79]
	v_fma_f64 v[2:3], v[4:5], v[6:7], v[2:3]
	v_add_f64 v[76:77], v[2:3], v[76:77]
	s_cbranch_vccnz .LBB258_2
	s_branch .LBB258_4
.LBB258_3:
	v_mov_b32_e32 v48, 0
	v_mov_b32_e32 v52, 0
	;; [unrolled: 1-line block ×64, first 2 shown]
.LBB258_4:
	s_load_dwordx2 s[4:5], s[4:5], 0x90
	v_cmp_neq_f64_e64 s10, s[14:15], 0
	v_cmp_neq_f64_e64 s11, s[16:17], 0
	v_add_co_u32 v6, s8, s8, v1
	v_add_co_ci_u32_e64 v7, null, s9, 0, s8
	s_waitcnt lgkmcnt(0)
	s_lshl_b64 s[4:5], s[4:5], 4
	s_add_u32 s4, s2, s4
	s_addc_u32 s5, s3, s5
	v_add_co_u32 v0, s3, s6, v0
	v_add_co_ci_u32_e64 v1, null, s7, 0, s3
	s_or_b32 s2, s10, s11
	s_and_b32 vcc_lo, exec_lo, s2
	s_cbranch_vccnz .LBB258_6
; %bb.5:
	v_mul_f64 v[4:5], s[40:41], v[52:53]
	v_mul_f64 v[8:9], s[38:39], v[52:53]
	v_mul_lo_u32 v78, v7, s26
	v_mul_lo_u32 v79, v6, s27
	v_mad_u64_u32 v[2:3], null, v6, s26, 0
	v_mul_f64 v[26:27], s[40:41], v[36:37]
	v_mul_f64 v[28:29], s[38:39], v[36:37]
	;; [unrolled: 1-line block ×6, first 2 shown]
	v_add3_u32 v3, v3, v79, v78
	v_mul_f64 v[78:79], s[40:41], v[32:33]
	v_mul_f64 v[88:89], s[38:39], v[72:73]
	;; [unrolled: 1-line block ×4, first 2 shown]
	v_lshlrev_b64 v[2:3], 4, v[2:3]
	v_mul_f64 v[94:95], s[40:41], v[58:59]
	v_mul_f64 v[96:97], s[38:39], v[58:59]
	;; [unrolled: 1-line block ×4, first 2 shown]
	s_lshl_b64 s[2:3], s[26:27], 8
	v_add_co_u32 v104, vcc_lo, s4, v2
	v_add_co_ci_u32_e64 v105, null, s5, v3, vcc_lo
	v_fma_f64 v[2:3], s[38:39], v[48:49], -v[4:5]
	v_fma_f64 v[4:5], s[40:41], v[48:49], v[8:9]
	v_lshlrev_b64 v[8:9], 4, v[0:1]
	v_fma_f64 v[26:27], s[38:39], v[34:35], -v[26:27]
	v_fma_f64 v[28:29], s[40:41], v[34:35], v[28:29]
	v_fma_f64 v[80:81], s[40:41], v[30:31], v[80:81]
	v_fma_f64 v[82:83], s[38:39], v[22:23], -v[82:83]
	v_fma_f64 v[84:85], s[40:41], v[22:23], v[84:85]
	v_add_co_u32 v102, vcc_lo, v104, v8
	v_fma_f64 v[78:79], s[38:39], v[30:31], -v[78:79]
	v_add_co_ci_u32_e64 v103, null, v105, v9, vcc_lo
	v_fma_f64 v[86:87], s[38:39], v[70:71], -v[86:87]
	v_fma_f64 v[88:89], s[40:41], v[70:71], v[88:89]
	v_fma_f64 v[90:91], s[38:39], v[62:63], -v[90:91]
	v_fma_f64 v[92:93], s[40:41], v[62:63], v[92:93]
	;; [unrolled: 2-line block ×3, first 2 shown]
	v_add_co_u32 v106, vcc_lo, v104, s2
	v_add_co_ci_u32_e64 v107, null, s3, v105, vcc_lo
	flat_store_dwordx4 v[102:103], v[2:5]
	v_fma_f64 v[2:3], s[38:39], v[42:43], -v[98:99]
	v_fma_f64 v[4:5], s[40:41], v[42:43], v[100:101]
	v_add_co_u32 v104, vcc_lo, v106, v8
	v_add_co_ci_u32_e64 v105, null, v107, v9, vcc_lo
	flat_store_dwordx4 v[102:103], v[26:29] offset:256
	flat_store_dwordx4 v[102:103], v[78:81] offset:512
	flat_store_dwordx4 v[102:103], v[82:85] offset:768
	flat_store_dwordx4 v[104:105], v[86:89]
	flat_store_dwordx4 v[104:105], v[90:93] offset:256
	flat_store_dwordx4 v[104:105], v[94:97] offset:512
	v_mul_f64 v[26:27], s[40:41], v[68:69]
	v_mul_f64 v[28:29], s[38:39], v[68:69]
	;; [unrolled: 1-line block ×12, first 2 shown]
	flat_store_dwordx4 v[104:105], v[2:5] offset:768
	v_mul_f64 v[2:3], s[40:41], v[76:77]
	v_mul_f64 v[4:5], s[38:39], v[76:77]
	;; [unrolled: 1-line block ×4, first 2 shown]
	v_add_co_u32 v104, vcc_lo, v106, s2
	v_add_co_ci_u32_e64 v105, null, s3, v107, vcc_lo
	v_fma_f64 v[26:27], s[38:39], v[66:67], -v[26:27]
	v_fma_f64 v[28:29], s[40:41], v[66:67], v[28:29]
	v_fma_f64 v[78:79], s[38:39], v[56:57], -v[78:79]
	v_fma_f64 v[80:81], s[40:41], v[56:57], v[80:81]
	;; [unrolled: 2-line block ×6, first 2 shown]
	v_add_co_u32 v106, vcc_lo, v104, s2
	v_fma_f64 v[102:103], s[38:39], v[74:75], -v[2:3]
	v_fma_f64 v[2:3], s[40:41], v[74:75], v[4:5]
	v_fma_f64 v[98:99], s[38:39], v[10:11], -v[98:99]
	v_fma_f64 v[100:101], s[40:41], v[10:11], v[100:101]
	v_add_co_ci_u32_e64 v107, null, s3, v105, vcc_lo
	v_add_co_u32 v4, vcc_lo, v104, v8
	v_add_co_ci_u32_e64 v5, null, v105, v9, vcc_lo
	v_add_co_u32 v8, vcc_lo, v106, v8
	v_add_co_ci_u32_e64 v9, null, v107, v9, vcc_lo
	flat_store_dwordx4 v[4:5], v[26:29]
	flat_store_dwordx4 v[4:5], v[78:81] offset:256
	flat_store_dwordx4 v[4:5], v[82:85] offset:512
	;; [unrolled: 1-line block ×3, first 2 shown]
	flat_store_dwordx4 v[8:9], v[90:93]
	v_add_co_u32 v4, vcc_lo, 0x300, v8
	v_add_co_ci_u32_e64 v5, null, 0, v9, vcc_lo
	flat_store_dwordx4 v[8:9], v[94:97] offset:256
	flat_store_dwordx4 v[8:9], v[98:101] offset:512
	flat_store_dwordx2 v[8:9], v[102:103] offset:768
	s_cbranch_execz .LBB258_7
	s_branch .LBB258_8
.LBB258_6:
                                        ; implicit-def: $vgpr2_vgpr3
                                        ; implicit-def: $vgpr4_vgpr5
.LBB258_7:
	v_mul_lo_u32 v4, v7, s20
	v_mul_lo_u32 v5, v6, s21
	v_mad_u64_u32 v[2:3], null, v6, s20, 0
	s_lshl_b64 s[2:3], s[22:23], 4
	v_mul_f64 v[26:27], s[40:41], v[52:53]
	s_add_u32 s0, s0, s2
	s_addc_u32 s1, s1, s3
	v_mul_f64 v[28:29], s[38:39], v[52:53]
	s_lshl_b64 s[2:3], s[26:27], 8
	v_add3_u32 v3, v3, v5, v4
	v_lshlrev_b64 v[4:5], 4, v[0:1]
	v_lshlrev_b64 v[2:3], 4, v[2:3]
	v_add_co_u32 v78, vcc_lo, s0, v2
	v_add_co_ci_u32_e64 v79, null, s1, v3, vcc_lo
	s_lshl_b64 s[0:1], s[20:21], 8
	v_add_co_u32 v8, vcc_lo, v78, v4
	v_add_co_ci_u32_e64 v9, null, v79, v5, vcc_lo
	v_fma_f64 v[26:27], s[38:39], v[48:49], -v[26:27]
	v_fma_f64 v[28:29], s[40:41], v[48:49], v[28:29]
	flat_load_dwordx4 v[0:3], v[8:9]
	s_waitcnt vmcnt(0) lgkmcnt(0)
	v_mul_f64 v[52:53], s[16:17], v[2:3]
	v_mul_f64 v[2:3], s[14:15], v[2:3]
	v_fma_f64 v[48:49], s[14:15], v[0:1], -v[52:53]
	v_fma_f64 v[2:3], s[16:17], v[0:1], v[2:3]
	v_mul_lo_u32 v0, v7, s26
	v_mul_lo_u32 v1, v6, s27
	v_mad_u64_u32 v[6:7], null, v6, s26, 0
	v_add3_u32 v7, v7, v1, v0
	v_lshlrev_b64 v[6:7], 4, v[6:7]
	v_add_f64 v[0:1], v[26:27], v[48:49]
	v_add_f64 v[2:3], v[28:29], v[2:3]
	v_add_co_u32 v48, vcc_lo, s4, v6
	v_add_co_ci_u32_e64 v49, null, s5, v7, vcc_lo
	v_mul_f64 v[26:27], s[40:41], v[36:37]
	v_add_co_u32 v6, vcc_lo, v48, v4
	v_add_co_ci_u32_e64 v7, null, v49, v5, vcc_lo
	v_mul_f64 v[28:29], s[38:39], v[36:37]
	flat_store_dwordx4 v[6:7], v[0:3]
	flat_load_dwordx4 v[0:3], v[8:9] offset:256
	v_fma_f64 v[26:27], s[38:39], v[34:35], -v[26:27]
	v_fma_f64 v[28:29], s[40:41], v[34:35], v[28:29]
	s_waitcnt vmcnt(0) lgkmcnt(0)
	v_mul_f64 v[36:37], s[16:17], v[2:3]
	v_mul_f64 v[2:3], s[14:15], v[2:3]
	v_fma_f64 v[34:35], s[14:15], v[0:1], -v[36:37]
	v_fma_f64 v[2:3], s[16:17], v[0:1], v[2:3]
	v_add_f64 v[0:1], v[26:27], v[34:35]
	v_add_f64 v[2:3], v[28:29], v[2:3]
	v_mul_f64 v[26:27], s[40:41], v[32:33]
	v_mul_f64 v[28:29], s[38:39], v[32:33]
	flat_store_dwordx4 v[6:7], v[0:3] offset:256
	flat_load_dwordx4 v[0:3], v[8:9] offset:512
	v_fma_f64 v[26:27], s[38:39], v[30:31], -v[26:27]
	v_fma_f64 v[28:29], s[40:41], v[30:31], v[28:29]
	s_waitcnt vmcnt(0) lgkmcnt(0)
	v_mul_f64 v[32:33], s[16:17], v[2:3]
	v_mul_f64 v[2:3], s[14:15], v[2:3]
	v_fma_f64 v[30:31], s[14:15], v[0:1], -v[32:33]
	v_fma_f64 v[2:3], s[16:17], v[0:1], v[2:3]
	v_add_f64 v[0:1], v[26:27], v[30:31]
	v_add_f64 v[2:3], v[28:29], v[2:3]
	v_add_co_u32 v28, vcc_lo, v78, s0
	v_add_co_ci_u32_e64 v29, null, s1, v79, vcc_lo
	flat_store_dwordx4 v[6:7], v[0:3] offset:512
	flat_load_dwordx4 v[0:3], v[8:9] offset:768
	v_mul_f64 v[8:9], s[40:41], v[24:25]
	v_mul_f64 v[24:25], s[38:39], v[24:25]
	v_fma_f64 v[8:9], s[38:39], v[22:23], -v[8:9]
	v_fma_f64 v[22:23], s[40:41], v[22:23], v[24:25]
	s_waitcnt vmcnt(0) lgkmcnt(0)
	v_mul_f64 v[26:27], s[16:17], v[2:3]
	v_mul_f64 v[2:3], s[14:15], v[2:3]
	v_fma_f64 v[24:25], s[14:15], v[0:1], -v[26:27]
	v_fma_f64 v[2:3], s[16:17], v[0:1], v[2:3]
	v_add_f64 v[0:1], v[8:9], v[24:25]
	v_add_f64 v[2:3], v[22:23], v[2:3]
	v_add_co_u32 v8, vcc_lo, v28, v4
	v_add_co_ci_u32_e64 v9, null, v29, v5, vcc_lo
	v_mul_f64 v[22:23], s[38:39], v[72:73]
	v_add_co_u32 v30, vcc_lo, v48, s2
	v_add_co_ci_u32_e64 v31, null, s3, v49, vcc_lo
	flat_store_dwordx4 v[6:7], v[0:3] offset:768
	flat_load_dwordx4 v[0:3], v[8:9]
	v_mul_f64 v[6:7], s[40:41], v[72:73]
	v_fma_f64 v[22:23], s[40:41], v[70:71], v[22:23]
	v_fma_f64 v[6:7], s[38:39], v[70:71], -v[6:7]
	s_waitcnt vmcnt(0) lgkmcnt(0)
	v_mul_f64 v[24:25], s[16:17], v[2:3]
	v_mul_f64 v[2:3], s[14:15], v[2:3]
	v_fma_f64 v[24:25], s[14:15], v[0:1], -v[24:25]
	v_fma_f64 v[2:3], s[16:17], v[0:1], v[2:3]
	v_add_f64 v[0:1], v[6:7], v[24:25]
	v_add_f64 v[2:3], v[22:23], v[2:3]
	v_add_co_u32 v6, vcc_lo, v30, v4
	v_add_co_ci_u32_e64 v7, null, v31, v5, vcc_lo
	v_mul_f64 v[22:23], s[40:41], v[64:65]
	v_mul_f64 v[24:25], s[38:39], v[64:65]
	v_add_co_u32 v28, vcc_lo, v28, s0
	v_add_co_ci_u32_e64 v29, null, s1, v29, vcc_lo
	flat_store_dwordx4 v[6:7], v[0:3]
	flat_load_dwordx4 v[0:3], v[8:9] offset:256
	v_fma_f64 v[22:23], s[38:39], v[62:63], -v[22:23]
	v_fma_f64 v[24:25], s[40:41], v[62:63], v[24:25]
	s_waitcnt vmcnt(0) lgkmcnt(0)
	v_mul_f64 v[26:27], s[16:17], v[2:3]
	v_mul_f64 v[2:3], s[14:15], v[2:3]
	v_fma_f64 v[26:27], s[14:15], v[0:1], -v[26:27]
	v_fma_f64 v[2:3], s[16:17], v[0:1], v[2:3]
	v_add_f64 v[0:1], v[22:23], v[26:27]
	v_add_f64 v[2:3], v[24:25], v[2:3]
	v_mul_f64 v[22:23], s[40:41], v[58:59]
	v_mul_f64 v[24:25], s[38:39], v[58:59]
	flat_store_dwordx4 v[6:7], v[0:3] offset:256
	flat_load_dwordx4 v[0:3], v[8:9] offset:512
	v_fma_f64 v[22:23], s[38:39], v[54:55], -v[22:23]
	v_fma_f64 v[24:25], s[40:41], v[54:55], v[24:25]
	s_waitcnt vmcnt(0) lgkmcnt(0)
	v_mul_f64 v[26:27], s[16:17], v[2:3]
	v_mul_f64 v[2:3], s[14:15], v[2:3]
	v_fma_f64 v[26:27], s[14:15], v[0:1], -v[26:27]
	v_fma_f64 v[2:3], s[16:17], v[0:1], v[2:3]
	v_add_f64 v[0:1], v[22:23], v[26:27]
	v_add_f64 v[2:3], v[24:25], v[2:3]
	v_mul_f64 v[22:23], s[38:39], v[46:47]
	flat_store_dwordx4 v[6:7], v[0:3] offset:512
	flat_load_dwordx4 v[0:3], v[8:9] offset:768
	v_mul_f64 v[8:9], s[40:41], v[46:47]
	v_fma_f64 v[22:23], s[40:41], v[42:43], v[22:23]
	v_fma_f64 v[8:9], s[38:39], v[42:43], -v[8:9]
	s_waitcnt vmcnt(0) lgkmcnt(0)
	v_mul_f64 v[24:25], s[16:17], v[2:3]
	v_mul_f64 v[2:3], s[14:15], v[2:3]
	v_fma_f64 v[24:25], s[14:15], v[0:1], -v[24:25]
	v_fma_f64 v[2:3], s[16:17], v[0:1], v[2:3]
	v_add_f64 v[0:1], v[8:9], v[24:25]
	v_add_f64 v[2:3], v[22:23], v[2:3]
	v_add_co_u32 v8, vcc_lo, v28, v4
	v_add_co_ci_u32_e64 v9, null, v29, v5, vcc_lo
	v_mul_f64 v[22:23], s[38:39], v[68:69]
	v_add_co_u32 v30, vcc_lo, v30, s2
	v_add_co_ci_u32_e64 v31, null, s3, v31, vcc_lo
	flat_store_dwordx4 v[6:7], v[0:3] offset:768
	flat_load_dwordx4 v[0:3], v[8:9]
	v_mul_f64 v[6:7], s[40:41], v[68:69]
	v_fma_f64 v[22:23], s[40:41], v[66:67], v[22:23]
	v_fma_f64 v[6:7], s[38:39], v[66:67], -v[6:7]
	s_waitcnt vmcnt(0) lgkmcnt(0)
	v_mul_f64 v[24:25], s[16:17], v[2:3]
	v_mul_f64 v[2:3], s[14:15], v[2:3]
	v_fma_f64 v[24:25], s[14:15], v[0:1], -v[24:25]
	v_fma_f64 v[2:3], s[16:17], v[0:1], v[2:3]
	v_add_f64 v[0:1], v[6:7], v[24:25]
	v_add_f64 v[2:3], v[22:23], v[2:3]
	v_add_co_u32 v6, vcc_lo, v30, v4
	v_add_co_ci_u32_e64 v7, null, v31, v5, vcc_lo
	v_mul_f64 v[22:23], s[40:41], v[60:61]
	v_mul_f64 v[24:25], s[38:39], v[60:61]
	flat_store_dwordx4 v[6:7], v[0:3]
	flat_load_dwordx4 v[0:3], v[8:9] offset:256
	v_fma_f64 v[22:23], s[38:39], v[56:57], -v[22:23]
	v_fma_f64 v[24:25], s[40:41], v[56:57], v[24:25]
	s_waitcnt vmcnt(0) lgkmcnt(0)
	v_mul_f64 v[26:27], s[16:17], v[2:3]
	v_mul_f64 v[2:3], s[14:15], v[2:3]
	v_fma_f64 v[26:27], s[14:15], v[0:1], -v[26:27]
	v_fma_f64 v[2:3], s[16:17], v[0:1], v[2:3]
	v_add_f64 v[0:1], v[22:23], v[26:27]
	v_add_f64 v[2:3], v[24:25], v[2:3]
	v_mul_f64 v[22:23], s[40:41], v[50:51]
	v_mul_f64 v[24:25], s[38:39], v[50:51]
	flat_store_dwordx4 v[6:7], v[0:3] offset:256
	flat_load_dwordx4 v[0:3], v[8:9] offset:512
	v_fma_f64 v[22:23], s[38:39], v[44:45], -v[22:23]
	v_fma_f64 v[24:25], s[40:41], v[44:45], v[24:25]
	s_waitcnt vmcnt(0) lgkmcnt(0)
	v_mul_f64 v[26:27], s[16:17], v[2:3]
	v_mul_f64 v[2:3], s[14:15], v[2:3]
	v_fma_f64 v[26:27], s[14:15], v[0:1], -v[26:27]
	v_fma_f64 v[2:3], s[16:17], v[0:1], v[2:3]
	v_add_f64 v[0:1], v[22:23], v[26:27]
	v_add_f64 v[2:3], v[24:25], v[2:3]
	v_mul_f64 v[22:23], s[38:39], v[40:41]
	flat_store_dwordx4 v[6:7], v[0:3] offset:512
	flat_load_dwordx4 v[0:3], v[8:9] offset:768
	v_mul_f64 v[8:9], s[40:41], v[40:41]
	v_fma_f64 v[22:23], s[40:41], v[38:39], v[22:23]
	v_fma_f64 v[8:9], s[38:39], v[38:39], -v[8:9]
	s_waitcnt vmcnt(0) lgkmcnt(0)
	v_mul_f64 v[24:25], s[16:17], v[2:3]
	v_mul_f64 v[2:3], s[14:15], v[2:3]
	v_fma_f64 v[24:25], s[14:15], v[0:1], -v[24:25]
	v_fma_f64 v[2:3], s[16:17], v[0:1], v[2:3]
	v_add_f64 v[0:1], v[8:9], v[24:25]
	v_add_f64 v[2:3], v[22:23], v[2:3]
	v_add_co_u32 v8, vcc_lo, v28, s0
	v_add_co_ci_u32_e64 v9, null, s1, v29, vcc_lo
	v_add_co_u32 v8, vcc_lo, v8, v4
	v_add_co_ci_u32_e64 v9, null, v9, v5, vcc_lo
	flat_store_dwordx4 v[6:7], v[0:3] offset:768
	flat_load_dwordx4 v[0:3], v[8:9]
	v_mul_f64 v[6:7], s[40:41], v[20:21]
	v_mul_f64 v[20:21], s[38:39], v[20:21]
	v_fma_f64 v[6:7], s[38:39], v[18:19], -v[6:7]
	v_fma_f64 v[18:19], s[40:41], v[18:19], v[20:21]
	s_waitcnt vmcnt(0) lgkmcnt(0)
	v_mul_f64 v[22:23], s[16:17], v[2:3]
	v_mul_f64 v[2:3], s[14:15], v[2:3]
	v_fma_f64 v[20:21], s[14:15], v[0:1], -v[22:23]
	v_fma_f64 v[2:3], s[16:17], v[0:1], v[2:3]
	v_add_f64 v[0:1], v[6:7], v[20:21]
	v_add_f64 v[2:3], v[18:19], v[2:3]
	v_add_co_u32 v6, vcc_lo, v30, s2
	v_add_co_ci_u32_e64 v7, null, s3, v31, vcc_lo
	v_add_co_u32 v6, vcc_lo, v6, v4
	v_add_co_ci_u32_e64 v7, null, v7, v5, vcc_lo
	v_mul_f64 v[4:5], s[40:41], v[16:17]
	v_mul_f64 v[16:17], s[38:39], v[16:17]
	flat_store_dwordx4 v[6:7], v[0:3]
	flat_load_dwordx4 v[0:3], v[8:9] offset:256
	v_fma_f64 v[4:5], s[38:39], v[14:15], -v[4:5]
	v_fma_f64 v[14:15], s[40:41], v[14:15], v[16:17]
	s_waitcnt vmcnt(0) lgkmcnt(0)
	v_mul_f64 v[18:19], s[16:17], v[2:3]
	v_mul_f64 v[2:3], s[14:15], v[2:3]
	v_fma_f64 v[16:17], s[14:15], v[0:1], -v[18:19]
	v_fma_f64 v[2:3], s[16:17], v[0:1], v[2:3]
	v_add_f64 v[0:1], v[4:5], v[16:17]
	v_add_f64 v[2:3], v[14:15], v[2:3]
	v_mul_f64 v[4:5], s[40:41], v[12:13]
	v_mul_f64 v[12:13], s[38:39], v[12:13]
	flat_store_dwordx4 v[6:7], v[0:3] offset:256
	flat_load_dwordx4 v[0:3], v[8:9] offset:512
	v_fma_f64 v[4:5], s[38:39], v[10:11], -v[4:5]
	v_fma_f64 v[10:11], s[40:41], v[10:11], v[12:13]
	s_waitcnt vmcnt(0) lgkmcnt(0)
	v_mul_f64 v[14:15], s[16:17], v[2:3]
	v_mul_f64 v[2:3], s[14:15], v[2:3]
	v_fma_f64 v[12:13], s[14:15], v[0:1], -v[14:15]
	v_fma_f64 v[2:3], s[16:17], v[0:1], v[2:3]
	v_add_f64 v[0:1], v[4:5], v[12:13]
	v_add_f64 v[2:3], v[10:11], v[2:3]
	v_mul_f64 v[4:5], s[40:41], v[76:77]
	flat_store_dwordx4 v[6:7], v[0:3] offset:512
	flat_load_dwordx4 v[0:3], v[8:9] offset:768
	v_mul_f64 v[8:9], s[38:39], v[76:77]
	v_fma_f64 v[4:5], s[38:39], v[74:75], -v[4:5]
	v_fma_f64 v[8:9], s[40:41], v[74:75], v[8:9]
	s_waitcnt vmcnt(0) lgkmcnt(0)
	v_mul_f64 v[10:11], s[16:17], v[2:3]
	v_mul_f64 v[2:3], s[14:15], v[2:3]
	v_fma_f64 v[10:11], s[14:15], v[0:1], -v[10:11]
	v_fma_f64 v[0:1], s[16:17], v[0:1], v[2:3]
	v_add_f64 v[10:11], v[4:5], v[10:11]
	v_add_f64 v[2:3], v[8:9], v[0:1]
	v_add_co_u32 v4, vcc_lo, 0x300, v6
	v_add_co_ci_u32_e64 v5, null, 0, v7, vcc_lo
	flat_store_dwordx2 v[6:7], v[10:11] offset:768
.LBB258_8:
	flat_store_dwordx2 v[4:5], v[2:3] offset:8
	s_endpgm
	.section	.rodata,"a",@progbits
	.p2align	6, 0x0
	.amdhsa_kernel _ZN12_GLOBAL__N_127rocblas_gemm_batched_kernelI19rocblas_complex_numIdELi16ELi16ELi64ELi64ELi4ELi64ELi4ELi4ELi64ELc78ELc67EKPKS2_S5_KPS2_EEvlllT_PT11_llSA_llS8_PT12_llPT13_lli
		.amdhsa_group_segment_fixed_size 8192
		.amdhsa_private_segment_fixed_size 0
		.amdhsa_kernarg_size 156
		.amdhsa_user_sgpr_count 6
		.amdhsa_user_sgpr_private_segment_buffer 1
		.amdhsa_user_sgpr_dispatch_ptr 0
		.amdhsa_user_sgpr_queue_ptr 0
		.amdhsa_user_sgpr_kernarg_segment_ptr 1
		.amdhsa_user_sgpr_dispatch_id 0
		.amdhsa_user_sgpr_flat_scratch_init 0
		.amdhsa_user_sgpr_private_segment_size 0
		.amdhsa_wavefront_size32 1
		.amdhsa_uses_dynamic_stack 0
		.amdhsa_system_sgpr_private_segment_wavefront_offset 0
		.amdhsa_system_sgpr_workgroup_id_x 1
		.amdhsa_system_sgpr_workgroup_id_y 1
		.amdhsa_system_sgpr_workgroup_id_z 1
		.amdhsa_system_sgpr_workgroup_info 0
		.amdhsa_system_vgpr_workitem_id 1
		.amdhsa_next_free_vgpr 138
		.amdhsa_next_free_sgpr 52
		.amdhsa_reserve_vcc 1
		.amdhsa_reserve_flat_scratch 0
		.amdhsa_float_round_mode_32 0
		.amdhsa_float_round_mode_16_64 0
		.amdhsa_float_denorm_mode_32 3
		.amdhsa_float_denorm_mode_16_64 3
		.amdhsa_dx10_clamp 1
		.amdhsa_ieee_mode 1
		.amdhsa_fp16_overflow 0
		.amdhsa_workgroup_processor_mode 1
		.amdhsa_memory_ordered 1
		.amdhsa_forward_progress 1
		.amdhsa_shared_vgpr_count 0
		.amdhsa_exception_fp_ieee_invalid_op 0
		.amdhsa_exception_fp_denorm_src 0
		.amdhsa_exception_fp_ieee_div_zero 0
		.amdhsa_exception_fp_ieee_overflow 0
		.amdhsa_exception_fp_ieee_underflow 0
		.amdhsa_exception_fp_ieee_inexact 0
		.amdhsa_exception_int_div_zero 0
	.end_amdhsa_kernel
	.section	.text._ZN12_GLOBAL__N_127rocblas_gemm_batched_kernelI19rocblas_complex_numIdELi16ELi16ELi64ELi64ELi4ELi64ELi4ELi4ELi64ELc78ELc67EKPKS2_S5_KPS2_EEvlllT_PT11_llSA_llS8_PT12_llPT13_lli,"axG",@progbits,_ZN12_GLOBAL__N_127rocblas_gemm_batched_kernelI19rocblas_complex_numIdELi16ELi16ELi64ELi64ELi4ELi64ELi4ELi4ELi64ELc78ELc67EKPKS2_S5_KPS2_EEvlllT_PT11_llSA_llS8_PT12_llPT13_lli,comdat
.Lfunc_end258:
	.size	_ZN12_GLOBAL__N_127rocblas_gemm_batched_kernelI19rocblas_complex_numIdELi16ELi16ELi64ELi64ELi4ELi64ELi4ELi4ELi64ELc78ELc67EKPKS2_S5_KPS2_EEvlllT_PT11_llSA_llS8_PT12_llPT13_lli, .Lfunc_end258-_ZN12_GLOBAL__N_127rocblas_gemm_batched_kernelI19rocblas_complex_numIdELi16ELi16ELi64ELi64ELi4ELi64ELi4ELi4ELi64ELc78ELc67EKPKS2_S5_KPS2_EEvlllT_PT11_llSA_llS8_PT12_llPT13_lli
                                        ; -- End function
	.set _ZN12_GLOBAL__N_127rocblas_gemm_batched_kernelI19rocblas_complex_numIdELi16ELi16ELi64ELi64ELi4ELi64ELi4ELi4ELi64ELc78ELc67EKPKS2_S5_KPS2_EEvlllT_PT11_llSA_llS8_PT12_llPT13_lli.num_vgpr, 138
	.set _ZN12_GLOBAL__N_127rocblas_gemm_batched_kernelI19rocblas_complex_numIdELi16ELi16ELi64ELi64ELi4ELi64ELi4ELi4ELi64ELc78ELc67EKPKS2_S5_KPS2_EEvlllT_PT11_llSA_llS8_PT12_llPT13_lli.num_agpr, 0
	.set _ZN12_GLOBAL__N_127rocblas_gemm_batched_kernelI19rocblas_complex_numIdELi16ELi16ELi64ELi64ELi4ELi64ELi4ELi4ELi64ELc78ELc67EKPKS2_S5_KPS2_EEvlllT_PT11_llSA_llS8_PT12_llPT13_lli.numbered_sgpr, 52
	.set _ZN12_GLOBAL__N_127rocblas_gemm_batched_kernelI19rocblas_complex_numIdELi16ELi16ELi64ELi64ELi4ELi64ELi4ELi4ELi64ELc78ELc67EKPKS2_S5_KPS2_EEvlllT_PT11_llSA_llS8_PT12_llPT13_lli.num_named_barrier, 0
	.set _ZN12_GLOBAL__N_127rocblas_gemm_batched_kernelI19rocblas_complex_numIdELi16ELi16ELi64ELi64ELi4ELi64ELi4ELi4ELi64ELc78ELc67EKPKS2_S5_KPS2_EEvlllT_PT11_llSA_llS8_PT12_llPT13_lli.private_seg_size, 0
	.set _ZN12_GLOBAL__N_127rocblas_gemm_batched_kernelI19rocblas_complex_numIdELi16ELi16ELi64ELi64ELi4ELi64ELi4ELi4ELi64ELc78ELc67EKPKS2_S5_KPS2_EEvlllT_PT11_llSA_llS8_PT12_llPT13_lli.uses_vcc, 1
	.set _ZN12_GLOBAL__N_127rocblas_gemm_batched_kernelI19rocblas_complex_numIdELi16ELi16ELi64ELi64ELi4ELi64ELi4ELi4ELi64ELc78ELc67EKPKS2_S5_KPS2_EEvlllT_PT11_llSA_llS8_PT12_llPT13_lli.uses_flat_scratch, 0
	.set _ZN12_GLOBAL__N_127rocblas_gemm_batched_kernelI19rocblas_complex_numIdELi16ELi16ELi64ELi64ELi4ELi64ELi4ELi4ELi64ELc78ELc67EKPKS2_S5_KPS2_EEvlllT_PT11_llSA_llS8_PT12_llPT13_lli.has_dyn_sized_stack, 0
	.set _ZN12_GLOBAL__N_127rocblas_gemm_batched_kernelI19rocblas_complex_numIdELi16ELi16ELi64ELi64ELi4ELi64ELi4ELi4ELi64ELc78ELc67EKPKS2_S5_KPS2_EEvlllT_PT11_llSA_llS8_PT12_llPT13_lli.has_recursion, 0
	.set _ZN12_GLOBAL__N_127rocblas_gemm_batched_kernelI19rocblas_complex_numIdELi16ELi16ELi64ELi64ELi4ELi64ELi4ELi4ELi64ELc78ELc67EKPKS2_S5_KPS2_EEvlllT_PT11_llSA_llS8_PT12_llPT13_lli.has_indirect_call, 0
	.section	.AMDGPU.csdata,"",@progbits
; Kernel info:
; codeLenInByte = 7368
; TotalNumSgprs: 54
; NumVgprs: 138
; ScratchSize: 0
; MemoryBound: 0
; FloatMode: 240
; IeeeMode: 1
; LDSByteSize: 8192 bytes/workgroup (compile time only)
; SGPRBlocks: 0
; VGPRBlocks: 17
; NumSGPRsForWavesPerEU: 54
; NumVGPRsForWavesPerEU: 138
; Occupancy: 7
; WaveLimiterHint : 1
; COMPUTE_PGM_RSRC2:SCRATCH_EN: 0
; COMPUTE_PGM_RSRC2:USER_SGPR: 6
; COMPUTE_PGM_RSRC2:TRAP_HANDLER: 0
; COMPUTE_PGM_RSRC2:TGID_X_EN: 1
; COMPUTE_PGM_RSRC2:TGID_Y_EN: 1
; COMPUTE_PGM_RSRC2:TGID_Z_EN: 1
; COMPUTE_PGM_RSRC2:TIDIG_COMP_CNT: 1
	.section	.text._ZN12_GLOBAL__N_127rocblas_gemm_batched_kernelI19rocblas_complex_numIdELi16ELi16ELi64ELi64ELi4ELi64ELi4ELi4ELi64ELc84ELc67EKPKS2_S5_KPS2_EEvlllT_PT11_llSA_llS8_PT12_llPT13_lli,"axG",@progbits,_ZN12_GLOBAL__N_127rocblas_gemm_batched_kernelI19rocblas_complex_numIdELi16ELi16ELi64ELi64ELi4ELi64ELi4ELi4ELi64ELc84ELc67EKPKS2_S5_KPS2_EEvlllT_PT11_llSA_llS8_PT12_llPT13_lli,comdat
	.globl	_ZN12_GLOBAL__N_127rocblas_gemm_batched_kernelI19rocblas_complex_numIdELi16ELi16ELi64ELi64ELi4ELi64ELi4ELi4ELi64ELc84ELc67EKPKS2_S5_KPS2_EEvlllT_PT11_llSA_llS8_PT12_llPT13_lli ; -- Begin function _ZN12_GLOBAL__N_127rocblas_gemm_batched_kernelI19rocblas_complex_numIdELi16ELi16ELi64ELi64ELi4ELi64ELi4ELi4ELi64ELc84ELc67EKPKS2_S5_KPS2_EEvlllT_PT11_llSA_llS8_PT12_llPT13_lli
	.p2align	8
	.type	_ZN12_GLOBAL__N_127rocblas_gemm_batched_kernelI19rocblas_complex_numIdELi16ELi16ELi64ELi64ELi4ELi64ELi4ELi4ELi64ELc84ELc67EKPKS2_S5_KPS2_EEvlllT_PT11_llSA_llS8_PT12_llPT13_lli,@function
_ZN12_GLOBAL__N_127rocblas_gemm_batched_kernelI19rocblas_complex_numIdELi16ELi16ELi64ELi64ELi4ELi64ELi4ELi4ELi64ELc84ELc67EKPKS2_S5_KPS2_EEvlllT_PT11_llSA_llS8_PT12_llPT13_lli: ; @_ZN12_GLOBAL__N_127rocblas_gemm_batched_kernelI19rocblas_complex_numIdELi16ELi16ELi64ELi64ELi4ELi64ELi4ELi4ELi64ELc84ELc67EKPKS2_S5_KPS2_EEvlllT_PT11_llSA_llS8_PT12_llPT13_lli
; %bb.0:
	s_clause 0x1
	s_load_dwordx16 s[12:27], s[4:5], 0x50
	s_load_dwordx16 s[36:51], s[4:5], 0x10
	s_mov_b32 s9, 0
	s_mov_b32 s28, s7
	s_lshl_b64 s[10:11], s[8:9], 3
	s_waitcnt lgkmcnt(0)
	s_add_u32 s0, s18, s10
	s_addc_u32 s1, s19, s11
	s_add_u32 s2, s24, s10
	s_addc_u32 s3, s25, s11
	s_load_dwordx2 s[0:1], s[0:1], 0x0
	s_load_dwordx2 s[2:3], s[2:3], 0x0
	v_cmp_lt_i64_e64 s8, s[36:37], 1
	s_ashr_i32 s7, s6, 31
	s_ashr_i32 s29, s28, 31
	s_lshl_b64 s[6:7], s[6:7], 6
	s_and_b32 vcc_lo, exec_lo, s8
	s_lshl_b64 s[8:9], s[28:29], 6
	s_cbranch_vccnz .LBB259_3
; %bb.1:
	v_lshl_add_u32 v6, v1, 4, v0
	v_and_b32_e32 v7, 3, v0
	v_mov_b32_e32 v76, 0
	v_mov_b32_e32 v74, 0
	;; [unrolled: 1-line block ×3, first 2 shown]
	v_lshrrev_b32_e32 v8, 2, v6
	v_and_b32_e32 v9, 63, v6
	v_lshrrev_b32_e32 v12, 6, v6
	v_lshlrev_b32_e32 v13, 4, v7
	v_mov_b32_e32 v14, 0
	v_add_co_u32 v2, s18, v8, s8
	v_add_co_ci_u32_e64 v3, null, 0, s9, s18
	v_add_co_u32 v4, s18, s6, v9
	v_add_co_ci_u32_e64 v5, null, s7, 0, s18
	v_mad_u64_u32 v[2:3], null, s50, v7, v[2:3]
	v_mul_lo_u32 v10, s45, v4
	v_mul_lo_u32 v11, s44, v5
	v_mad_u64_u32 v[4:5], null, s44, v4, 0
	s_add_u32 s18, s42, s10
	s_addc_u32 s19, s43, s11
	s_add_u32 s10, s48, s10
	s_addc_u32 s11, s49, s11
	s_load_dwordx2 s[18:19], s[18:19], 0x0
	s_load_dwordx2 s[10:11], s[10:11], 0x0
	v_add3_u32 v5, v5, v11, v10
	v_mad_u64_u32 v[6:7], null, s51, v7, v[3:4]
	v_lshlrev_b32_e32 v3, 4, v9
	s_lshl_b64 s[24:25], s[46:47], 4
	v_lshlrev_b64 v[4:5], 4, v[4:5]
	s_lshl_b64 s[12:13], s[12:13], 4
	v_lshl_or_b32 v7, v8, 6, v13
	v_lshl_or_b32 v90, v12, 10, v3
	v_mov_b32_e32 v3, v6
	v_lshlrev_b32_e32 v6, 4, v12
	v_add_co_u32 v4, vcc_lo, v4, s24
	v_add_co_ci_u32_e64 v5, null, s25, v5, vcc_lo
	v_lshlrev_b64 v[2:3], 4, v[2:3]
	v_add_co_u32 v4, vcc_lo, v4, v6
	v_add_co_ci_u32_e64 v5, null, 0, v5, vcc_lo
	s_waitcnt lgkmcnt(0)
	s_add_u32 s10, s10, s12
	v_add_co_u32 v26, vcc_lo, s18, v4
	v_add_co_ci_u32_e64 v27, null, s19, v5, vcc_lo
	s_addc_u32 s11, s11, s13
	v_add_co_u32 v28, vcc_lo, s10, v2
	v_mov_b32_e32 v12, 0
	v_mov_b32_e32 v10, 0
	;; [unrolled: 1-line block ×28, first 2 shown]
	v_add_nc_u32_e32 v91, 0x1000, v7
	v_lshlrev_b32_e32 v92, 4, v0
	v_lshl_add_u32 v93, v1, 6, 0x1000
	v_mov_b32_e32 v77, 0
	v_mov_b32_e32 v75, 0
	;; [unrolled: 1-line block ×32, first 2 shown]
	v_add_co_ci_u32_e64 v29, null, s11, v3, vcc_lo
	s_lshl_b64 s[10:11], s[50:51], 6
	s_mov_b64 s[12:13], 0
.LBB259_2:                              ; =>This Inner Loop Header: Depth=1
	flat_load_dwordx4 v[2:5], v[26:27]
	s_add_u32 s12, s12, 4
	s_addc_u32 s13, s13, 0
	v_add_co_u32 v26, vcc_lo, v26, 64
	v_cmp_lt_i64_e64 s18, s[12:13], s[36:37]
	v_add_co_ci_u32_e64 v27, null, 0, v27, vcc_lo
	s_waitcnt vmcnt(0) lgkmcnt(0)
	ds_write2_b64 v90, v[2:3], v[4:5] offset1:1
	flat_load_dwordx4 v[2:5], v[28:29]
	v_add_co_u32 v28, vcc_lo, v28, s10
	v_add_co_ci_u32_e64 v29, null, s11, v29, vcc_lo
	s_and_b32 vcc_lo, exec_lo, s18
	s_waitcnt vmcnt(0) lgkmcnt(0)
	v_xor_b32_e32 v5, 0x80000000, v5
	ds_write_b128 v91, v[2:5]
	s_waitcnt lgkmcnt(0)
	s_barrier
	buffer_gl0_inv
	ds_read_b128 v[78:81], v93
	ds_read_b128 v[82:85], v93 offset:16
	ds_read_b128 v[6:9], v93 offset:32
	;; [unrolled: 1-line block ×3, first 2 shown]
	ds_read_b128 v[86:89], v92
	s_waitcnt lgkmcnt(0)
	v_mul_f64 v[94:95], v[80:81], v[88:89]
	v_mul_f64 v[96:97], v[78:79], v[88:89]
	v_fma_f64 v[94:95], v[78:79], v[86:87], -v[94:95]
	v_fma_f64 v[96:97], v[80:81], v[86:87], v[96:97]
	v_add_f64 v[98:99], v[48:49], v[94:95]
	v_add_f64 v[100:101], v[96:97], v[52:53]
	ds_read_b128 v[94:97], v92 offset:256
	s_waitcnt lgkmcnt(0)
	v_mul_f64 v[48:49], v[80:81], v[96:97]
	v_mul_f64 v[52:53], v[78:79], v[96:97]
	v_fma_f64 v[48:49], v[78:79], v[94:95], -v[48:49]
	v_fma_f64 v[52:53], v[80:81], v[94:95], v[52:53]
	v_add_f64 v[102:103], v[34:35], v[48:49]
	v_add_f64 v[104:105], v[52:53], v[36:37]
	ds_read_b128 v[34:37], v92 offset:512
	;; [unrolled: 8-line block ×4, first 2 shown]
	s_waitcnt lgkmcnt(0)
	v_mul_f64 v[48:49], v[24:25], v[88:89]
	v_mul_f64 v[52:53], v[22:23], v[88:89]
	v_fma_f64 v[48:49], v[22:23], v[86:87], -v[48:49]
	v_fma_f64 v[52:53], v[24:25], v[86:87], v[52:53]
	v_add_f64 v[70:71], v[70:71], v[48:49]
	v_mul_f64 v[48:49], v[24:25], v[96:97]
	v_add_f64 v[72:73], v[52:53], v[72:73]
	v_mul_f64 v[52:53], v[22:23], v[96:97]
	v_fma_f64 v[48:49], v[22:23], v[94:95], -v[48:49]
	v_fma_f64 v[52:53], v[24:25], v[94:95], v[52:53]
	v_add_f64 v[110:111], v[62:63], v[48:49]
	v_mul_f64 v[48:49], v[24:25], v[36:37]
	v_add_f64 v[112:113], v[52:53], v[64:65]
	;; [unrolled: 6-line block ×3, first 2 shown]
	v_fma_f64 v[48:49], v[22:23], v[30:31], -v[48:49]
	v_mul_f64 v[22:23], v[22:23], v[32:33]
	v_add_f64 v[118:119], v[42:43], v[48:49]
	v_fma_f64 v[22:23], v[24:25], v[30:31], v[22:23]
	v_add_f64 v[120:121], v[22:23], v[46:47]
	ds_read_b128 v[22:25], v93 offset:2048
	s_waitcnt lgkmcnt(0)
	v_mul_f64 v[42:43], v[24:25], v[88:89]
	v_mul_f64 v[46:47], v[22:23], v[88:89]
	v_fma_f64 v[42:43], v[22:23], v[86:87], -v[42:43]
	v_fma_f64 v[46:47], v[24:25], v[86:87], v[46:47]
	v_add_f64 v[122:123], v[66:67], v[42:43]
	v_mul_f64 v[42:43], v[24:25], v[96:97]
	v_add_f64 v[124:125], v[46:47], v[68:69]
	v_mul_f64 v[46:47], v[22:23], v[96:97]
	v_fma_f64 v[42:43], v[22:23], v[94:95], -v[42:43]
	v_fma_f64 v[46:47], v[24:25], v[94:95], v[46:47]
	v_add_f64 v[126:127], v[56:57], v[42:43]
	v_mul_f64 v[42:43], v[24:25], v[36:37]
	v_add_f64 v[128:129], v[46:47], v[60:61]
	v_mul_f64 v[46:47], v[22:23], v[36:37]
	v_fma_f64 v[42:43], v[22:23], v[34:35], -v[42:43]
	v_fma_f64 v[46:47], v[24:25], v[34:35], v[46:47]
	v_add_f64 v[130:131], v[44:45], v[42:43]
	v_mul_f64 v[42:43], v[24:25], v[32:33]
	v_add_f64 v[132:133], v[46:47], v[50:51]
	v_fma_f64 v[42:43], v[22:23], v[30:31], -v[42:43]
	v_mul_f64 v[22:23], v[22:23], v[32:33]
	v_add_f64 v[134:135], v[38:39], v[42:43]
	v_fma_f64 v[22:23], v[24:25], v[30:31], v[22:23]
	v_add_f64 v[136:137], v[22:23], v[40:41]
	ds_read_b128 v[22:25], v93 offset:3072
	s_waitcnt lgkmcnt(0)
	v_mul_f64 v[38:39], v[24:25], v[88:89]
	v_mul_f64 v[40:41], v[22:23], v[88:89]
	v_fma_f64 v[38:39], v[22:23], v[86:87], -v[38:39]
	v_fma_f64 v[40:41], v[24:25], v[86:87], v[40:41]
	v_add_f64 v[58:59], v[18:19], v[38:39]
	v_add_f64 v[60:61], v[40:41], v[20:21]
	v_mul_f64 v[18:19], v[24:25], v[96:97]
	v_mul_f64 v[20:21], v[22:23], v[96:97]
	v_fma_f64 v[18:19], v[22:23], v[94:95], -v[18:19]
	v_fma_f64 v[20:21], v[24:25], v[94:95], v[20:21]
	v_add_f64 v[54:55], v[14:15], v[18:19]
	v_add_f64 v[56:57], v[20:21], v[16:17]
	v_mul_f64 v[14:15], v[24:25], v[36:37]
	v_mul_f64 v[16:17], v[22:23], v[36:37]
	ds_read_b128 v[18:21], v92 offset:1280
	v_fma_f64 v[14:15], v[22:23], v[34:35], -v[14:15]
	v_fma_f64 v[16:17], v[24:25], v[34:35], v[16:17]
	v_add_f64 v[50:51], v[10:11], v[14:15]
	v_add_f64 v[52:53], v[16:17], v[12:13]
	v_mul_f64 v[10:11], v[24:25], v[32:33]
	v_mul_f64 v[12:13], v[22:23], v[32:33]
	ds_read_b128 v[14:17], v92 offset:1536
	v_fma_f64 v[10:11], v[22:23], v[30:31], -v[10:11]
	v_fma_f64 v[12:13], v[24:25], v[30:31], v[12:13]
	ds_read_b128 v[22:25], v92 offset:1024
	v_add_f64 v[46:47], v[74:75], v[10:11]
	v_add_f64 v[48:49], v[12:13], v[76:77]
	s_waitcnt lgkmcnt(0)
	v_mul_f64 v[10:11], v[84:85], v[24:25]
	v_mul_f64 v[12:13], v[82:83], v[24:25]
	ds_read_b128 v[74:77], v93 offset:1040
	v_fma_f64 v[10:11], v[82:83], v[22:23], -v[10:11]
	v_fma_f64 v[12:13], v[84:85], v[22:23], v[12:13]
	s_waitcnt lgkmcnt(0)
	v_mul_f64 v[62:63], v[76:77], v[24:25]
	v_mul_f64 v[64:65], v[74:75], v[24:25]
	;; [unrolled: 1-line block ×4, first 2 shown]
	v_add_f64 v[42:43], v[98:99], v[10:11]
	v_add_f64 v[44:45], v[12:13], v[100:101]
	v_mul_f64 v[10:11], v[84:85], v[20:21]
	v_mul_f64 v[12:13], v[82:83], v[20:21]
	v_fma_f64 v[62:63], v[74:75], v[22:23], -v[62:63]
	v_fma_f64 v[64:65], v[76:77], v[22:23], v[64:65]
	v_fma_f64 v[66:67], v[74:75], v[18:19], -v[66:67]
	v_fma_f64 v[68:69], v[76:77], v[18:19], v[68:69]
	;; [unrolled: 2-line block ×3, first 2 shown]
	v_add_f64 v[62:63], v[70:71], v[62:63]
	v_mul_f64 v[70:71], v[76:77], v[16:17]
	v_add_f64 v[64:65], v[64:65], v[72:73]
	v_mul_f64 v[72:73], v[74:75], v[16:17]
	v_add_f64 v[66:67], v[110:111], v[66:67]
	v_add_f64 v[68:69], v[68:69], v[112:113]
	;; [unrolled: 1-line block ×4, first 2 shown]
	v_mul_f64 v[10:11], v[84:85], v[16:17]
	v_mul_f64 v[12:13], v[82:83], v[16:17]
	v_fma_f64 v[70:71], v[74:75], v[14:15], -v[70:71]
	v_fma_f64 v[72:73], v[76:77], v[14:15], v[72:73]
	v_fma_f64 v[10:11], v[82:83], v[14:15], -v[10:11]
	v_fma_f64 v[12:13], v[84:85], v[14:15], v[12:13]
	v_add_f64 v[70:71], v[114:115], v[70:71]
	v_add_f64 v[72:73], v[72:73], v[116:117]
	;; [unrolled: 1-line block ×4, first 2 shown]
	ds_read_b128 v[10:13], v92 offset:1792
	s_waitcnt lgkmcnt(0)
	v_mul_f64 v[30:31], v[84:85], v[12:13]
	v_mul_f64 v[32:33], v[82:83], v[12:13]
	v_fma_f64 v[30:31], v[82:83], v[10:11], -v[30:31]
	v_fma_f64 v[32:33], v[84:85], v[10:11], v[32:33]
	v_add_f64 v[30:31], v[78:79], v[30:31]
	v_mul_f64 v[78:79], v[76:77], v[12:13]
	v_add_f64 v[32:33], v[32:33], v[80:81]
	v_fma_f64 v[78:79], v[74:75], v[10:11], -v[78:79]
	v_mul_f64 v[74:75], v[74:75], v[12:13]
	v_fma_f64 v[76:77], v[76:77], v[10:11], v[74:75]
	v_add_f64 v[74:75], v[118:119], v[78:79]
	ds_read_b128 v[78:81], v93 offset:2064
	s_waitcnt lgkmcnt(0)
	v_mul_f64 v[82:83], v[80:81], v[24:25]
	v_mul_f64 v[86:87], v[80:81], v[20:21]
	;; [unrolled: 1-line block ×7, first 2 shown]
	v_add_f64 v[76:77], v[76:77], v[120:121]
	v_fma_f64 v[82:83], v[78:79], v[22:23], -v[82:83]
	v_fma_f64 v[86:87], v[78:79], v[18:19], -v[86:87]
	;; [unrolled: 1-line block ×4, first 2 shown]
	v_mul_f64 v[78:79], v[78:79], v[12:13]
	v_fma_f64 v[84:85], v[80:81], v[22:23], v[84:85]
	v_fma_f64 v[88:89], v[80:81], v[18:19], v[88:89]
	;; [unrolled: 1-line block ×3, first 2 shown]
	v_add_f64 v[82:83], v[122:123], v[82:83]
	v_add_f64 v[86:87], v[126:127], v[86:87]
	;; [unrolled: 1-line block ×4, first 2 shown]
	v_fma_f64 v[78:79], v[80:81], v[10:11], v[78:79]
	v_add_f64 v[84:85], v[84:85], v[124:125]
	v_add_f64 v[88:89], v[88:89], v[128:129]
	;; [unrolled: 1-line block ×4, first 2 shown]
	ds_read_b128 v[78:81], v93 offset:3088
	s_waitcnt lgkmcnt(0)
	v_mul_f64 v[102:103], v[80:81], v[24:25]
	v_mul_f64 v[24:25], v[78:79], v[24:25]
	v_fma_f64 v[102:103], v[78:79], v[22:23], -v[102:103]
	v_fma_f64 v[22:23], v[80:81], v[22:23], v[24:25]
	v_add_f64 v[58:59], v[58:59], v[102:103]
	v_add_f64 v[60:61], v[22:23], v[60:61]
	v_mul_f64 v[22:23], v[80:81], v[20:21]
	v_mul_f64 v[20:21], v[78:79], v[20:21]
	v_fma_f64 v[22:23], v[78:79], v[18:19], -v[22:23]
	v_fma_f64 v[18:19], v[80:81], v[18:19], v[20:21]
	v_add_f64 v[54:55], v[54:55], v[22:23]
	v_add_f64 v[56:57], v[18:19], v[56:57]
	;; [unrolled: 6-line block ×4, first 2 shown]
	ds_read_b128 v[10:13], v92 offset:2048
	s_waitcnt lgkmcnt(0)
	v_mul_f64 v[14:15], v[8:9], v[12:13]
	v_mul_f64 v[16:17], v[6:7], v[12:13]
	v_fma_f64 v[14:15], v[6:7], v[10:11], -v[14:15]
	v_fma_f64 v[16:17], v[8:9], v[10:11], v[16:17]
	v_add_f64 v[42:43], v[42:43], v[14:15]
	v_add_f64 v[44:45], v[16:17], v[44:45]
	ds_read_b128 v[14:17], v92 offset:2304
	s_waitcnt lgkmcnt(0)
	v_mul_f64 v[18:19], v[8:9], v[16:17]
	v_mul_f64 v[20:21], v[6:7], v[16:17]
	v_fma_f64 v[18:19], v[6:7], v[14:15], -v[18:19]
	v_fma_f64 v[20:21], v[8:9], v[14:15], v[20:21]
	v_add_f64 v[38:39], v[38:39], v[18:19]
	v_add_f64 v[40:41], v[20:21], v[40:41]
	;; [unrolled: 8-line block ×3, first 2 shown]
	ds_read_b128 v[22:25], v92 offset:2816
	s_waitcnt lgkmcnt(0)
	v_mul_f64 v[34:35], v[8:9], v[24:25]
	v_fma_f64 v[34:35], v[6:7], v[22:23], -v[34:35]
	v_mul_f64 v[6:7], v[6:7], v[24:25]
	v_add_f64 v[106:107], v[30:31], v[34:35]
	v_fma_f64 v[6:7], v[8:9], v[22:23], v[6:7]
	v_add_f64 v[108:109], v[6:7], v[32:33]
	ds_read_b128 v[6:9], v93 offset:1056
	s_waitcnt lgkmcnt(0)
	v_mul_f64 v[30:31], v[8:9], v[12:13]
	v_mul_f64 v[32:33], v[6:7], v[12:13]
	v_fma_f64 v[30:31], v[6:7], v[10:11], -v[30:31]
	v_fma_f64 v[32:33], v[8:9], v[10:11], v[32:33]
	v_add_f64 v[62:63], v[62:63], v[30:31]
	v_mul_f64 v[30:31], v[8:9], v[16:17]
	v_add_f64 v[64:65], v[32:33], v[64:65]
	v_mul_f64 v[32:33], v[6:7], v[16:17]
	v_fma_f64 v[30:31], v[6:7], v[14:15], -v[30:31]
	v_fma_f64 v[32:33], v[8:9], v[14:15], v[32:33]
	v_add_f64 v[66:67], v[66:67], v[30:31]
	v_mul_f64 v[30:31], v[8:9], v[20:21]
	v_add_f64 v[68:69], v[32:33], v[68:69]
	;; [unrolled: 6-line block ×3, first 2 shown]
	v_fma_f64 v[30:31], v[6:7], v[22:23], -v[30:31]
	v_mul_f64 v[6:7], v[6:7], v[24:25]
	v_add_f64 v[114:115], v[74:75], v[30:31]
	v_fma_f64 v[6:7], v[8:9], v[22:23], v[6:7]
	v_add_f64 v[116:117], v[6:7], v[76:77]
	ds_read_b128 v[6:9], v93 offset:2080
	s_waitcnt lgkmcnt(0)
	v_mul_f64 v[30:31], v[8:9], v[12:13]
	v_mul_f64 v[32:33], v[6:7], v[12:13]
	v_fma_f64 v[30:31], v[6:7], v[10:11], -v[30:31]
	v_fma_f64 v[32:33], v[8:9], v[10:11], v[32:33]
	v_add_f64 v[118:119], v[82:83], v[30:31]
	v_mul_f64 v[30:31], v[8:9], v[16:17]
	v_add_f64 v[120:121], v[32:33], v[84:85]
	v_mul_f64 v[32:33], v[6:7], v[16:17]
	v_fma_f64 v[30:31], v[6:7], v[14:15], -v[30:31]
	v_fma_f64 v[32:33], v[8:9], v[14:15], v[32:33]
	v_add_f64 v[122:123], v[86:87], v[30:31]
	v_mul_f64 v[30:31], v[8:9], v[20:21]
	v_add_f64 v[124:125], v[32:33], v[88:89]
	;; [unrolled: 6-line block ×3, first 2 shown]
	v_fma_f64 v[30:31], v[6:7], v[22:23], -v[30:31]
	v_mul_f64 v[6:7], v[6:7], v[24:25]
	v_add_f64 v[98:99], v[98:99], v[30:31]
	v_fma_f64 v[6:7], v[8:9], v[22:23], v[6:7]
	v_add_f64 v[100:101], v[6:7], v[100:101]
	ds_read_b128 v[6:9], v93 offset:3104
	s_waitcnt lgkmcnt(0)
	v_mul_f64 v[30:31], v[8:9], v[12:13]
	v_mul_f64 v[12:13], v[6:7], v[12:13]
	v_fma_f64 v[30:31], v[6:7], v[10:11], -v[30:31]
	v_fma_f64 v[10:11], v[8:9], v[10:11], v[12:13]
	v_mul_f64 v[12:13], v[6:7], v[16:17]
	v_add_f64 v[86:87], v[58:59], v[30:31]
	v_add_f64 v[88:89], v[10:11], v[60:61]
	v_mul_f64 v[10:11], v[8:9], v[16:17]
	v_fma_f64 v[12:13], v[8:9], v[14:15], v[12:13]
	v_fma_f64 v[10:11], v[6:7], v[14:15], -v[10:11]
	v_add_f64 v[84:85], v[12:13], v[56:57]
	v_mul_f64 v[12:13], v[6:7], v[20:21]
	ds_read_b128 v[14:17], v92 offset:3328
	v_add_f64 v[82:83], v[54:55], v[10:11]
	v_mul_f64 v[10:11], v[8:9], v[20:21]
	v_fma_f64 v[12:13], v[8:9], v[18:19], v[12:13]
	v_fma_f64 v[10:11], v[6:7], v[18:19], -v[10:11]
	ds_read_b128 v[18:21], v92 offset:3072
	v_add_f64 v[80:81], v[12:13], v[52:53]
	v_add_f64 v[78:79], v[50:51], v[10:11]
	v_mul_f64 v[10:11], v[8:9], v[24:25]
	v_fma_f64 v[10:11], v[6:7], v[22:23], -v[10:11]
	v_mul_f64 v[6:7], v[6:7], v[24:25]
	v_add_f64 v[74:75], v[46:47], v[10:11]
	v_fma_f64 v[6:7], v[8:9], v[22:23], v[6:7]
	s_waitcnt lgkmcnt(0)
	v_mul_f64 v[8:9], v[2:3], v[20:21]
	ds_read_b128 v[10:13], v92 offset:3584
	v_add_f64 v[76:77], v[6:7], v[48:49]
	v_mul_f64 v[6:7], v[4:5], v[20:21]
	v_fma_f64 v[8:9], v[4:5], v[18:19], v[8:9]
	v_fma_f64 v[6:7], v[2:3], v[18:19], -v[6:7]
	v_add_f64 v[52:53], v[8:9], v[44:45]
	v_mul_f64 v[8:9], v[2:3], v[16:17]
	v_add_f64 v[48:49], v[42:43], v[6:7]
	v_mul_f64 v[6:7], v[4:5], v[16:17]
	v_fma_f64 v[8:9], v[4:5], v[14:15], v[8:9]
	v_fma_f64 v[6:7], v[2:3], v[14:15], -v[6:7]
	v_add_f64 v[36:37], v[8:9], v[40:41]
	s_waitcnt lgkmcnt(0)
	v_mul_f64 v[8:9], v[2:3], v[12:13]
	v_add_f64 v[34:35], v[38:39], v[6:7]
	v_mul_f64 v[6:7], v[4:5], v[12:13]
	v_fma_f64 v[8:9], v[4:5], v[10:11], v[8:9]
	v_fma_f64 v[6:7], v[2:3], v[10:11], -v[6:7]
	v_add_f64 v[32:33], v[8:9], v[104:105]
	v_add_f64 v[30:31], v[102:103], v[6:7]
	ds_read_b128 v[6:9], v92 offset:3840
	s_waitcnt lgkmcnt(0)
	v_mul_f64 v[22:23], v[4:5], v[8:9]
	v_fma_f64 v[22:23], v[2:3], v[6:7], -v[22:23]
	v_mul_f64 v[2:3], v[2:3], v[8:9]
	v_add_f64 v[22:23], v[106:107], v[22:23]
	v_fma_f64 v[2:3], v[4:5], v[6:7], v[2:3]
	v_add_f64 v[24:25], v[2:3], v[108:109]
	ds_read_b128 v[2:5], v93 offset:1072
	s_waitcnt lgkmcnt(0)
	v_mul_f64 v[38:39], v[4:5], v[20:21]
	v_mul_f64 v[40:41], v[2:3], v[20:21]
	v_fma_f64 v[38:39], v[2:3], v[18:19], -v[38:39]
	v_fma_f64 v[40:41], v[4:5], v[18:19], v[40:41]
	v_add_f64 v[70:71], v[62:63], v[38:39]
	v_mul_f64 v[38:39], v[4:5], v[16:17]
	v_add_f64 v[72:73], v[40:41], v[64:65]
	v_mul_f64 v[40:41], v[2:3], v[16:17]
	v_fma_f64 v[38:39], v[2:3], v[14:15], -v[38:39]
	v_fma_f64 v[40:41], v[4:5], v[14:15], v[40:41]
	v_add_f64 v[62:63], v[66:67], v[38:39]
	v_mul_f64 v[38:39], v[4:5], v[12:13]
	v_add_f64 v[64:65], v[40:41], v[68:69]
	;; [unrolled: 6-line block ×3, first 2 shown]
	v_fma_f64 v[38:39], v[2:3], v[6:7], -v[38:39]
	v_mul_f64 v[2:3], v[2:3], v[8:9]
	v_add_f64 v[42:43], v[114:115], v[38:39]
	v_fma_f64 v[2:3], v[4:5], v[6:7], v[2:3]
	v_add_f64 v[46:47], v[2:3], v[116:117]
	ds_read_b128 v[2:5], v93 offset:2096
	s_waitcnt lgkmcnt(0)
	v_mul_f64 v[38:39], v[4:5], v[20:21]
	v_mul_f64 v[40:41], v[2:3], v[20:21]
	v_fma_f64 v[38:39], v[2:3], v[18:19], -v[38:39]
	v_fma_f64 v[40:41], v[4:5], v[18:19], v[40:41]
	v_add_f64 v[66:67], v[118:119], v[38:39]
	v_mul_f64 v[38:39], v[4:5], v[16:17]
	v_add_f64 v[68:69], v[40:41], v[120:121]
	v_mul_f64 v[40:41], v[2:3], v[16:17]
	v_fma_f64 v[38:39], v[2:3], v[14:15], -v[38:39]
	v_fma_f64 v[40:41], v[4:5], v[14:15], v[40:41]
	v_add_f64 v[56:57], v[122:123], v[38:39]
	v_mul_f64 v[38:39], v[4:5], v[12:13]
	v_add_f64 v[60:61], v[40:41], v[124:125]
	;; [unrolled: 6-line block ×3, first 2 shown]
	v_fma_f64 v[38:39], v[2:3], v[6:7], -v[38:39]
	v_mul_f64 v[2:3], v[2:3], v[8:9]
	v_add_f64 v[38:39], v[98:99], v[38:39]
	v_fma_f64 v[2:3], v[4:5], v[6:7], v[2:3]
	v_add_f64 v[40:41], v[2:3], v[100:101]
	ds_read_b128 v[2:5], v93 offset:3120
	s_waitcnt lgkmcnt(0)
	s_barrier
	buffer_gl0_inv
	v_mul_f64 v[94:95], v[4:5], v[20:21]
	v_mul_f64 v[20:21], v[2:3], v[20:21]
	v_fma_f64 v[94:95], v[2:3], v[18:19], -v[94:95]
	v_fma_f64 v[20:21], v[4:5], v[18:19], v[20:21]
	v_add_f64 v[18:19], v[86:87], v[94:95]
	v_mul_f64 v[86:87], v[4:5], v[16:17]
	v_mul_f64 v[16:17], v[2:3], v[16:17]
	v_add_f64 v[20:21], v[20:21], v[88:89]
	v_fma_f64 v[86:87], v[2:3], v[14:15], -v[86:87]
	v_fma_f64 v[16:17], v[4:5], v[14:15], v[16:17]
	v_add_f64 v[14:15], v[82:83], v[86:87]
	v_mul_f64 v[82:83], v[4:5], v[12:13]
	v_mul_f64 v[12:13], v[2:3], v[12:13]
	v_add_f64 v[16:17], v[16:17], v[84:85]
	v_fma_f64 v[82:83], v[2:3], v[10:11], -v[82:83]
	v_fma_f64 v[12:13], v[4:5], v[10:11], v[12:13]
	v_add_f64 v[10:11], v[78:79], v[82:83]
	v_mul_f64 v[78:79], v[4:5], v[8:9]
	v_add_f64 v[12:13], v[12:13], v[80:81]
	v_fma_f64 v[78:79], v[2:3], v[6:7], -v[78:79]
	v_mul_f64 v[2:3], v[2:3], v[8:9]
	v_add_f64 v[74:75], v[74:75], v[78:79]
	v_fma_f64 v[2:3], v[4:5], v[6:7], v[2:3]
	v_add_f64 v[76:77], v[2:3], v[76:77]
	s_cbranch_vccnz .LBB259_2
	s_branch .LBB259_4
.LBB259_3:
	v_mov_b32_e32 v48, 0
	v_mov_b32_e32 v52, 0
	;; [unrolled: 1-line block ×64, first 2 shown]
.LBB259_4:
	s_load_dwordx2 s[4:5], s[4:5], 0x90
	v_cmp_neq_f64_e64 s10, s[14:15], 0
	v_cmp_neq_f64_e64 s11, s[16:17], 0
	v_add_co_u32 v6, s8, s8, v1
	v_add_co_ci_u32_e64 v7, null, s9, 0, s8
	s_waitcnt lgkmcnt(0)
	s_lshl_b64 s[4:5], s[4:5], 4
	s_add_u32 s4, s2, s4
	s_addc_u32 s5, s3, s5
	v_add_co_u32 v0, s3, s6, v0
	v_add_co_ci_u32_e64 v1, null, s7, 0, s3
	s_or_b32 s2, s10, s11
	s_and_b32 vcc_lo, exec_lo, s2
	s_cbranch_vccnz .LBB259_6
; %bb.5:
	v_mul_f64 v[4:5], s[40:41], v[52:53]
	v_mul_f64 v[8:9], s[38:39], v[52:53]
	v_mul_lo_u32 v78, v7, s26
	v_mul_lo_u32 v79, v6, s27
	v_mad_u64_u32 v[2:3], null, v6, s26, 0
	v_mul_f64 v[26:27], s[40:41], v[36:37]
	v_mul_f64 v[28:29], s[38:39], v[36:37]
	;; [unrolled: 1-line block ×6, first 2 shown]
	v_add3_u32 v3, v3, v79, v78
	v_mul_f64 v[78:79], s[40:41], v[32:33]
	v_mul_f64 v[88:89], s[38:39], v[72:73]
	;; [unrolled: 1-line block ×4, first 2 shown]
	v_lshlrev_b64 v[2:3], 4, v[2:3]
	v_mul_f64 v[94:95], s[40:41], v[58:59]
	v_mul_f64 v[96:97], s[38:39], v[58:59]
	;; [unrolled: 1-line block ×4, first 2 shown]
	s_lshl_b64 s[2:3], s[26:27], 8
	v_add_co_u32 v104, vcc_lo, s4, v2
	v_add_co_ci_u32_e64 v105, null, s5, v3, vcc_lo
	v_fma_f64 v[2:3], s[38:39], v[48:49], -v[4:5]
	v_fma_f64 v[4:5], s[40:41], v[48:49], v[8:9]
	v_lshlrev_b64 v[8:9], 4, v[0:1]
	v_fma_f64 v[26:27], s[38:39], v[34:35], -v[26:27]
	v_fma_f64 v[28:29], s[40:41], v[34:35], v[28:29]
	v_fma_f64 v[80:81], s[40:41], v[30:31], v[80:81]
	v_fma_f64 v[82:83], s[38:39], v[22:23], -v[82:83]
	v_fma_f64 v[84:85], s[40:41], v[22:23], v[84:85]
	v_add_co_u32 v102, vcc_lo, v104, v8
	v_fma_f64 v[78:79], s[38:39], v[30:31], -v[78:79]
	v_add_co_ci_u32_e64 v103, null, v105, v9, vcc_lo
	v_fma_f64 v[86:87], s[38:39], v[70:71], -v[86:87]
	v_fma_f64 v[88:89], s[40:41], v[70:71], v[88:89]
	v_fma_f64 v[90:91], s[38:39], v[62:63], -v[90:91]
	v_fma_f64 v[92:93], s[40:41], v[62:63], v[92:93]
	;; [unrolled: 2-line block ×3, first 2 shown]
	v_add_co_u32 v106, vcc_lo, v104, s2
	v_add_co_ci_u32_e64 v107, null, s3, v105, vcc_lo
	flat_store_dwordx4 v[102:103], v[2:5]
	v_fma_f64 v[2:3], s[38:39], v[42:43], -v[98:99]
	v_fma_f64 v[4:5], s[40:41], v[42:43], v[100:101]
	v_add_co_u32 v104, vcc_lo, v106, v8
	v_add_co_ci_u32_e64 v105, null, v107, v9, vcc_lo
	flat_store_dwordx4 v[102:103], v[26:29] offset:256
	flat_store_dwordx4 v[102:103], v[78:81] offset:512
	flat_store_dwordx4 v[102:103], v[82:85] offset:768
	flat_store_dwordx4 v[104:105], v[86:89]
	flat_store_dwordx4 v[104:105], v[90:93] offset:256
	flat_store_dwordx4 v[104:105], v[94:97] offset:512
	v_mul_f64 v[26:27], s[40:41], v[68:69]
	v_mul_f64 v[28:29], s[38:39], v[68:69]
	;; [unrolled: 1-line block ×12, first 2 shown]
	flat_store_dwordx4 v[104:105], v[2:5] offset:768
	v_mul_f64 v[2:3], s[40:41], v[76:77]
	v_mul_f64 v[4:5], s[38:39], v[76:77]
	;; [unrolled: 1-line block ×4, first 2 shown]
	v_add_co_u32 v104, vcc_lo, v106, s2
	v_add_co_ci_u32_e64 v105, null, s3, v107, vcc_lo
	v_fma_f64 v[26:27], s[38:39], v[66:67], -v[26:27]
	v_fma_f64 v[28:29], s[40:41], v[66:67], v[28:29]
	v_fma_f64 v[78:79], s[38:39], v[56:57], -v[78:79]
	v_fma_f64 v[80:81], s[40:41], v[56:57], v[80:81]
	;; [unrolled: 2-line block ×6, first 2 shown]
	v_add_co_u32 v106, vcc_lo, v104, s2
	v_fma_f64 v[102:103], s[38:39], v[74:75], -v[2:3]
	v_fma_f64 v[2:3], s[40:41], v[74:75], v[4:5]
	v_fma_f64 v[98:99], s[38:39], v[10:11], -v[98:99]
	v_fma_f64 v[100:101], s[40:41], v[10:11], v[100:101]
	v_add_co_ci_u32_e64 v107, null, s3, v105, vcc_lo
	v_add_co_u32 v4, vcc_lo, v104, v8
	v_add_co_ci_u32_e64 v5, null, v105, v9, vcc_lo
	v_add_co_u32 v8, vcc_lo, v106, v8
	v_add_co_ci_u32_e64 v9, null, v107, v9, vcc_lo
	flat_store_dwordx4 v[4:5], v[26:29]
	flat_store_dwordx4 v[4:5], v[78:81] offset:256
	flat_store_dwordx4 v[4:5], v[82:85] offset:512
	flat_store_dwordx4 v[4:5], v[86:89] offset:768
	flat_store_dwordx4 v[8:9], v[90:93]
	v_add_co_u32 v4, vcc_lo, 0x300, v8
	v_add_co_ci_u32_e64 v5, null, 0, v9, vcc_lo
	flat_store_dwordx4 v[8:9], v[94:97] offset:256
	flat_store_dwordx4 v[8:9], v[98:101] offset:512
	flat_store_dwordx2 v[8:9], v[102:103] offset:768
	s_cbranch_execz .LBB259_7
	s_branch .LBB259_8
.LBB259_6:
                                        ; implicit-def: $vgpr2_vgpr3
                                        ; implicit-def: $vgpr4_vgpr5
.LBB259_7:
	v_mul_lo_u32 v4, v7, s20
	v_mul_lo_u32 v5, v6, s21
	v_mad_u64_u32 v[2:3], null, v6, s20, 0
	s_lshl_b64 s[2:3], s[22:23], 4
	v_mul_f64 v[26:27], s[40:41], v[52:53]
	s_add_u32 s0, s0, s2
	s_addc_u32 s1, s1, s3
	v_mul_f64 v[28:29], s[38:39], v[52:53]
	s_lshl_b64 s[2:3], s[26:27], 8
	v_add3_u32 v3, v3, v5, v4
	v_lshlrev_b64 v[4:5], 4, v[0:1]
	v_lshlrev_b64 v[2:3], 4, v[2:3]
	v_add_co_u32 v78, vcc_lo, s0, v2
	v_add_co_ci_u32_e64 v79, null, s1, v3, vcc_lo
	s_lshl_b64 s[0:1], s[20:21], 8
	v_add_co_u32 v8, vcc_lo, v78, v4
	v_add_co_ci_u32_e64 v9, null, v79, v5, vcc_lo
	v_fma_f64 v[26:27], s[38:39], v[48:49], -v[26:27]
	v_fma_f64 v[28:29], s[40:41], v[48:49], v[28:29]
	flat_load_dwordx4 v[0:3], v[8:9]
	s_waitcnt vmcnt(0) lgkmcnt(0)
	v_mul_f64 v[52:53], s[16:17], v[2:3]
	v_mul_f64 v[2:3], s[14:15], v[2:3]
	v_fma_f64 v[48:49], s[14:15], v[0:1], -v[52:53]
	v_fma_f64 v[2:3], s[16:17], v[0:1], v[2:3]
	v_mul_lo_u32 v0, v7, s26
	v_mul_lo_u32 v1, v6, s27
	v_mad_u64_u32 v[6:7], null, v6, s26, 0
	v_add3_u32 v7, v7, v1, v0
	v_lshlrev_b64 v[6:7], 4, v[6:7]
	v_add_f64 v[0:1], v[26:27], v[48:49]
	v_add_f64 v[2:3], v[28:29], v[2:3]
	v_add_co_u32 v48, vcc_lo, s4, v6
	v_add_co_ci_u32_e64 v49, null, s5, v7, vcc_lo
	v_mul_f64 v[26:27], s[40:41], v[36:37]
	v_add_co_u32 v6, vcc_lo, v48, v4
	v_add_co_ci_u32_e64 v7, null, v49, v5, vcc_lo
	v_mul_f64 v[28:29], s[38:39], v[36:37]
	flat_store_dwordx4 v[6:7], v[0:3]
	flat_load_dwordx4 v[0:3], v[8:9] offset:256
	v_fma_f64 v[26:27], s[38:39], v[34:35], -v[26:27]
	v_fma_f64 v[28:29], s[40:41], v[34:35], v[28:29]
	s_waitcnt vmcnt(0) lgkmcnt(0)
	v_mul_f64 v[36:37], s[16:17], v[2:3]
	v_mul_f64 v[2:3], s[14:15], v[2:3]
	v_fma_f64 v[34:35], s[14:15], v[0:1], -v[36:37]
	v_fma_f64 v[2:3], s[16:17], v[0:1], v[2:3]
	v_add_f64 v[0:1], v[26:27], v[34:35]
	v_add_f64 v[2:3], v[28:29], v[2:3]
	v_mul_f64 v[26:27], s[40:41], v[32:33]
	v_mul_f64 v[28:29], s[38:39], v[32:33]
	flat_store_dwordx4 v[6:7], v[0:3] offset:256
	flat_load_dwordx4 v[0:3], v[8:9] offset:512
	v_fma_f64 v[26:27], s[38:39], v[30:31], -v[26:27]
	v_fma_f64 v[28:29], s[40:41], v[30:31], v[28:29]
	s_waitcnt vmcnt(0) lgkmcnt(0)
	v_mul_f64 v[32:33], s[16:17], v[2:3]
	v_mul_f64 v[2:3], s[14:15], v[2:3]
	v_fma_f64 v[30:31], s[14:15], v[0:1], -v[32:33]
	v_fma_f64 v[2:3], s[16:17], v[0:1], v[2:3]
	v_add_f64 v[0:1], v[26:27], v[30:31]
	v_add_f64 v[2:3], v[28:29], v[2:3]
	v_add_co_u32 v28, vcc_lo, v78, s0
	v_add_co_ci_u32_e64 v29, null, s1, v79, vcc_lo
	flat_store_dwordx4 v[6:7], v[0:3] offset:512
	flat_load_dwordx4 v[0:3], v[8:9] offset:768
	v_mul_f64 v[8:9], s[40:41], v[24:25]
	v_mul_f64 v[24:25], s[38:39], v[24:25]
	v_fma_f64 v[8:9], s[38:39], v[22:23], -v[8:9]
	v_fma_f64 v[22:23], s[40:41], v[22:23], v[24:25]
	s_waitcnt vmcnt(0) lgkmcnt(0)
	v_mul_f64 v[26:27], s[16:17], v[2:3]
	v_mul_f64 v[2:3], s[14:15], v[2:3]
	v_fma_f64 v[24:25], s[14:15], v[0:1], -v[26:27]
	v_fma_f64 v[2:3], s[16:17], v[0:1], v[2:3]
	v_add_f64 v[0:1], v[8:9], v[24:25]
	v_add_f64 v[2:3], v[22:23], v[2:3]
	v_add_co_u32 v8, vcc_lo, v28, v4
	v_add_co_ci_u32_e64 v9, null, v29, v5, vcc_lo
	v_mul_f64 v[22:23], s[38:39], v[72:73]
	v_add_co_u32 v30, vcc_lo, v48, s2
	v_add_co_ci_u32_e64 v31, null, s3, v49, vcc_lo
	flat_store_dwordx4 v[6:7], v[0:3] offset:768
	flat_load_dwordx4 v[0:3], v[8:9]
	v_mul_f64 v[6:7], s[40:41], v[72:73]
	v_fma_f64 v[22:23], s[40:41], v[70:71], v[22:23]
	v_fma_f64 v[6:7], s[38:39], v[70:71], -v[6:7]
	s_waitcnt vmcnt(0) lgkmcnt(0)
	v_mul_f64 v[24:25], s[16:17], v[2:3]
	v_mul_f64 v[2:3], s[14:15], v[2:3]
	v_fma_f64 v[24:25], s[14:15], v[0:1], -v[24:25]
	v_fma_f64 v[2:3], s[16:17], v[0:1], v[2:3]
	v_add_f64 v[0:1], v[6:7], v[24:25]
	v_add_f64 v[2:3], v[22:23], v[2:3]
	v_add_co_u32 v6, vcc_lo, v30, v4
	v_add_co_ci_u32_e64 v7, null, v31, v5, vcc_lo
	v_mul_f64 v[22:23], s[40:41], v[64:65]
	v_mul_f64 v[24:25], s[38:39], v[64:65]
	v_add_co_u32 v28, vcc_lo, v28, s0
	v_add_co_ci_u32_e64 v29, null, s1, v29, vcc_lo
	flat_store_dwordx4 v[6:7], v[0:3]
	flat_load_dwordx4 v[0:3], v[8:9] offset:256
	v_fma_f64 v[22:23], s[38:39], v[62:63], -v[22:23]
	v_fma_f64 v[24:25], s[40:41], v[62:63], v[24:25]
	s_waitcnt vmcnt(0) lgkmcnt(0)
	v_mul_f64 v[26:27], s[16:17], v[2:3]
	v_mul_f64 v[2:3], s[14:15], v[2:3]
	v_fma_f64 v[26:27], s[14:15], v[0:1], -v[26:27]
	v_fma_f64 v[2:3], s[16:17], v[0:1], v[2:3]
	v_add_f64 v[0:1], v[22:23], v[26:27]
	v_add_f64 v[2:3], v[24:25], v[2:3]
	v_mul_f64 v[22:23], s[40:41], v[58:59]
	v_mul_f64 v[24:25], s[38:39], v[58:59]
	flat_store_dwordx4 v[6:7], v[0:3] offset:256
	flat_load_dwordx4 v[0:3], v[8:9] offset:512
	v_fma_f64 v[22:23], s[38:39], v[54:55], -v[22:23]
	v_fma_f64 v[24:25], s[40:41], v[54:55], v[24:25]
	s_waitcnt vmcnt(0) lgkmcnt(0)
	v_mul_f64 v[26:27], s[16:17], v[2:3]
	v_mul_f64 v[2:3], s[14:15], v[2:3]
	v_fma_f64 v[26:27], s[14:15], v[0:1], -v[26:27]
	v_fma_f64 v[2:3], s[16:17], v[0:1], v[2:3]
	v_add_f64 v[0:1], v[22:23], v[26:27]
	v_add_f64 v[2:3], v[24:25], v[2:3]
	v_mul_f64 v[22:23], s[38:39], v[46:47]
	flat_store_dwordx4 v[6:7], v[0:3] offset:512
	flat_load_dwordx4 v[0:3], v[8:9] offset:768
	v_mul_f64 v[8:9], s[40:41], v[46:47]
	v_fma_f64 v[22:23], s[40:41], v[42:43], v[22:23]
	v_fma_f64 v[8:9], s[38:39], v[42:43], -v[8:9]
	s_waitcnt vmcnt(0) lgkmcnt(0)
	v_mul_f64 v[24:25], s[16:17], v[2:3]
	v_mul_f64 v[2:3], s[14:15], v[2:3]
	v_fma_f64 v[24:25], s[14:15], v[0:1], -v[24:25]
	v_fma_f64 v[2:3], s[16:17], v[0:1], v[2:3]
	v_add_f64 v[0:1], v[8:9], v[24:25]
	v_add_f64 v[2:3], v[22:23], v[2:3]
	v_add_co_u32 v8, vcc_lo, v28, v4
	v_add_co_ci_u32_e64 v9, null, v29, v5, vcc_lo
	v_mul_f64 v[22:23], s[38:39], v[68:69]
	v_add_co_u32 v30, vcc_lo, v30, s2
	v_add_co_ci_u32_e64 v31, null, s3, v31, vcc_lo
	flat_store_dwordx4 v[6:7], v[0:3] offset:768
	flat_load_dwordx4 v[0:3], v[8:9]
	v_mul_f64 v[6:7], s[40:41], v[68:69]
	v_fma_f64 v[22:23], s[40:41], v[66:67], v[22:23]
	v_fma_f64 v[6:7], s[38:39], v[66:67], -v[6:7]
	s_waitcnt vmcnt(0) lgkmcnt(0)
	v_mul_f64 v[24:25], s[16:17], v[2:3]
	v_mul_f64 v[2:3], s[14:15], v[2:3]
	v_fma_f64 v[24:25], s[14:15], v[0:1], -v[24:25]
	v_fma_f64 v[2:3], s[16:17], v[0:1], v[2:3]
	v_add_f64 v[0:1], v[6:7], v[24:25]
	v_add_f64 v[2:3], v[22:23], v[2:3]
	v_add_co_u32 v6, vcc_lo, v30, v4
	v_add_co_ci_u32_e64 v7, null, v31, v5, vcc_lo
	v_mul_f64 v[22:23], s[40:41], v[60:61]
	v_mul_f64 v[24:25], s[38:39], v[60:61]
	flat_store_dwordx4 v[6:7], v[0:3]
	flat_load_dwordx4 v[0:3], v[8:9] offset:256
	v_fma_f64 v[22:23], s[38:39], v[56:57], -v[22:23]
	v_fma_f64 v[24:25], s[40:41], v[56:57], v[24:25]
	s_waitcnt vmcnt(0) lgkmcnt(0)
	v_mul_f64 v[26:27], s[16:17], v[2:3]
	v_mul_f64 v[2:3], s[14:15], v[2:3]
	v_fma_f64 v[26:27], s[14:15], v[0:1], -v[26:27]
	v_fma_f64 v[2:3], s[16:17], v[0:1], v[2:3]
	v_add_f64 v[0:1], v[22:23], v[26:27]
	v_add_f64 v[2:3], v[24:25], v[2:3]
	v_mul_f64 v[22:23], s[40:41], v[50:51]
	v_mul_f64 v[24:25], s[38:39], v[50:51]
	flat_store_dwordx4 v[6:7], v[0:3] offset:256
	flat_load_dwordx4 v[0:3], v[8:9] offset:512
	v_fma_f64 v[22:23], s[38:39], v[44:45], -v[22:23]
	v_fma_f64 v[24:25], s[40:41], v[44:45], v[24:25]
	s_waitcnt vmcnt(0) lgkmcnt(0)
	v_mul_f64 v[26:27], s[16:17], v[2:3]
	v_mul_f64 v[2:3], s[14:15], v[2:3]
	v_fma_f64 v[26:27], s[14:15], v[0:1], -v[26:27]
	v_fma_f64 v[2:3], s[16:17], v[0:1], v[2:3]
	v_add_f64 v[0:1], v[22:23], v[26:27]
	v_add_f64 v[2:3], v[24:25], v[2:3]
	v_mul_f64 v[22:23], s[38:39], v[40:41]
	flat_store_dwordx4 v[6:7], v[0:3] offset:512
	flat_load_dwordx4 v[0:3], v[8:9] offset:768
	v_mul_f64 v[8:9], s[40:41], v[40:41]
	v_fma_f64 v[22:23], s[40:41], v[38:39], v[22:23]
	v_fma_f64 v[8:9], s[38:39], v[38:39], -v[8:9]
	s_waitcnt vmcnt(0) lgkmcnt(0)
	v_mul_f64 v[24:25], s[16:17], v[2:3]
	v_mul_f64 v[2:3], s[14:15], v[2:3]
	v_fma_f64 v[24:25], s[14:15], v[0:1], -v[24:25]
	v_fma_f64 v[2:3], s[16:17], v[0:1], v[2:3]
	v_add_f64 v[0:1], v[8:9], v[24:25]
	v_add_f64 v[2:3], v[22:23], v[2:3]
	v_add_co_u32 v8, vcc_lo, v28, s0
	v_add_co_ci_u32_e64 v9, null, s1, v29, vcc_lo
	v_add_co_u32 v8, vcc_lo, v8, v4
	v_add_co_ci_u32_e64 v9, null, v9, v5, vcc_lo
	flat_store_dwordx4 v[6:7], v[0:3] offset:768
	flat_load_dwordx4 v[0:3], v[8:9]
	v_mul_f64 v[6:7], s[40:41], v[20:21]
	v_mul_f64 v[20:21], s[38:39], v[20:21]
	v_fma_f64 v[6:7], s[38:39], v[18:19], -v[6:7]
	v_fma_f64 v[18:19], s[40:41], v[18:19], v[20:21]
	s_waitcnt vmcnt(0) lgkmcnt(0)
	v_mul_f64 v[22:23], s[16:17], v[2:3]
	v_mul_f64 v[2:3], s[14:15], v[2:3]
	v_fma_f64 v[20:21], s[14:15], v[0:1], -v[22:23]
	v_fma_f64 v[2:3], s[16:17], v[0:1], v[2:3]
	v_add_f64 v[0:1], v[6:7], v[20:21]
	v_add_f64 v[2:3], v[18:19], v[2:3]
	v_add_co_u32 v6, vcc_lo, v30, s2
	v_add_co_ci_u32_e64 v7, null, s3, v31, vcc_lo
	v_add_co_u32 v6, vcc_lo, v6, v4
	v_add_co_ci_u32_e64 v7, null, v7, v5, vcc_lo
	v_mul_f64 v[4:5], s[40:41], v[16:17]
	v_mul_f64 v[16:17], s[38:39], v[16:17]
	flat_store_dwordx4 v[6:7], v[0:3]
	flat_load_dwordx4 v[0:3], v[8:9] offset:256
	v_fma_f64 v[4:5], s[38:39], v[14:15], -v[4:5]
	v_fma_f64 v[14:15], s[40:41], v[14:15], v[16:17]
	s_waitcnt vmcnt(0) lgkmcnt(0)
	v_mul_f64 v[18:19], s[16:17], v[2:3]
	v_mul_f64 v[2:3], s[14:15], v[2:3]
	v_fma_f64 v[16:17], s[14:15], v[0:1], -v[18:19]
	v_fma_f64 v[2:3], s[16:17], v[0:1], v[2:3]
	v_add_f64 v[0:1], v[4:5], v[16:17]
	v_add_f64 v[2:3], v[14:15], v[2:3]
	v_mul_f64 v[4:5], s[40:41], v[12:13]
	v_mul_f64 v[12:13], s[38:39], v[12:13]
	flat_store_dwordx4 v[6:7], v[0:3] offset:256
	flat_load_dwordx4 v[0:3], v[8:9] offset:512
	v_fma_f64 v[4:5], s[38:39], v[10:11], -v[4:5]
	v_fma_f64 v[10:11], s[40:41], v[10:11], v[12:13]
	s_waitcnt vmcnt(0) lgkmcnt(0)
	v_mul_f64 v[14:15], s[16:17], v[2:3]
	v_mul_f64 v[2:3], s[14:15], v[2:3]
	v_fma_f64 v[12:13], s[14:15], v[0:1], -v[14:15]
	v_fma_f64 v[2:3], s[16:17], v[0:1], v[2:3]
	v_add_f64 v[0:1], v[4:5], v[12:13]
	v_add_f64 v[2:3], v[10:11], v[2:3]
	v_mul_f64 v[4:5], s[40:41], v[76:77]
	flat_store_dwordx4 v[6:7], v[0:3] offset:512
	flat_load_dwordx4 v[0:3], v[8:9] offset:768
	v_mul_f64 v[8:9], s[38:39], v[76:77]
	v_fma_f64 v[4:5], s[38:39], v[74:75], -v[4:5]
	v_fma_f64 v[8:9], s[40:41], v[74:75], v[8:9]
	s_waitcnt vmcnt(0) lgkmcnt(0)
	v_mul_f64 v[10:11], s[16:17], v[2:3]
	v_mul_f64 v[2:3], s[14:15], v[2:3]
	v_fma_f64 v[10:11], s[14:15], v[0:1], -v[10:11]
	v_fma_f64 v[0:1], s[16:17], v[0:1], v[2:3]
	v_add_f64 v[10:11], v[4:5], v[10:11]
	v_add_f64 v[2:3], v[8:9], v[0:1]
	v_add_co_u32 v4, vcc_lo, 0x300, v6
	v_add_co_ci_u32_e64 v5, null, 0, v7, vcc_lo
	flat_store_dwordx2 v[6:7], v[10:11] offset:768
.LBB259_8:
	flat_store_dwordx2 v[4:5], v[2:3] offset:8
	s_endpgm
	.section	.rodata,"a",@progbits
	.p2align	6, 0x0
	.amdhsa_kernel _ZN12_GLOBAL__N_127rocblas_gemm_batched_kernelI19rocblas_complex_numIdELi16ELi16ELi64ELi64ELi4ELi64ELi4ELi4ELi64ELc84ELc67EKPKS2_S5_KPS2_EEvlllT_PT11_llSA_llS8_PT12_llPT13_lli
		.amdhsa_group_segment_fixed_size 8192
		.amdhsa_private_segment_fixed_size 0
		.amdhsa_kernarg_size 156
		.amdhsa_user_sgpr_count 6
		.amdhsa_user_sgpr_private_segment_buffer 1
		.amdhsa_user_sgpr_dispatch_ptr 0
		.amdhsa_user_sgpr_queue_ptr 0
		.amdhsa_user_sgpr_kernarg_segment_ptr 1
		.amdhsa_user_sgpr_dispatch_id 0
		.amdhsa_user_sgpr_flat_scratch_init 0
		.amdhsa_user_sgpr_private_segment_size 0
		.amdhsa_wavefront_size32 1
		.amdhsa_uses_dynamic_stack 0
		.amdhsa_system_sgpr_private_segment_wavefront_offset 0
		.amdhsa_system_sgpr_workgroup_id_x 1
		.amdhsa_system_sgpr_workgroup_id_y 1
		.amdhsa_system_sgpr_workgroup_id_z 1
		.amdhsa_system_sgpr_workgroup_info 0
		.amdhsa_system_vgpr_workitem_id 1
		.amdhsa_next_free_vgpr 138
		.amdhsa_next_free_sgpr 52
		.amdhsa_reserve_vcc 1
		.amdhsa_reserve_flat_scratch 0
		.amdhsa_float_round_mode_32 0
		.amdhsa_float_round_mode_16_64 0
		.amdhsa_float_denorm_mode_32 3
		.amdhsa_float_denorm_mode_16_64 3
		.amdhsa_dx10_clamp 1
		.amdhsa_ieee_mode 1
		.amdhsa_fp16_overflow 0
		.amdhsa_workgroup_processor_mode 1
		.amdhsa_memory_ordered 1
		.amdhsa_forward_progress 1
		.amdhsa_shared_vgpr_count 0
		.amdhsa_exception_fp_ieee_invalid_op 0
		.amdhsa_exception_fp_denorm_src 0
		.amdhsa_exception_fp_ieee_div_zero 0
		.amdhsa_exception_fp_ieee_overflow 0
		.amdhsa_exception_fp_ieee_underflow 0
		.amdhsa_exception_fp_ieee_inexact 0
		.amdhsa_exception_int_div_zero 0
	.end_amdhsa_kernel
	.section	.text._ZN12_GLOBAL__N_127rocblas_gemm_batched_kernelI19rocblas_complex_numIdELi16ELi16ELi64ELi64ELi4ELi64ELi4ELi4ELi64ELc84ELc67EKPKS2_S5_KPS2_EEvlllT_PT11_llSA_llS8_PT12_llPT13_lli,"axG",@progbits,_ZN12_GLOBAL__N_127rocblas_gemm_batched_kernelI19rocblas_complex_numIdELi16ELi16ELi64ELi64ELi4ELi64ELi4ELi4ELi64ELc84ELc67EKPKS2_S5_KPS2_EEvlllT_PT11_llSA_llS8_PT12_llPT13_lli,comdat
.Lfunc_end259:
	.size	_ZN12_GLOBAL__N_127rocblas_gemm_batched_kernelI19rocblas_complex_numIdELi16ELi16ELi64ELi64ELi4ELi64ELi4ELi4ELi64ELc84ELc67EKPKS2_S5_KPS2_EEvlllT_PT11_llSA_llS8_PT12_llPT13_lli, .Lfunc_end259-_ZN12_GLOBAL__N_127rocblas_gemm_batched_kernelI19rocblas_complex_numIdELi16ELi16ELi64ELi64ELi4ELi64ELi4ELi4ELi64ELc84ELc67EKPKS2_S5_KPS2_EEvlllT_PT11_llSA_llS8_PT12_llPT13_lli
                                        ; -- End function
	.set _ZN12_GLOBAL__N_127rocblas_gemm_batched_kernelI19rocblas_complex_numIdELi16ELi16ELi64ELi64ELi4ELi64ELi4ELi4ELi64ELc84ELc67EKPKS2_S5_KPS2_EEvlllT_PT11_llSA_llS8_PT12_llPT13_lli.num_vgpr, 138
	.set _ZN12_GLOBAL__N_127rocblas_gemm_batched_kernelI19rocblas_complex_numIdELi16ELi16ELi64ELi64ELi4ELi64ELi4ELi4ELi64ELc84ELc67EKPKS2_S5_KPS2_EEvlllT_PT11_llSA_llS8_PT12_llPT13_lli.num_agpr, 0
	.set _ZN12_GLOBAL__N_127rocblas_gemm_batched_kernelI19rocblas_complex_numIdELi16ELi16ELi64ELi64ELi4ELi64ELi4ELi4ELi64ELc84ELc67EKPKS2_S5_KPS2_EEvlllT_PT11_llSA_llS8_PT12_llPT13_lli.numbered_sgpr, 52
	.set _ZN12_GLOBAL__N_127rocblas_gemm_batched_kernelI19rocblas_complex_numIdELi16ELi16ELi64ELi64ELi4ELi64ELi4ELi4ELi64ELc84ELc67EKPKS2_S5_KPS2_EEvlllT_PT11_llSA_llS8_PT12_llPT13_lli.num_named_barrier, 0
	.set _ZN12_GLOBAL__N_127rocblas_gemm_batched_kernelI19rocblas_complex_numIdELi16ELi16ELi64ELi64ELi4ELi64ELi4ELi4ELi64ELc84ELc67EKPKS2_S5_KPS2_EEvlllT_PT11_llSA_llS8_PT12_llPT13_lli.private_seg_size, 0
	.set _ZN12_GLOBAL__N_127rocblas_gemm_batched_kernelI19rocblas_complex_numIdELi16ELi16ELi64ELi64ELi4ELi64ELi4ELi4ELi64ELc84ELc67EKPKS2_S5_KPS2_EEvlllT_PT11_llSA_llS8_PT12_llPT13_lli.uses_vcc, 1
	.set _ZN12_GLOBAL__N_127rocblas_gemm_batched_kernelI19rocblas_complex_numIdELi16ELi16ELi64ELi64ELi4ELi64ELi4ELi4ELi64ELc84ELc67EKPKS2_S5_KPS2_EEvlllT_PT11_llSA_llS8_PT12_llPT13_lli.uses_flat_scratch, 0
	.set _ZN12_GLOBAL__N_127rocblas_gemm_batched_kernelI19rocblas_complex_numIdELi16ELi16ELi64ELi64ELi4ELi64ELi4ELi4ELi64ELc84ELc67EKPKS2_S5_KPS2_EEvlllT_PT11_llSA_llS8_PT12_llPT13_lli.has_dyn_sized_stack, 0
	.set _ZN12_GLOBAL__N_127rocblas_gemm_batched_kernelI19rocblas_complex_numIdELi16ELi16ELi64ELi64ELi4ELi64ELi4ELi4ELi64ELc84ELc67EKPKS2_S5_KPS2_EEvlllT_PT11_llSA_llS8_PT12_llPT13_lli.has_recursion, 0
	.set _ZN12_GLOBAL__N_127rocblas_gemm_batched_kernelI19rocblas_complex_numIdELi16ELi16ELi64ELi64ELi4ELi64ELi4ELi4ELi64ELc84ELc67EKPKS2_S5_KPS2_EEvlllT_PT11_llSA_llS8_PT12_llPT13_lli.has_indirect_call, 0
	.section	.AMDGPU.csdata,"",@progbits
; Kernel info:
; codeLenInByte = 7404
; TotalNumSgprs: 54
; NumVgprs: 138
; ScratchSize: 0
; MemoryBound: 0
; FloatMode: 240
; IeeeMode: 1
; LDSByteSize: 8192 bytes/workgroup (compile time only)
; SGPRBlocks: 0
; VGPRBlocks: 17
; NumSGPRsForWavesPerEU: 54
; NumVGPRsForWavesPerEU: 138
; Occupancy: 7
; WaveLimiterHint : 1
; COMPUTE_PGM_RSRC2:SCRATCH_EN: 0
; COMPUTE_PGM_RSRC2:USER_SGPR: 6
; COMPUTE_PGM_RSRC2:TRAP_HANDLER: 0
; COMPUTE_PGM_RSRC2:TGID_X_EN: 1
; COMPUTE_PGM_RSRC2:TGID_Y_EN: 1
; COMPUTE_PGM_RSRC2:TGID_Z_EN: 1
; COMPUTE_PGM_RSRC2:TIDIG_COMP_CNT: 1
	.section	.text._ZN12_GLOBAL__N_127rocblas_gemm_batched_kernelI19rocblas_complex_numIdELi16ELi16ELi32ELi32ELi8ELi32ELi8ELi8ELi32ELc78ELc78EKPKS2_S5_KPS2_EEvlllT_PT11_llSA_llS8_PT12_llPT13_lli,"axG",@progbits,_ZN12_GLOBAL__N_127rocblas_gemm_batched_kernelI19rocblas_complex_numIdELi16ELi16ELi32ELi32ELi8ELi32ELi8ELi8ELi32ELc78ELc78EKPKS2_S5_KPS2_EEvlllT_PT11_llSA_llS8_PT12_llPT13_lli,comdat
	.globl	_ZN12_GLOBAL__N_127rocblas_gemm_batched_kernelI19rocblas_complex_numIdELi16ELi16ELi32ELi32ELi8ELi32ELi8ELi8ELi32ELc78ELc78EKPKS2_S5_KPS2_EEvlllT_PT11_llSA_llS8_PT12_llPT13_lli ; -- Begin function _ZN12_GLOBAL__N_127rocblas_gemm_batched_kernelI19rocblas_complex_numIdELi16ELi16ELi32ELi32ELi8ELi32ELi8ELi8ELi32ELc78ELc78EKPKS2_S5_KPS2_EEvlllT_PT11_llSA_llS8_PT12_llPT13_lli
	.p2align	8
	.type	_ZN12_GLOBAL__N_127rocblas_gemm_batched_kernelI19rocblas_complex_numIdELi16ELi16ELi32ELi32ELi8ELi32ELi8ELi8ELi32ELc78ELc78EKPKS2_S5_KPS2_EEvlllT_PT11_llSA_llS8_PT12_llPT13_lli,@function
_ZN12_GLOBAL__N_127rocblas_gemm_batched_kernelI19rocblas_complex_numIdELi16ELi16ELi32ELi32ELi8ELi32ELi8ELi8ELi32ELc78ELc78EKPKS2_S5_KPS2_EEvlllT_PT11_llSA_llS8_PT12_llPT13_lli: ; @_ZN12_GLOBAL__N_127rocblas_gemm_batched_kernelI19rocblas_complex_numIdELi16ELi16ELi32ELi32ELi8ELi32ELi8ELi8ELi32ELc78ELc78EKPKS2_S5_KPS2_EEvlllT_PT11_llSA_llS8_PT12_llPT13_lli
; %bb.0:
	s_clause 0x1
	s_load_dwordx16 s[12:27], s[4:5], 0x50
	s_load_dwordx16 s[36:51], s[4:5], 0x10
	s_mov_b32 s9, 0
	s_mov_b32 s28, s7
	s_lshl_b64 s[10:11], s[8:9], 3
	s_waitcnt lgkmcnt(0)
	s_add_u32 s0, s18, s10
	s_addc_u32 s1, s19, s11
	s_add_u32 s2, s24, s10
	s_addc_u32 s3, s25, s11
	s_load_dwordx2 s[0:1], s[0:1], 0x0
	s_load_dwordx2 s[2:3], s[2:3], 0x0
	v_cmp_lt_i64_e64 s8, s[36:37], 1
	s_ashr_i32 s7, s6, 31
	s_ashr_i32 s29, s28, 31
	s_lshl_b64 s[6:7], s[6:7], 5
	s_and_b32 vcc_lo, exec_lo, s8
	s_lshl_b64 s[8:9], s[28:29], 5
	s_cbranch_vccnz .LBB260_3
; %bb.1:
	v_lshl_add_u32 v4, v1, 4, v0
	v_and_b32_e32 v5, 7, v0
	s_add_u32 s18, s42, s10
	s_addc_u32 s19, s43, s11
	s_add_u32 s10, s48, s10
	v_lshrrev_b32_e32 v6, 3, v4
	v_lshrrev_b32_e32 v8, 5, v4
	v_and_b32_e32 v10, 31, v4
	v_lshlrev_b32_e32 v11, 4, v5
	s_load_dwordx2 s[18:19], s[18:19], 0x0
	v_add_co_u32 v7, s24, v6, s8
	v_mad_u64_u32 v[2:3], null, s44, v8, s[6:7]
	v_add_co_ci_u32_e64 v9, null, 0, s9, s24
	v_mad_u64_u32 v[4:5], null, s50, v7, 0
	v_mul_lo_u32 v12, s51, v7
	v_mul_lo_u32 v9, s50, v9
	v_lshl_or_b32 v14, v6, 7, v11
	s_addc_u32 s11, s49, s11
	v_add_co_u32 v2, vcc_lo, v2, v10
	v_mad_u64_u32 v[6:7], null, s45, v8, v[3:4]
	s_load_dwordx2 s[10:11], s[10:11], 0x0
	v_add3_u32 v5, v5, v9, v12
	s_lshl_b64 s[24:25], s[46:47], 4
	v_lshlrev_b32_e32 v13, 4, v10
	s_waitcnt lgkmcnt(0)
	s_add_u32 s18, s18, s24
	s_addc_u32 s19, s19, s25
	v_add_co_ci_u32_e64 v3, null, 0, v6, vcc_lo
	v_lshlrev_b64 v[4:5], 4, v[4:5]
	s_lshl_b64 s[12:13], s[12:13], 4
	v_lshl_or_b32 v22, v8, 9, v13
	v_lshlrev_b64 v[2:3], 4, v[2:3]
	v_add_nc_u32_e32 v23, 0x1000, v14
	v_mov_b32_e32 v8, 0
	v_add_co_u32 v4, vcc_lo, v4, s12
	v_add_co_ci_u32_e64 v5, null, s13, v5, vcc_lo
	v_add_co_u32 v18, vcc_lo, s18, v2
	v_add_co_ci_u32_e64 v19, null, s19, v3, vcc_lo
	;; [unrolled: 2-line block ×3, first 2 shown]
	v_mov_b32_e32 v4, 0
	v_add_co_u32 v20, vcc_lo, s10, v20
	v_mov_b32_e32 v2, 0
	v_mov_b32_e32 v6, 0
	;; [unrolled: 1-line block ×6, first 2 shown]
	v_lshlrev_b32_e32 v24, 4, v0
	v_lshl_add_u32 v25, v1, 7, 0x1000
	v_mov_b32_e32 v5, 0
	v_mov_b32_e32 v3, 0
	;; [unrolled: 1-line block ×8, first 2 shown]
	v_add_co_ci_u32_e64 v21, null, s11, v21, vcc_lo
	s_lshl_b64 s[10:11], s[44:45], 7
	s_mov_b64 s[12:13], 0
.LBB260_2:                              ; =>This Inner Loop Header: Depth=1
	flat_load_dwordx4 v[26:29], v[18:19]
	flat_load_dwordx4 v[30:33], v[20:21]
	s_add_u32 s12, s12, 8
	s_addc_u32 s13, s13, 0
	v_add_co_u32 v18, vcc_lo, v18, s10
	v_cmp_lt_i64_e64 s18, s[12:13], s[36:37]
	v_add_co_ci_u32_e64 v19, null, s11, v19, vcc_lo
	v_add_co_u32 v20, vcc_lo, 0x80, v20
	v_add_co_ci_u32_e64 v21, null, 0, v21, vcc_lo
	s_and_b32 vcc_lo, exec_lo, s18
	s_waitcnt vmcnt(1) lgkmcnt(1)
	ds_write2_b64 v22, v[26:27], v[28:29] offset1:1
	s_waitcnt vmcnt(0) lgkmcnt(1)
	ds_write2_b64 v23, v[30:31], v[32:33] offset1:1
	s_waitcnt lgkmcnt(0)
	s_barrier
	buffer_gl0_inv
	ds_read_b128 v[26:29], v24
	ds_read_b128 v[30:33], v24 offset:256
	ds_read_b128 v[34:37], v25
	ds_read_b128 v[38:41], v25 offset:16
	ds_read_b128 v[42:45], v25 offset:2048
	;; [unrolled: 1-line block ×28, first 2 shown]
	s_waitcnt lgkmcnt(28)
	v_mul_f64 v[150:151], v[36:37], v[28:29]
	v_mul_f64 v[154:155], v[36:37], v[32:33]
	;; [unrolled: 1-line block ×4, first 2 shown]
	v_fma_f64 v[150:151], v[34:35], v[26:27], -v[150:151]
	v_fma_f64 v[34:35], v[34:35], v[30:31], -v[154:155]
	s_waitcnt lgkmcnt(26)
	v_mul_f64 v[154:155], v[44:45], v[28:29]
	v_mul_f64 v[28:29], v[42:43], v[28:29]
	v_fma_f64 v[152:153], v[36:37], v[26:27], v[152:153]
	v_fma_f64 v[36:37], v[36:37], v[30:31], v[156:157]
	v_add_f64 v[14:15], v[14:15], v[150:151]
	v_add_f64 v[10:11], v[10:11], v[34:35]
	v_fma_f64 v[154:155], v[42:43], v[26:27], -v[154:155]
	v_fma_f64 v[156:157], v[44:45], v[26:27], v[28:29]
	v_mul_f64 v[26:27], v[44:45], v[32:33]
	v_mul_f64 v[28:29], v[42:43], v[32:33]
	v_add_f64 v[16:17], v[152:153], v[16:17]
	v_add_f64 v[12:13], v[36:37], v[12:13]
	s_waitcnt lgkmcnt(16)
	v_mul_f64 v[34:35], v[64:65], v[84:85]
	v_mul_f64 v[36:37], v[62:63], v[84:85]
	s_waitcnt lgkmcnt(15)
	v_mul_f64 v[150:151], v[62:63], v[88:89]
	s_waitcnt lgkmcnt(12)
	v_mul_f64 v[152:153], v[98:99], v[96:97]
	v_add_f64 v[6:7], v[6:7], v[154:155]
	v_add_f64 v[8:9], v[156:157], v[8:9]
	v_fma_f64 v[32:33], v[42:43], v[30:31], -v[26:27]
	v_fma_f64 v[30:31], v[44:45], v[30:31], v[28:29]
	v_mul_f64 v[26:27], v[40:41], v[52:53]
	v_mul_f64 v[28:29], v[38:39], v[52:53]
	;; [unrolled: 1-line block ×4, first 2 shown]
	v_fma_f64 v[34:35], v[62:63], v[82:83], -v[34:35]
	v_fma_f64 v[36:37], v[64:65], v[82:83], v[36:37]
	v_add_f64 v[2:3], v[2:3], v[32:33]
	v_add_f64 v[4:5], v[30:31], v[4:5]
	v_fma_f64 v[158:159], v[38:39], v[50:51], -v[26:27]
	v_fma_f64 v[160:161], v[40:41], v[50:51], v[28:29]
	v_mul_f64 v[26:27], v[48:49], v[52:53]
	v_mul_f64 v[28:29], v[46:47], v[52:53]
	v_fma_f64 v[38:39], v[38:39], v[54:55], -v[42:43]
	v_fma_f64 v[40:41], v[40:41], v[54:55], v[44:45]
	v_mul_f64 v[52:53], v[58:59], v[72:73]
	v_mul_f64 v[30:31], v[80:81], v[84:85]
	;; [unrolled: 1-line block ×4, first 2 shown]
	v_add_f64 v[14:15], v[14:15], v[158:159]
	v_add_f64 v[16:17], v[160:161], v[16:17]
	v_fma_f64 v[42:43], v[46:47], v[50:51], -v[26:27]
	v_fma_f64 v[44:45], v[48:49], v[50:51], v[28:29]
	v_mul_f64 v[26:27], v[48:49], v[56:57]
	v_mul_f64 v[28:29], v[46:47], v[56:57]
	v_mul_f64 v[50:51], v[60:61], v[72:73]
	v_fma_f64 v[52:53], v[60:61], v[70:71], v[52:53]
	v_add_f64 v[10:11], v[10:11], v[38:39]
	v_add_f64 v[12:13], v[40:41], v[12:13]
	s_waitcnt lgkmcnt(10)
	v_mul_f64 v[38:39], v[108:109], v[92:93]
	v_mul_f64 v[40:41], v[106:107], v[92:93]
	v_fma_f64 v[30:31], v[78:79], v[82:83], -v[30:31]
	v_fma_f64 v[32:33], v[80:81], v[82:83], v[32:33]
	s_waitcnt lgkmcnt(8)
	v_mul_f64 v[82:83], v[112:113], v[116:117]
	v_add_f64 v[6:7], v[6:7], v[42:43]
	v_add_f64 v[8:9], v[44:45], v[8:9]
	v_fma_f64 v[46:47], v[46:47], v[54:55], -v[26:27]
	v_fma_f64 v[48:49], v[48:49], v[54:55], v[28:29]
	v_mul_f64 v[26:27], v[60:61], v[68:69]
	v_mul_f64 v[28:29], v[58:59], v[68:69]
	v_fma_f64 v[50:51], v[58:59], v[70:71], -v[50:51]
	v_mul_f64 v[42:43], v[108:109], v[96:97]
	v_mul_f64 v[44:45], v[106:107], v[96:97]
	v_add_f64 v[12:13], v[52:53], v[12:13]
	s_waitcnt lgkmcnt(7)
	v_mul_f64 v[52:53], v[110:111], v[120:121]
	v_fma_f64 v[38:39], v[106:107], v[90:91], -v[38:39]
	v_fma_f64 v[40:41], v[108:109], v[90:91], v[40:41]
	v_add_f64 v[2:3], v[2:3], v[46:47]
	v_add_f64 v[4:5], v[48:49], v[4:5]
	v_fma_f64 v[54:55], v[58:59], v[66:67], -v[26:27]
	v_fma_f64 v[56:57], v[60:61], v[66:67], v[28:29]
	v_mul_f64 v[26:27], v[76:77], v[68:69]
	v_mul_f64 v[28:29], v[74:75], v[68:69]
	;; [unrolled: 1-line block ×3, first 2 shown]
	v_add_f64 v[10:11], v[10:11], v[50:51]
	v_mul_f64 v[46:47], v[104:105], v[116:117]
	v_mul_f64 v[48:49], v[102:103], v[116:117]
	;; [unrolled: 1-line block ×3, first 2 shown]
	v_fma_f64 v[42:43], v[106:107], v[94:95], -v[42:43]
	v_fma_f64 v[44:45], v[108:109], v[94:95], v[44:45]
	v_fma_f64 v[52:53], v[112:113], v[118:119], v[52:53]
	v_add_f64 v[14:15], v[14:15], v[54:55]
	v_add_f64 v[16:17], v[56:57], v[16:17]
	v_fma_f64 v[58:59], v[74:75], v[66:67], -v[26:27]
	v_fma_f64 v[60:61], v[76:77], v[66:67], v[28:29]
	v_mul_f64 v[66:67], v[76:77], v[72:73]
	v_mul_f64 v[72:73], v[64:65], v[88:89]
	v_fma_f64 v[68:69], v[76:77], v[70:71], v[68:69]
	v_mul_f64 v[76:77], v[100:101], v[92:93]
	v_fma_f64 v[64:65], v[64:65], v[86:87], v[150:151]
	v_mul_f64 v[92:93], v[102:103], v[120:121]
	s_waitcnt lgkmcnt(4)
	v_mul_f64 v[54:55], v[132:133], v[124:125]
	v_mul_f64 v[56:57], v[130:131], v[124:125]
	v_fma_f64 v[46:47], v[102:103], v[114:115], -v[46:47]
	v_fma_f64 v[48:49], v[104:105], v[114:115], v[48:49]
	v_fma_f64 v[50:51], v[110:111], v[118:119], -v[50:51]
	ds_read_b128 v[26:29], v24 offset:3840
	s_waitcnt lgkmcnt(0)
	s_barrier
	buffer_gl0_inv
	v_add_f64 v[14:15], v[14:15], v[34:35]
	v_add_f64 v[16:17], v[36:37], v[16:17]
	;; [unrolled: 1-line block ×4, first 2 shown]
	v_fma_f64 v[66:67], v[74:75], v[70:71], -v[66:67]
	v_mul_f64 v[70:71], v[80:81], v[88:89]
	v_mul_f64 v[74:75], v[78:79], v[88:89]
	;; [unrolled: 1-line block ×3, first 2 shown]
	v_fma_f64 v[62:63], v[62:63], v[86:87], -v[72:73]
	v_add_f64 v[4:5], v[68:69], v[4:5]
	v_mul_f64 v[72:73], v[104:105], v[120:121]
	v_mul_f64 v[96:97], v[110:111], v[116:117]
	v_fma_f64 v[68:69], v[100:101], v[90:91], v[84:85]
	v_add_f64 v[12:13], v[64:65], v[12:13]
	v_mul_f64 v[58:59], v[132:133], v[128:129]
	v_mul_f64 v[60:61], v[130:131], v[128:129]
	;; [unrolled: 1-line block ×5, first 2 shown]
	v_fma_f64 v[54:55], v[130:131], v[122:123], -v[54:55]
	v_fma_f64 v[56:57], v[132:133], v[122:123], v[56:57]
	v_add_f64 v[6:7], v[6:7], v[30:31]
	v_add_f64 v[8:9], v[32:33], v[8:9]
	;; [unrolled: 1-line block ×3, first 2 shown]
	v_fma_f64 v[70:71], v[78:79], v[86:87], -v[70:71]
	v_fma_f64 v[74:75], v[80:81], v[86:87], v[74:75]
	v_fma_f64 v[66:67], v[98:99], v[90:91], -v[76:77]
	v_fma_f64 v[76:77], v[98:99], v[94:95], -v[88:89]
	v_fma_f64 v[78:79], v[100:101], v[94:95], v[152:153]
	v_add_f64 v[10:11], v[10:11], v[62:63]
	v_mul_f64 v[30:31], v[140:141], v[124:125]
	v_mul_f64 v[32:33], v[138:139], v[124:125]
	v_fma_f64 v[80:81], v[112:113], v[114:115], v[96:97]
	v_add_f64 v[16:17], v[68:69], v[16:17]
	v_mul_f64 v[62:63], v[136:137], v[148:149]
	v_fma_f64 v[58:59], v[130:131], v[126:127], -v[58:59]
	v_fma_f64 v[60:61], v[132:133], v[126:127], v[60:61]
	v_fma_f64 v[34:35], v[138:139], v[126:127], -v[34:35]
	v_fma_f64 v[36:37], v[140:141], v[126:127], v[36:37]
	v_add_f64 v[6:7], v[6:7], v[38:39]
	v_add_f64 v[8:9], v[40:41], v[8:9]
	v_mul_f64 v[38:39], v[136:137], v[28:29]
	v_add_f64 v[2:3], v[2:3], v[70:71]
	v_add_f64 v[4:5], v[74:75], v[4:5]
	v_fma_f64 v[70:71], v[102:103], v[118:119], -v[72:73]
	v_fma_f64 v[72:73], v[104:105], v[118:119], v[92:93]
	v_fma_f64 v[74:75], v[110:111], v[114:115], -v[82:83]
	v_add_f64 v[14:15], v[14:15], v[66:67]
	v_add_f64 v[10:11], v[10:11], v[76:77]
	v_add_f64 v[12:13], v[78:79], v[12:13]
	v_mul_f64 v[40:41], v[134:135], v[28:29]
	v_mul_f64 v[66:67], v[144:145], v[28:29]
	;; [unrolled: 1-line block ×3, first 2 shown]
	v_fma_f64 v[30:31], v[138:139], v[122:123], -v[30:31]
	v_fma_f64 v[32:33], v[140:141], v[122:123], v[32:33]
	v_add_f64 v[16:17], v[48:49], v[16:17]
	v_fma_f64 v[48:49], v[136:137], v[146:147], v[64:65]
	v_add_f64 v[8:9], v[80:81], v[8:9]
	v_fma_f64 v[38:39], v[134:135], v[26:27], -v[38:39]
	v_add_f64 v[2:3], v[2:3], v[42:43]
	v_add_f64 v[4:5], v[44:45], v[4:5]
	v_mul_f64 v[42:43], v[144:145], v[148:149]
	v_mul_f64 v[44:45], v[142:143], v[148:149]
	v_add_f64 v[6:7], v[6:7], v[74:75]
	v_add_f64 v[14:15], v[14:15], v[46:47]
	;; [unrolled: 1-line block ×4, first 2 shown]
	v_fma_f64 v[46:47], v[134:135], v[146:147], -v[62:63]
	v_fma_f64 v[40:41], v[136:137], v[26:27], v[40:41]
	v_add_f64 v[16:17], v[56:57], v[16:17]
	v_add_f64 v[8:9], v[32:33], v[8:9]
	v_add_f64 v[2:3], v[2:3], v[50:51]
	v_add_f64 v[4:5], v[52:53], v[4:5]
	v_fma_f64 v[42:43], v[142:143], v[146:147], -v[42:43]
	v_fma_f64 v[44:45], v[144:145], v[146:147], v[44:45]
	v_fma_f64 v[50:51], v[142:143], v[26:27], -v[66:67]
	v_fma_f64 v[26:27], v[144:145], v[26:27], v[28:29]
	v_add_f64 v[14:15], v[14:15], v[54:55]
	v_add_f64 v[10:11], v[10:11], v[58:59]
	;; [unrolled: 1-line block ×14, first 2 shown]
	s_cbranch_vccnz .LBB260_2
	s_branch .LBB260_4
.LBB260_3:
	v_mov_b32_e32 v14, 0
	v_mov_b32_e32 v16, 0
	;; [unrolled: 1-line block ×16, first 2 shown]
.LBB260_4:
	s_load_dwordx2 s[4:5], s[4:5], 0x90
	v_cmp_neq_f64_e64 s10, s[14:15], 0
	v_cmp_neq_f64_e64 s11, s[16:17], 0
	v_add_co_u32 v22, s8, s8, v1
	v_add_co_ci_u32_e64 v23, null, s9, 0, s8
	s_waitcnt lgkmcnt(0)
	s_lshl_b64 s[4:5], s[4:5], 4
	s_add_u32 s2, s2, s4
	s_addc_u32 s3, s3, s5
	v_add_co_u32 v0, s5, s6, v0
	v_add_co_ci_u32_e64 v1, null, s7, 0, s5
	s_or_b32 s4, s10, s11
	s_and_b32 vcc_lo, exec_lo, s4
	s_cbranch_vccnz .LBB260_6
; %bb.5:
	v_mul_f64 v[20:21], s[40:41], v[16:17]
	v_mul_f64 v[26:27], s[38:39], v[16:17]
	;; [unrolled: 1-line block ×4, first 2 shown]
	v_mul_lo_u32 v24, v23, s26
	v_mul_lo_u32 v25, v22, s27
	v_mad_u64_u32 v[18:19], null, v22, s26, 0
	v_mul_f64 v[28:29], s[40:41], v[12:13]
	v_mul_f64 v[30:31], s[38:39], v[12:13]
	v_mul_f64 v[32:33], s[40:41], v[8:9]
	v_mul_f64 v[34:35], s[38:39], v[8:9]
	s_lshl_b64 s[4:5], s[26:27], 8
	v_lshlrev_b64 v[40:41], 4, v[0:1]
	v_add3_u32 v19, v19, v25, v24
	v_lshlrev_b64 v[18:19], 4, v[18:19]
	v_fma_f64 v[24:25], s[38:39], v[14:15], -v[20:21]
	v_fma_f64 v[26:27], s[40:41], v[14:15], v[26:27]
	v_fma_f64 v[36:37], s[38:39], v[2:3], -v[36:37]
	v_add_co_u32 v42, vcc_lo, s2, v18
	v_add_co_ci_u32_e64 v43, null, s3, v19, vcc_lo
	v_fma_f64 v[18:19], s[40:41], v[2:3], v[38:39]
	v_fma_f64 v[28:29], s[38:39], v[10:11], -v[28:29]
	v_fma_f64 v[30:31], s[40:41], v[10:11], v[30:31]
	v_fma_f64 v[32:33], s[38:39], v[6:7], -v[32:33]
	v_fma_f64 v[34:35], s[40:41], v[6:7], v[34:35]
	v_add_co_u32 v20, vcc_lo, v42, s4
	v_add_co_ci_u32_e64 v21, null, s5, v43, vcc_lo
	v_add_co_u32 v38, vcc_lo, v20, v40
	v_add_co_ci_u32_e64 v39, null, v21, v41, vcc_lo
	;; [unrolled: 2-line block ×4, first 2 shown]
	flat_store_dwordx4 v[40:41], v[24:27]
	flat_store_dwordx4 v[40:41], v[28:31] offset:256
	flat_store_dwordx4 v[38:39], v[32:35]
	flat_store_dwordx2 v[38:39], v[36:37] offset:256
	s_cbranch_execz .LBB260_7
	s_branch .LBB260_8
.LBB260_6:
                                        ; implicit-def: $vgpr18_vgpr19
                                        ; implicit-def: $vgpr20_vgpr21
.LBB260_7:
	v_mul_lo_u32 v20, v23, s20
	v_mul_lo_u32 v21, v22, s21
	v_mad_u64_u32 v[18:19], null, v22, s20, 0
	s_lshl_b64 s[4:5], s[22:23], 4
	v_lshlrev_b64 v[0:1], 4, v[0:1]
	s_add_u32 s0, s0, s4
	s_addc_u32 s1, s1, s5
	v_mul_f64 v[26:27], s[40:41], v[16:17]
	v_mul_f64 v[16:17], s[38:39], v[16:17]
	v_add3_u32 v19, v19, v21, v20
	v_mul_lo_u32 v23, v23, s26
	v_lshlrev_b64 v[18:19], 4, v[18:19]
	v_add_co_u32 v30, vcc_lo, s0, v18
	v_add_co_ci_u32_e64 v31, null, s1, v19, vcc_lo
	s_lshl_b64 s[0:1], s[20:21], 8
	v_add_co_u32 v24, vcc_lo, v30, v0
	v_add_co_ci_u32_e64 v25, null, v31, v1, vcc_lo
	v_fma_f64 v[26:27], s[38:39], v[14:15], -v[26:27]
	v_fma_f64 v[16:17], s[40:41], v[14:15], v[16:17]
	flat_load_dwordx4 v[18:21], v[24:25]
	s_waitcnt vmcnt(0) lgkmcnt(0)
	v_mul_f64 v[28:29], s[16:17], v[20:21]
	v_mul_f64 v[20:21], s[14:15], v[20:21]
	v_fma_f64 v[14:15], s[14:15], v[18:19], -v[28:29]
	v_fma_f64 v[18:19], s[16:17], v[18:19], v[20:21]
	v_mul_lo_u32 v28, v22, s27
	v_mad_u64_u32 v[20:21], null, v22, s26, 0
	v_add3_u32 v21, v21, v28, v23
	v_add_f64 v[14:15], v[26:27], v[14:15]
	v_add_f64 v[16:17], v[16:17], v[18:19]
	v_lshlrev_b64 v[18:19], 4, v[20:21]
	v_mul_f64 v[20:21], s[40:41], v[12:13]
	v_mul_f64 v[12:13], s[38:39], v[12:13]
	v_add_co_u32 v26, vcc_lo, s2, v18
	v_add_co_ci_u32_e64 v27, null, s3, v19, vcc_lo
	v_add_co_u32 v18, vcc_lo, v26, v0
	v_add_co_ci_u32_e64 v19, null, v27, v1, vcc_lo
	flat_store_dwordx4 v[18:19], v[14:17]
	flat_load_dwordx4 v[14:17], v[24:25] offset:256
	v_fma_f64 v[20:21], s[38:39], v[10:11], -v[20:21]
	v_fma_f64 v[12:13], s[40:41], v[10:11], v[12:13]
	s_waitcnt vmcnt(0) lgkmcnt(0)
	v_mul_f64 v[22:23], s[16:17], v[16:17]
	v_mul_f64 v[16:17], s[14:15], v[16:17]
	v_fma_f64 v[10:11], s[14:15], v[14:15], -v[22:23]
	v_fma_f64 v[14:15], s[16:17], v[14:15], v[16:17]
	v_mul_f64 v[16:17], s[40:41], v[8:9]
	v_mul_f64 v[8:9], s[38:39], v[8:9]
	v_add_f64 v[10:11], v[20:21], v[10:11]
	v_add_f64 v[12:13], v[12:13], v[14:15]
	v_add_co_u32 v14, vcc_lo, v30, s0
	v_add_co_ci_u32_e64 v15, null, s1, v31, vcc_lo
	v_fma_f64 v[16:17], s[38:39], v[6:7], -v[16:17]
	v_add_co_u32 v14, vcc_lo, v14, v0
	v_add_co_ci_u32_e64 v15, null, v15, v1, vcc_lo
	v_fma_f64 v[8:9], s[40:41], v[6:7], v[8:9]
	s_lshl_b64 s[0:1], s[26:27], 8
	flat_store_dwordx4 v[18:19], v[10:13] offset:256
	flat_load_dwordx4 v[10:13], v[14:15]
	s_waitcnt vmcnt(0) lgkmcnt(0)
	v_mul_f64 v[18:19], s[16:17], v[12:13]
	v_mul_f64 v[12:13], s[14:15], v[12:13]
	v_fma_f64 v[6:7], s[14:15], v[10:11], -v[18:19]
	v_fma_f64 v[10:11], s[16:17], v[10:11], v[12:13]
	v_add_f64 v[6:7], v[16:17], v[6:7]
	v_add_f64 v[8:9], v[8:9], v[10:11]
	v_add_co_u32 v10, vcc_lo, v26, s0
	v_add_co_ci_u32_e64 v11, null, s1, v27, vcc_lo
	v_add_co_u32 v0, vcc_lo, v10, v0
	v_add_co_ci_u32_e64 v1, null, v11, v1, vcc_lo
	v_mul_f64 v[10:11], s[40:41], v[4:5]
	v_mul_f64 v[4:5], s[38:39], v[4:5]
	v_add_co_u32 v20, vcc_lo, 0x100, v0
	v_add_co_ci_u32_e64 v21, null, 0, v1, vcc_lo
	flat_store_dwordx4 v[0:1], v[6:9]
	flat_load_dwordx4 v[6:9], v[14:15] offset:256
	v_fma_f64 v[10:11], s[38:39], v[2:3], -v[10:11]
	v_fma_f64 v[2:3], s[40:41], v[2:3], v[4:5]
	s_waitcnt vmcnt(0) lgkmcnt(0)
	v_mul_f64 v[12:13], s[16:17], v[8:9]
	v_mul_f64 v[8:9], s[14:15], v[8:9]
	v_fma_f64 v[4:5], s[14:15], v[6:7], -v[12:13]
	v_fma_f64 v[6:7], s[16:17], v[6:7], v[8:9]
	v_add_f64 v[4:5], v[10:11], v[4:5]
	v_add_f64 v[18:19], v[2:3], v[6:7]
	flat_store_dwordx2 v[0:1], v[4:5] offset:256
.LBB260_8:
	flat_store_dwordx2 v[20:21], v[18:19] offset:8
	s_endpgm
	.section	.rodata,"a",@progbits
	.p2align	6, 0x0
	.amdhsa_kernel _ZN12_GLOBAL__N_127rocblas_gemm_batched_kernelI19rocblas_complex_numIdELi16ELi16ELi32ELi32ELi8ELi32ELi8ELi8ELi32ELc78ELc78EKPKS2_S5_KPS2_EEvlllT_PT11_llSA_llS8_PT12_llPT13_lli
		.amdhsa_group_segment_fixed_size 8192
		.amdhsa_private_segment_fixed_size 0
		.amdhsa_kernarg_size 156
		.amdhsa_user_sgpr_count 6
		.amdhsa_user_sgpr_private_segment_buffer 1
		.amdhsa_user_sgpr_dispatch_ptr 0
		.amdhsa_user_sgpr_queue_ptr 0
		.amdhsa_user_sgpr_kernarg_segment_ptr 1
		.amdhsa_user_sgpr_dispatch_id 0
		.amdhsa_user_sgpr_flat_scratch_init 0
		.amdhsa_user_sgpr_private_segment_size 0
		.amdhsa_wavefront_size32 1
		.amdhsa_uses_dynamic_stack 0
		.amdhsa_system_sgpr_private_segment_wavefront_offset 0
		.amdhsa_system_sgpr_workgroup_id_x 1
		.amdhsa_system_sgpr_workgroup_id_y 1
		.amdhsa_system_sgpr_workgroup_id_z 1
		.amdhsa_system_sgpr_workgroup_info 0
		.amdhsa_system_vgpr_workitem_id 1
		.amdhsa_next_free_vgpr 162
		.amdhsa_next_free_sgpr 52
		.amdhsa_reserve_vcc 1
		.amdhsa_reserve_flat_scratch 0
		.amdhsa_float_round_mode_32 0
		.amdhsa_float_round_mode_16_64 0
		.amdhsa_float_denorm_mode_32 3
		.amdhsa_float_denorm_mode_16_64 3
		.amdhsa_dx10_clamp 1
		.amdhsa_ieee_mode 1
		.amdhsa_fp16_overflow 0
		.amdhsa_workgroup_processor_mode 1
		.amdhsa_memory_ordered 1
		.amdhsa_forward_progress 1
		.amdhsa_shared_vgpr_count 0
		.amdhsa_exception_fp_ieee_invalid_op 0
		.amdhsa_exception_fp_denorm_src 0
		.amdhsa_exception_fp_ieee_div_zero 0
		.amdhsa_exception_fp_ieee_overflow 0
		.amdhsa_exception_fp_ieee_underflow 0
		.amdhsa_exception_fp_ieee_inexact 0
		.amdhsa_exception_int_div_zero 0
	.end_amdhsa_kernel
	.section	.text._ZN12_GLOBAL__N_127rocblas_gemm_batched_kernelI19rocblas_complex_numIdELi16ELi16ELi32ELi32ELi8ELi32ELi8ELi8ELi32ELc78ELc78EKPKS2_S5_KPS2_EEvlllT_PT11_llSA_llS8_PT12_llPT13_lli,"axG",@progbits,_ZN12_GLOBAL__N_127rocblas_gemm_batched_kernelI19rocblas_complex_numIdELi16ELi16ELi32ELi32ELi8ELi32ELi8ELi8ELi32ELc78ELc78EKPKS2_S5_KPS2_EEvlllT_PT11_llSA_llS8_PT12_llPT13_lli,comdat
.Lfunc_end260:
	.size	_ZN12_GLOBAL__N_127rocblas_gemm_batched_kernelI19rocblas_complex_numIdELi16ELi16ELi32ELi32ELi8ELi32ELi8ELi8ELi32ELc78ELc78EKPKS2_S5_KPS2_EEvlllT_PT11_llSA_llS8_PT12_llPT13_lli, .Lfunc_end260-_ZN12_GLOBAL__N_127rocblas_gemm_batched_kernelI19rocblas_complex_numIdELi16ELi16ELi32ELi32ELi8ELi32ELi8ELi8ELi32ELc78ELc78EKPKS2_S5_KPS2_EEvlllT_PT11_llSA_llS8_PT12_llPT13_lli
                                        ; -- End function
	.set _ZN12_GLOBAL__N_127rocblas_gemm_batched_kernelI19rocblas_complex_numIdELi16ELi16ELi32ELi32ELi8ELi32ELi8ELi8ELi32ELc78ELc78EKPKS2_S5_KPS2_EEvlllT_PT11_llSA_llS8_PT12_llPT13_lli.num_vgpr, 162
	.set _ZN12_GLOBAL__N_127rocblas_gemm_batched_kernelI19rocblas_complex_numIdELi16ELi16ELi32ELi32ELi8ELi32ELi8ELi8ELi32ELc78ELc78EKPKS2_S5_KPS2_EEvlllT_PT11_llSA_llS8_PT12_llPT13_lli.num_agpr, 0
	.set _ZN12_GLOBAL__N_127rocblas_gemm_batched_kernelI19rocblas_complex_numIdELi16ELi16ELi32ELi32ELi8ELi32ELi8ELi8ELi32ELc78ELc78EKPKS2_S5_KPS2_EEvlllT_PT11_llSA_llS8_PT12_llPT13_lli.numbered_sgpr, 52
	.set _ZN12_GLOBAL__N_127rocblas_gemm_batched_kernelI19rocblas_complex_numIdELi16ELi16ELi32ELi32ELi8ELi32ELi8ELi8ELi32ELc78ELc78EKPKS2_S5_KPS2_EEvlllT_PT11_llSA_llS8_PT12_llPT13_lli.num_named_barrier, 0
	.set _ZN12_GLOBAL__N_127rocblas_gemm_batched_kernelI19rocblas_complex_numIdELi16ELi16ELi32ELi32ELi8ELi32ELi8ELi8ELi32ELc78ELc78EKPKS2_S5_KPS2_EEvlllT_PT11_llSA_llS8_PT12_llPT13_lli.private_seg_size, 0
	.set _ZN12_GLOBAL__N_127rocblas_gemm_batched_kernelI19rocblas_complex_numIdELi16ELi16ELi32ELi32ELi8ELi32ELi8ELi8ELi32ELc78ELc78EKPKS2_S5_KPS2_EEvlllT_PT11_llSA_llS8_PT12_llPT13_lli.uses_vcc, 1
	.set _ZN12_GLOBAL__N_127rocblas_gemm_batched_kernelI19rocblas_complex_numIdELi16ELi16ELi32ELi32ELi8ELi32ELi8ELi8ELi32ELc78ELc78EKPKS2_S5_KPS2_EEvlllT_PT11_llSA_llS8_PT12_llPT13_lli.uses_flat_scratch, 0
	.set _ZN12_GLOBAL__N_127rocblas_gemm_batched_kernelI19rocblas_complex_numIdELi16ELi16ELi32ELi32ELi8ELi32ELi8ELi8ELi32ELc78ELc78EKPKS2_S5_KPS2_EEvlllT_PT11_llSA_llS8_PT12_llPT13_lli.has_dyn_sized_stack, 0
	.set _ZN12_GLOBAL__N_127rocblas_gemm_batched_kernelI19rocblas_complex_numIdELi16ELi16ELi32ELi32ELi8ELi32ELi8ELi8ELi32ELc78ELc78EKPKS2_S5_KPS2_EEvlllT_PT11_llSA_llS8_PT12_llPT13_lli.has_recursion, 0
	.set _ZN12_GLOBAL__N_127rocblas_gemm_batched_kernelI19rocblas_complex_numIdELi16ELi16ELi32ELi32ELi8ELi32ELi8ELi8ELi32ELc78ELc78EKPKS2_S5_KPS2_EEvlllT_PT11_llSA_llS8_PT12_llPT13_lli.has_indirect_call, 0
	.section	.AMDGPU.csdata,"",@progbits
; Kernel info:
; codeLenInByte = 3540
; TotalNumSgprs: 54
; NumVgprs: 162
; ScratchSize: 0
; MemoryBound: 0
; FloatMode: 240
; IeeeMode: 1
; LDSByteSize: 8192 bytes/workgroup (compile time only)
; SGPRBlocks: 0
; VGPRBlocks: 20
; NumSGPRsForWavesPerEU: 54
; NumVGPRsForWavesPerEU: 162
; Occupancy: 5
; WaveLimiterHint : 1
; COMPUTE_PGM_RSRC2:SCRATCH_EN: 0
; COMPUTE_PGM_RSRC2:USER_SGPR: 6
; COMPUTE_PGM_RSRC2:TRAP_HANDLER: 0
; COMPUTE_PGM_RSRC2:TGID_X_EN: 1
; COMPUTE_PGM_RSRC2:TGID_Y_EN: 1
; COMPUTE_PGM_RSRC2:TGID_Z_EN: 1
; COMPUTE_PGM_RSRC2:TIDIG_COMP_CNT: 1
	.section	.text._ZN12_GLOBAL__N_127rocblas_gemm_batched_kernelI19rocblas_complex_numIdELi16ELi16ELi32ELi32ELi8ELi32ELi8ELi8ELi32ELc84ELc78EKPKS2_S5_KPS2_EEvlllT_PT11_llSA_llS8_PT12_llPT13_lli,"axG",@progbits,_ZN12_GLOBAL__N_127rocblas_gemm_batched_kernelI19rocblas_complex_numIdELi16ELi16ELi32ELi32ELi8ELi32ELi8ELi8ELi32ELc84ELc78EKPKS2_S5_KPS2_EEvlllT_PT11_llSA_llS8_PT12_llPT13_lli,comdat
	.globl	_ZN12_GLOBAL__N_127rocblas_gemm_batched_kernelI19rocblas_complex_numIdELi16ELi16ELi32ELi32ELi8ELi32ELi8ELi8ELi32ELc84ELc78EKPKS2_S5_KPS2_EEvlllT_PT11_llSA_llS8_PT12_llPT13_lli ; -- Begin function _ZN12_GLOBAL__N_127rocblas_gemm_batched_kernelI19rocblas_complex_numIdELi16ELi16ELi32ELi32ELi8ELi32ELi8ELi8ELi32ELc84ELc78EKPKS2_S5_KPS2_EEvlllT_PT11_llSA_llS8_PT12_llPT13_lli
	.p2align	8
	.type	_ZN12_GLOBAL__N_127rocblas_gemm_batched_kernelI19rocblas_complex_numIdELi16ELi16ELi32ELi32ELi8ELi32ELi8ELi8ELi32ELc84ELc78EKPKS2_S5_KPS2_EEvlllT_PT11_llSA_llS8_PT12_llPT13_lli,@function
_ZN12_GLOBAL__N_127rocblas_gemm_batched_kernelI19rocblas_complex_numIdELi16ELi16ELi32ELi32ELi8ELi32ELi8ELi8ELi32ELc84ELc78EKPKS2_S5_KPS2_EEvlllT_PT11_llSA_llS8_PT12_llPT13_lli: ; @_ZN12_GLOBAL__N_127rocblas_gemm_batched_kernelI19rocblas_complex_numIdELi16ELi16ELi32ELi32ELi8ELi32ELi8ELi8ELi32ELc84ELc78EKPKS2_S5_KPS2_EEvlllT_PT11_llSA_llS8_PT12_llPT13_lli
; %bb.0:
	s_clause 0x1
	s_load_dwordx16 s[12:27], s[4:5], 0x50
	s_load_dwordx16 s[36:51], s[4:5], 0x10
	s_mov_b32 s9, 0
	s_mov_b32 s28, s7
	s_lshl_b64 s[10:11], s[8:9], 3
	s_waitcnt lgkmcnt(0)
	s_add_u32 s0, s18, s10
	s_addc_u32 s1, s19, s11
	s_add_u32 s2, s24, s10
	s_addc_u32 s3, s25, s11
	s_load_dwordx2 s[0:1], s[0:1], 0x0
	s_load_dwordx2 s[2:3], s[2:3], 0x0
	v_cmp_lt_i64_e64 s8, s[36:37], 1
	s_ashr_i32 s7, s6, 31
	s_ashr_i32 s29, s28, 31
	s_lshl_b64 s[6:7], s[6:7], 5
	s_and_b32 vcc_lo, exec_lo, s8
	s_lshl_b64 s[8:9], s[28:29], 5
	s_cbranch_vccnz .LBB261_3
; %bb.1:
	v_lshl_add_u32 v4, v1, 4, v0
	v_and_b32_e32 v2, 7, v0
	s_add_u32 s18, s42, s10
	s_addc_u32 s19, s43, s11
	s_add_u32 s10, s48, s10
	v_and_b32_e32 v5, 31, v4
	v_lshrrev_b32_e32 v7, 3, v4
	v_lshlrev_b32_e32 v8, 4, v2
	v_lshrrev_b32_e32 v12, 5, v4
	s_load_dwordx2 s[18:19], s[18:19], 0x0
	v_add_co_u32 v3, s24, s6, v5
	v_add_co_ci_u32_e64 v6, null, s7, 0, s24
	v_add_co_u32 v10, s24, v7, s8
	v_mul_lo_u32 v9, s45, v3
	v_mul_lo_u32 v6, s44, v6
	v_mad_u64_u32 v[2:3], null, s44, v3, 0
	v_add_co_ci_u32_e64 v11, null, 0, s9, s24
	v_lshlrev_b32_e32 v13, 4, v5
	v_mad_u64_u32 v[4:5], null, s50, v10, 0
	s_addc_u32 s11, s49, s11
	v_add3_u32 v3, v3, v6, v9
	v_mul_lo_u32 v6, s51, v10
	v_mul_lo_u32 v9, s50, v11
	v_lshl_or_b32 v7, v7, 7, v8
	s_load_dwordx2 s[10:11], s[10:11], 0x0
	v_lshlrev_b64 v[2:3], 4, v[2:3]
	s_lshl_b64 s[24:25], s[46:47], 4
	s_lshl_b64 s[12:13], s[12:13], 4
	v_add_nc_u32_e32 v23, 0x1000, v7
	v_lshlrev_b32_e32 v7, 4, v12
	v_add3_u32 v5, v5, v9, v6
	v_add_co_u32 v6, vcc_lo, v2, s24
	v_add_co_ci_u32_e64 v9, null, s25, v3, vcc_lo
	v_lshlrev_b64 v[2:3], 4, v[4:5]
	v_add_co_u32 v4, vcc_lo, v6, v7
	v_add_co_ci_u32_e64 v5, null, 0, v9, vcc_lo
	v_lshl_or_b32 v22, v12, 9, v13
	v_add_co_u32 v2, vcc_lo, v2, s12
	v_add_co_ci_u32_e64 v3, null, s13, v3, vcc_lo
	s_waitcnt lgkmcnt(0)
	v_add_co_u32 v18, vcc_lo, s18, v4
	v_add_co_ci_u32_e64 v19, null, s19, v5, vcc_lo
	v_add_co_u32 v20, vcc_lo, v2, v8
	v_add_co_ci_u32_e64 v21, null, 0, v3, vcc_lo
	v_mov_b32_e32 v4, 0
	v_add_co_u32 v20, vcc_lo, s10, v20
	v_mov_b32_e32 v2, 0
	v_mov_b32_e32 v8, 0
	;; [unrolled: 1-line block ×7, first 2 shown]
	v_lshlrev_b32_e32 v24, 4, v0
	v_lshl_add_u32 v25, v1, 7, 0x1000
	v_mov_b32_e32 v5, 0
	v_mov_b32_e32 v3, 0
	;; [unrolled: 1-line block ×8, first 2 shown]
	v_add_co_ci_u32_e64 v21, null, s11, v21, vcc_lo
	s_mov_b64 s[10:11], 0
.LBB261_2:                              ; =>This Inner Loop Header: Depth=1
	flat_load_dwordx4 v[26:29], v[18:19]
	flat_load_dwordx4 v[30:33], v[20:21]
	s_add_u32 s10, s10, 8
	s_addc_u32 s11, s11, 0
	v_add_co_u32 v18, vcc_lo, 0x80, v18
	v_cmp_lt_i64_e64 s12, s[10:11], s[36:37]
	v_add_co_ci_u32_e64 v19, null, 0, v19, vcc_lo
	v_add_co_u32 v20, vcc_lo, 0x80, v20
	v_add_co_ci_u32_e64 v21, null, 0, v21, vcc_lo
	s_and_b32 vcc_lo, exec_lo, s12
	s_waitcnt vmcnt(1) lgkmcnt(1)
	ds_write2_b64 v22, v[26:27], v[28:29] offset1:1
	s_waitcnt vmcnt(0) lgkmcnt(1)
	ds_write2_b64 v23, v[30:31], v[32:33] offset1:1
	s_waitcnt lgkmcnt(0)
	s_barrier
	buffer_gl0_inv
	ds_read_b128 v[26:29], v24
	ds_read_b128 v[30:33], v24 offset:256
	ds_read_b128 v[34:37], v25
	ds_read_b128 v[38:41], v25 offset:16
	ds_read_b128 v[42:45], v25 offset:2048
	;; [unrolled: 1-line block ×28, first 2 shown]
	s_waitcnt lgkmcnt(28)
	v_mul_f64 v[150:151], v[36:37], v[28:29]
	v_mul_f64 v[154:155], v[36:37], v[32:33]
	;; [unrolled: 1-line block ×4, first 2 shown]
	v_fma_f64 v[150:151], v[34:35], v[26:27], -v[150:151]
	v_fma_f64 v[34:35], v[34:35], v[30:31], -v[154:155]
	s_waitcnt lgkmcnt(26)
	v_mul_f64 v[154:155], v[44:45], v[28:29]
	v_mul_f64 v[28:29], v[42:43], v[28:29]
	v_fma_f64 v[152:153], v[36:37], v[26:27], v[152:153]
	v_fma_f64 v[36:37], v[36:37], v[30:31], v[156:157]
	v_add_f64 v[14:15], v[14:15], v[150:151]
	v_add_f64 v[10:11], v[10:11], v[34:35]
	v_fma_f64 v[154:155], v[42:43], v[26:27], -v[154:155]
	v_fma_f64 v[156:157], v[44:45], v[26:27], v[28:29]
	v_mul_f64 v[26:27], v[44:45], v[32:33]
	v_mul_f64 v[28:29], v[42:43], v[32:33]
	v_add_f64 v[16:17], v[152:153], v[16:17]
	v_add_f64 v[12:13], v[36:37], v[12:13]
	s_waitcnt lgkmcnt(16)
	v_mul_f64 v[34:35], v[64:65], v[84:85]
	v_mul_f64 v[36:37], v[62:63], v[84:85]
	s_waitcnt lgkmcnt(15)
	v_mul_f64 v[150:151], v[62:63], v[88:89]
	s_waitcnt lgkmcnt(12)
	v_mul_f64 v[152:153], v[98:99], v[96:97]
	v_add_f64 v[6:7], v[6:7], v[154:155]
	v_add_f64 v[8:9], v[156:157], v[8:9]
	v_fma_f64 v[32:33], v[42:43], v[30:31], -v[26:27]
	v_fma_f64 v[30:31], v[44:45], v[30:31], v[28:29]
	v_mul_f64 v[26:27], v[40:41], v[52:53]
	v_mul_f64 v[28:29], v[38:39], v[52:53]
	;; [unrolled: 1-line block ×4, first 2 shown]
	v_fma_f64 v[34:35], v[62:63], v[82:83], -v[34:35]
	v_fma_f64 v[36:37], v[64:65], v[82:83], v[36:37]
	v_add_f64 v[2:3], v[2:3], v[32:33]
	v_add_f64 v[4:5], v[30:31], v[4:5]
	v_fma_f64 v[158:159], v[38:39], v[50:51], -v[26:27]
	v_fma_f64 v[160:161], v[40:41], v[50:51], v[28:29]
	v_mul_f64 v[26:27], v[48:49], v[52:53]
	v_mul_f64 v[28:29], v[46:47], v[52:53]
	v_fma_f64 v[38:39], v[38:39], v[54:55], -v[42:43]
	v_fma_f64 v[40:41], v[40:41], v[54:55], v[44:45]
	v_mul_f64 v[52:53], v[58:59], v[72:73]
	v_mul_f64 v[30:31], v[80:81], v[84:85]
	;; [unrolled: 1-line block ×4, first 2 shown]
	v_add_f64 v[14:15], v[14:15], v[158:159]
	v_add_f64 v[16:17], v[160:161], v[16:17]
	v_fma_f64 v[42:43], v[46:47], v[50:51], -v[26:27]
	v_fma_f64 v[44:45], v[48:49], v[50:51], v[28:29]
	v_mul_f64 v[26:27], v[48:49], v[56:57]
	v_mul_f64 v[28:29], v[46:47], v[56:57]
	;; [unrolled: 1-line block ×3, first 2 shown]
	v_fma_f64 v[52:53], v[60:61], v[70:71], v[52:53]
	v_add_f64 v[10:11], v[10:11], v[38:39]
	v_add_f64 v[12:13], v[40:41], v[12:13]
	s_waitcnt lgkmcnt(10)
	v_mul_f64 v[38:39], v[108:109], v[92:93]
	v_mul_f64 v[40:41], v[106:107], v[92:93]
	v_fma_f64 v[30:31], v[78:79], v[82:83], -v[30:31]
	v_fma_f64 v[32:33], v[80:81], v[82:83], v[32:33]
	s_waitcnt lgkmcnt(8)
	v_mul_f64 v[82:83], v[112:113], v[116:117]
	v_add_f64 v[6:7], v[6:7], v[42:43]
	v_add_f64 v[8:9], v[44:45], v[8:9]
	v_fma_f64 v[46:47], v[46:47], v[54:55], -v[26:27]
	v_fma_f64 v[48:49], v[48:49], v[54:55], v[28:29]
	v_mul_f64 v[26:27], v[60:61], v[68:69]
	v_mul_f64 v[28:29], v[58:59], v[68:69]
	v_fma_f64 v[50:51], v[58:59], v[70:71], -v[50:51]
	v_mul_f64 v[42:43], v[108:109], v[96:97]
	v_mul_f64 v[44:45], v[106:107], v[96:97]
	v_add_f64 v[12:13], v[52:53], v[12:13]
	s_waitcnt lgkmcnt(7)
	v_mul_f64 v[52:53], v[110:111], v[120:121]
	v_fma_f64 v[38:39], v[106:107], v[90:91], -v[38:39]
	v_fma_f64 v[40:41], v[108:109], v[90:91], v[40:41]
	v_add_f64 v[2:3], v[2:3], v[46:47]
	v_add_f64 v[4:5], v[48:49], v[4:5]
	v_fma_f64 v[54:55], v[58:59], v[66:67], -v[26:27]
	v_fma_f64 v[56:57], v[60:61], v[66:67], v[28:29]
	v_mul_f64 v[26:27], v[76:77], v[68:69]
	v_mul_f64 v[28:29], v[74:75], v[68:69]
	;; [unrolled: 1-line block ×3, first 2 shown]
	v_add_f64 v[10:11], v[10:11], v[50:51]
	v_mul_f64 v[46:47], v[104:105], v[116:117]
	v_mul_f64 v[48:49], v[102:103], v[116:117]
	;; [unrolled: 1-line block ×3, first 2 shown]
	v_fma_f64 v[42:43], v[106:107], v[94:95], -v[42:43]
	v_fma_f64 v[44:45], v[108:109], v[94:95], v[44:45]
	v_fma_f64 v[52:53], v[112:113], v[118:119], v[52:53]
	v_add_f64 v[14:15], v[14:15], v[54:55]
	v_add_f64 v[16:17], v[56:57], v[16:17]
	v_fma_f64 v[58:59], v[74:75], v[66:67], -v[26:27]
	v_fma_f64 v[60:61], v[76:77], v[66:67], v[28:29]
	v_mul_f64 v[66:67], v[76:77], v[72:73]
	v_mul_f64 v[72:73], v[64:65], v[88:89]
	v_fma_f64 v[68:69], v[76:77], v[70:71], v[68:69]
	v_mul_f64 v[76:77], v[100:101], v[92:93]
	v_fma_f64 v[64:65], v[64:65], v[86:87], v[150:151]
	v_mul_f64 v[92:93], v[102:103], v[120:121]
	s_waitcnt lgkmcnt(4)
	v_mul_f64 v[54:55], v[132:133], v[124:125]
	v_mul_f64 v[56:57], v[130:131], v[124:125]
	v_fma_f64 v[46:47], v[102:103], v[114:115], -v[46:47]
	v_fma_f64 v[48:49], v[104:105], v[114:115], v[48:49]
	v_fma_f64 v[50:51], v[110:111], v[118:119], -v[50:51]
	ds_read_b128 v[26:29], v24 offset:3840
	s_waitcnt lgkmcnt(0)
	s_barrier
	buffer_gl0_inv
	v_add_f64 v[14:15], v[14:15], v[34:35]
	v_add_f64 v[16:17], v[36:37], v[16:17]
	;; [unrolled: 1-line block ×4, first 2 shown]
	v_fma_f64 v[66:67], v[74:75], v[70:71], -v[66:67]
	v_mul_f64 v[70:71], v[80:81], v[88:89]
	v_mul_f64 v[74:75], v[78:79], v[88:89]
	v_mul_f64 v[88:89], v[100:101], v[96:97]
	v_fma_f64 v[62:63], v[62:63], v[86:87], -v[72:73]
	v_add_f64 v[4:5], v[68:69], v[4:5]
	v_mul_f64 v[72:73], v[104:105], v[120:121]
	v_mul_f64 v[96:97], v[110:111], v[116:117]
	v_fma_f64 v[68:69], v[100:101], v[90:91], v[84:85]
	v_add_f64 v[12:13], v[64:65], v[12:13]
	v_mul_f64 v[58:59], v[132:133], v[128:129]
	v_mul_f64 v[60:61], v[130:131], v[128:129]
	;; [unrolled: 1-line block ×5, first 2 shown]
	v_fma_f64 v[54:55], v[130:131], v[122:123], -v[54:55]
	v_fma_f64 v[56:57], v[132:133], v[122:123], v[56:57]
	v_add_f64 v[6:7], v[6:7], v[30:31]
	v_add_f64 v[8:9], v[32:33], v[8:9]
	;; [unrolled: 1-line block ×3, first 2 shown]
	v_fma_f64 v[70:71], v[78:79], v[86:87], -v[70:71]
	v_fma_f64 v[74:75], v[80:81], v[86:87], v[74:75]
	v_fma_f64 v[66:67], v[98:99], v[90:91], -v[76:77]
	v_fma_f64 v[76:77], v[98:99], v[94:95], -v[88:89]
	v_fma_f64 v[78:79], v[100:101], v[94:95], v[152:153]
	v_add_f64 v[10:11], v[10:11], v[62:63]
	v_mul_f64 v[30:31], v[140:141], v[124:125]
	v_mul_f64 v[32:33], v[138:139], v[124:125]
	v_fma_f64 v[80:81], v[112:113], v[114:115], v[96:97]
	v_add_f64 v[16:17], v[68:69], v[16:17]
	v_mul_f64 v[62:63], v[136:137], v[148:149]
	v_fma_f64 v[58:59], v[130:131], v[126:127], -v[58:59]
	v_fma_f64 v[60:61], v[132:133], v[126:127], v[60:61]
	v_fma_f64 v[34:35], v[138:139], v[126:127], -v[34:35]
	v_fma_f64 v[36:37], v[140:141], v[126:127], v[36:37]
	v_add_f64 v[6:7], v[6:7], v[38:39]
	v_add_f64 v[8:9], v[40:41], v[8:9]
	v_mul_f64 v[38:39], v[136:137], v[28:29]
	v_add_f64 v[2:3], v[2:3], v[70:71]
	v_add_f64 v[4:5], v[74:75], v[4:5]
	v_fma_f64 v[70:71], v[102:103], v[118:119], -v[72:73]
	v_fma_f64 v[72:73], v[104:105], v[118:119], v[92:93]
	v_fma_f64 v[74:75], v[110:111], v[114:115], -v[82:83]
	v_add_f64 v[14:15], v[14:15], v[66:67]
	v_add_f64 v[10:11], v[10:11], v[76:77]
	;; [unrolled: 1-line block ×3, first 2 shown]
	v_mul_f64 v[40:41], v[134:135], v[28:29]
	v_mul_f64 v[66:67], v[144:145], v[28:29]
	;; [unrolled: 1-line block ×3, first 2 shown]
	v_fma_f64 v[30:31], v[138:139], v[122:123], -v[30:31]
	v_fma_f64 v[32:33], v[140:141], v[122:123], v[32:33]
	v_add_f64 v[16:17], v[48:49], v[16:17]
	v_fma_f64 v[48:49], v[136:137], v[146:147], v[64:65]
	v_add_f64 v[8:9], v[80:81], v[8:9]
	v_fma_f64 v[38:39], v[134:135], v[26:27], -v[38:39]
	v_add_f64 v[2:3], v[2:3], v[42:43]
	v_add_f64 v[4:5], v[44:45], v[4:5]
	v_mul_f64 v[42:43], v[144:145], v[148:149]
	v_mul_f64 v[44:45], v[142:143], v[148:149]
	v_add_f64 v[6:7], v[6:7], v[74:75]
	v_add_f64 v[14:15], v[14:15], v[46:47]
	;; [unrolled: 1-line block ×4, first 2 shown]
	v_fma_f64 v[46:47], v[134:135], v[146:147], -v[62:63]
	v_fma_f64 v[40:41], v[136:137], v[26:27], v[40:41]
	v_add_f64 v[16:17], v[56:57], v[16:17]
	v_add_f64 v[8:9], v[32:33], v[8:9]
	;; [unrolled: 1-line block ×4, first 2 shown]
	v_fma_f64 v[42:43], v[142:143], v[146:147], -v[42:43]
	v_fma_f64 v[44:45], v[144:145], v[146:147], v[44:45]
	v_fma_f64 v[50:51], v[142:143], v[26:27], -v[66:67]
	v_fma_f64 v[26:27], v[144:145], v[26:27], v[28:29]
	v_add_f64 v[14:15], v[14:15], v[54:55]
	v_add_f64 v[10:11], v[10:11], v[58:59]
	v_add_f64 v[12:13], v[60:61], v[12:13]
	v_add_f64 v[6:7], v[6:7], v[30:31]
	v_add_f64 v[16:17], v[48:49], v[16:17]
	v_add_f64 v[2:3], v[2:3], v[34:35]
	v_add_f64 v[4:5], v[36:37], v[4:5]
	v_add_f64 v[8:9], v[44:45], v[8:9]
	v_add_f64 v[14:15], v[14:15], v[46:47]
	v_add_f64 v[10:11], v[10:11], v[38:39]
	v_add_f64 v[12:13], v[40:41], v[12:13]
	v_add_f64 v[6:7], v[6:7], v[42:43]
	v_add_f64 v[2:3], v[2:3], v[50:51]
	v_add_f64 v[4:5], v[26:27], v[4:5]
	s_cbranch_vccnz .LBB261_2
	s_branch .LBB261_4
.LBB261_3:
	v_mov_b32_e32 v14, 0
	v_mov_b32_e32 v16, 0
	;; [unrolled: 1-line block ×16, first 2 shown]
.LBB261_4:
	s_load_dwordx2 s[4:5], s[4:5], 0x90
	v_cmp_neq_f64_e64 s10, s[14:15], 0
	v_cmp_neq_f64_e64 s11, s[16:17], 0
	v_add_co_u32 v22, s8, s8, v1
	v_add_co_ci_u32_e64 v23, null, s9, 0, s8
	s_waitcnt lgkmcnt(0)
	s_lshl_b64 s[4:5], s[4:5], 4
	s_add_u32 s2, s2, s4
	s_addc_u32 s3, s3, s5
	v_add_co_u32 v0, s5, s6, v0
	v_add_co_ci_u32_e64 v1, null, s7, 0, s5
	s_or_b32 s4, s10, s11
	s_and_b32 vcc_lo, exec_lo, s4
	s_cbranch_vccnz .LBB261_6
; %bb.5:
	v_mul_f64 v[20:21], s[40:41], v[16:17]
	v_mul_f64 v[26:27], s[38:39], v[16:17]
	;; [unrolled: 1-line block ×4, first 2 shown]
	v_mul_lo_u32 v24, v23, s26
	v_mul_lo_u32 v25, v22, s27
	v_mad_u64_u32 v[18:19], null, v22, s26, 0
	v_mul_f64 v[28:29], s[40:41], v[12:13]
	v_mul_f64 v[30:31], s[38:39], v[12:13]
	v_mul_f64 v[32:33], s[40:41], v[8:9]
	v_mul_f64 v[34:35], s[38:39], v[8:9]
	s_lshl_b64 s[4:5], s[26:27], 8
	v_lshlrev_b64 v[40:41], 4, v[0:1]
	v_add3_u32 v19, v19, v25, v24
	v_lshlrev_b64 v[18:19], 4, v[18:19]
	v_fma_f64 v[24:25], s[38:39], v[14:15], -v[20:21]
	v_fma_f64 v[26:27], s[40:41], v[14:15], v[26:27]
	v_fma_f64 v[36:37], s[38:39], v[2:3], -v[36:37]
	v_add_co_u32 v42, vcc_lo, s2, v18
	v_add_co_ci_u32_e64 v43, null, s3, v19, vcc_lo
	v_fma_f64 v[18:19], s[40:41], v[2:3], v[38:39]
	v_fma_f64 v[28:29], s[38:39], v[10:11], -v[28:29]
	v_fma_f64 v[30:31], s[40:41], v[10:11], v[30:31]
	v_fma_f64 v[32:33], s[38:39], v[6:7], -v[32:33]
	v_fma_f64 v[34:35], s[40:41], v[6:7], v[34:35]
	v_add_co_u32 v20, vcc_lo, v42, s4
	v_add_co_ci_u32_e64 v21, null, s5, v43, vcc_lo
	v_add_co_u32 v38, vcc_lo, v20, v40
	v_add_co_ci_u32_e64 v39, null, v21, v41, vcc_lo
	;; [unrolled: 2-line block ×4, first 2 shown]
	flat_store_dwordx4 v[40:41], v[24:27]
	flat_store_dwordx4 v[40:41], v[28:31] offset:256
	flat_store_dwordx4 v[38:39], v[32:35]
	flat_store_dwordx2 v[38:39], v[36:37] offset:256
	s_cbranch_execz .LBB261_7
	s_branch .LBB261_8
.LBB261_6:
                                        ; implicit-def: $vgpr18_vgpr19
                                        ; implicit-def: $vgpr20_vgpr21
.LBB261_7:
	v_mul_lo_u32 v20, v23, s20
	v_mul_lo_u32 v21, v22, s21
	v_mad_u64_u32 v[18:19], null, v22, s20, 0
	s_lshl_b64 s[4:5], s[22:23], 4
	v_lshlrev_b64 v[0:1], 4, v[0:1]
	s_add_u32 s0, s0, s4
	s_addc_u32 s1, s1, s5
	v_mul_f64 v[26:27], s[40:41], v[16:17]
	v_mul_f64 v[16:17], s[38:39], v[16:17]
	v_add3_u32 v19, v19, v21, v20
	v_mul_lo_u32 v23, v23, s26
	v_lshlrev_b64 v[18:19], 4, v[18:19]
	v_add_co_u32 v30, vcc_lo, s0, v18
	v_add_co_ci_u32_e64 v31, null, s1, v19, vcc_lo
	s_lshl_b64 s[0:1], s[20:21], 8
	v_add_co_u32 v24, vcc_lo, v30, v0
	v_add_co_ci_u32_e64 v25, null, v31, v1, vcc_lo
	v_fma_f64 v[26:27], s[38:39], v[14:15], -v[26:27]
	v_fma_f64 v[16:17], s[40:41], v[14:15], v[16:17]
	flat_load_dwordx4 v[18:21], v[24:25]
	s_waitcnt vmcnt(0) lgkmcnt(0)
	v_mul_f64 v[28:29], s[16:17], v[20:21]
	v_mul_f64 v[20:21], s[14:15], v[20:21]
	v_fma_f64 v[14:15], s[14:15], v[18:19], -v[28:29]
	v_fma_f64 v[18:19], s[16:17], v[18:19], v[20:21]
	v_mul_lo_u32 v28, v22, s27
	v_mad_u64_u32 v[20:21], null, v22, s26, 0
	v_add3_u32 v21, v21, v28, v23
	v_add_f64 v[14:15], v[26:27], v[14:15]
	v_add_f64 v[16:17], v[16:17], v[18:19]
	v_lshlrev_b64 v[18:19], 4, v[20:21]
	v_mul_f64 v[20:21], s[40:41], v[12:13]
	v_mul_f64 v[12:13], s[38:39], v[12:13]
	v_add_co_u32 v26, vcc_lo, s2, v18
	v_add_co_ci_u32_e64 v27, null, s3, v19, vcc_lo
	v_add_co_u32 v18, vcc_lo, v26, v0
	v_add_co_ci_u32_e64 v19, null, v27, v1, vcc_lo
	flat_store_dwordx4 v[18:19], v[14:17]
	flat_load_dwordx4 v[14:17], v[24:25] offset:256
	v_fma_f64 v[20:21], s[38:39], v[10:11], -v[20:21]
	v_fma_f64 v[12:13], s[40:41], v[10:11], v[12:13]
	s_waitcnt vmcnt(0) lgkmcnt(0)
	v_mul_f64 v[22:23], s[16:17], v[16:17]
	v_mul_f64 v[16:17], s[14:15], v[16:17]
	v_fma_f64 v[10:11], s[14:15], v[14:15], -v[22:23]
	v_fma_f64 v[14:15], s[16:17], v[14:15], v[16:17]
	v_mul_f64 v[16:17], s[40:41], v[8:9]
	v_mul_f64 v[8:9], s[38:39], v[8:9]
	v_add_f64 v[10:11], v[20:21], v[10:11]
	v_add_f64 v[12:13], v[12:13], v[14:15]
	v_add_co_u32 v14, vcc_lo, v30, s0
	v_add_co_ci_u32_e64 v15, null, s1, v31, vcc_lo
	v_fma_f64 v[16:17], s[38:39], v[6:7], -v[16:17]
	v_add_co_u32 v14, vcc_lo, v14, v0
	v_add_co_ci_u32_e64 v15, null, v15, v1, vcc_lo
	v_fma_f64 v[8:9], s[40:41], v[6:7], v[8:9]
	s_lshl_b64 s[0:1], s[26:27], 8
	flat_store_dwordx4 v[18:19], v[10:13] offset:256
	flat_load_dwordx4 v[10:13], v[14:15]
	s_waitcnt vmcnt(0) lgkmcnt(0)
	v_mul_f64 v[18:19], s[16:17], v[12:13]
	v_mul_f64 v[12:13], s[14:15], v[12:13]
	v_fma_f64 v[6:7], s[14:15], v[10:11], -v[18:19]
	v_fma_f64 v[10:11], s[16:17], v[10:11], v[12:13]
	v_add_f64 v[6:7], v[16:17], v[6:7]
	v_add_f64 v[8:9], v[8:9], v[10:11]
	v_add_co_u32 v10, vcc_lo, v26, s0
	v_add_co_ci_u32_e64 v11, null, s1, v27, vcc_lo
	v_add_co_u32 v0, vcc_lo, v10, v0
	v_add_co_ci_u32_e64 v1, null, v11, v1, vcc_lo
	v_mul_f64 v[10:11], s[40:41], v[4:5]
	v_mul_f64 v[4:5], s[38:39], v[4:5]
	v_add_co_u32 v20, vcc_lo, 0x100, v0
	v_add_co_ci_u32_e64 v21, null, 0, v1, vcc_lo
	flat_store_dwordx4 v[0:1], v[6:9]
	flat_load_dwordx4 v[6:9], v[14:15] offset:256
	v_fma_f64 v[10:11], s[38:39], v[2:3], -v[10:11]
	v_fma_f64 v[2:3], s[40:41], v[2:3], v[4:5]
	s_waitcnt vmcnt(0) lgkmcnt(0)
	v_mul_f64 v[12:13], s[16:17], v[8:9]
	v_mul_f64 v[8:9], s[14:15], v[8:9]
	v_fma_f64 v[4:5], s[14:15], v[6:7], -v[12:13]
	v_fma_f64 v[6:7], s[16:17], v[6:7], v[8:9]
	v_add_f64 v[4:5], v[10:11], v[4:5]
	v_add_f64 v[18:19], v[2:3], v[6:7]
	flat_store_dwordx2 v[0:1], v[4:5] offset:256
.LBB261_8:
	flat_store_dwordx2 v[20:21], v[18:19] offset:8
	s_endpgm
	.section	.rodata,"a",@progbits
	.p2align	6, 0x0
	.amdhsa_kernel _ZN12_GLOBAL__N_127rocblas_gemm_batched_kernelI19rocblas_complex_numIdELi16ELi16ELi32ELi32ELi8ELi32ELi8ELi8ELi32ELc84ELc78EKPKS2_S5_KPS2_EEvlllT_PT11_llSA_llS8_PT12_llPT13_lli
		.amdhsa_group_segment_fixed_size 8192
		.amdhsa_private_segment_fixed_size 0
		.amdhsa_kernarg_size 156
		.amdhsa_user_sgpr_count 6
		.amdhsa_user_sgpr_private_segment_buffer 1
		.amdhsa_user_sgpr_dispatch_ptr 0
		.amdhsa_user_sgpr_queue_ptr 0
		.amdhsa_user_sgpr_kernarg_segment_ptr 1
		.amdhsa_user_sgpr_dispatch_id 0
		.amdhsa_user_sgpr_flat_scratch_init 0
		.amdhsa_user_sgpr_private_segment_size 0
		.amdhsa_wavefront_size32 1
		.amdhsa_uses_dynamic_stack 0
		.amdhsa_system_sgpr_private_segment_wavefront_offset 0
		.amdhsa_system_sgpr_workgroup_id_x 1
		.amdhsa_system_sgpr_workgroup_id_y 1
		.amdhsa_system_sgpr_workgroup_id_z 1
		.amdhsa_system_sgpr_workgroup_info 0
		.amdhsa_system_vgpr_workitem_id 1
		.amdhsa_next_free_vgpr 162
		.amdhsa_next_free_sgpr 52
		.amdhsa_reserve_vcc 1
		.amdhsa_reserve_flat_scratch 0
		.amdhsa_float_round_mode_32 0
		.amdhsa_float_round_mode_16_64 0
		.amdhsa_float_denorm_mode_32 3
		.amdhsa_float_denorm_mode_16_64 3
		.amdhsa_dx10_clamp 1
		.amdhsa_ieee_mode 1
		.amdhsa_fp16_overflow 0
		.amdhsa_workgroup_processor_mode 1
		.amdhsa_memory_ordered 1
		.amdhsa_forward_progress 1
		.amdhsa_shared_vgpr_count 0
		.amdhsa_exception_fp_ieee_invalid_op 0
		.amdhsa_exception_fp_denorm_src 0
		.amdhsa_exception_fp_ieee_div_zero 0
		.amdhsa_exception_fp_ieee_overflow 0
		.amdhsa_exception_fp_ieee_underflow 0
		.amdhsa_exception_fp_ieee_inexact 0
		.amdhsa_exception_int_div_zero 0
	.end_amdhsa_kernel
	.section	.text._ZN12_GLOBAL__N_127rocblas_gemm_batched_kernelI19rocblas_complex_numIdELi16ELi16ELi32ELi32ELi8ELi32ELi8ELi8ELi32ELc84ELc78EKPKS2_S5_KPS2_EEvlllT_PT11_llSA_llS8_PT12_llPT13_lli,"axG",@progbits,_ZN12_GLOBAL__N_127rocblas_gemm_batched_kernelI19rocblas_complex_numIdELi16ELi16ELi32ELi32ELi8ELi32ELi8ELi8ELi32ELc84ELc78EKPKS2_S5_KPS2_EEvlllT_PT11_llSA_llS8_PT12_llPT13_lli,comdat
.Lfunc_end261:
	.size	_ZN12_GLOBAL__N_127rocblas_gemm_batched_kernelI19rocblas_complex_numIdELi16ELi16ELi32ELi32ELi8ELi32ELi8ELi8ELi32ELc84ELc78EKPKS2_S5_KPS2_EEvlllT_PT11_llSA_llS8_PT12_llPT13_lli, .Lfunc_end261-_ZN12_GLOBAL__N_127rocblas_gemm_batched_kernelI19rocblas_complex_numIdELi16ELi16ELi32ELi32ELi8ELi32ELi8ELi8ELi32ELc84ELc78EKPKS2_S5_KPS2_EEvlllT_PT11_llSA_llS8_PT12_llPT13_lli
                                        ; -- End function
	.set _ZN12_GLOBAL__N_127rocblas_gemm_batched_kernelI19rocblas_complex_numIdELi16ELi16ELi32ELi32ELi8ELi32ELi8ELi8ELi32ELc84ELc78EKPKS2_S5_KPS2_EEvlllT_PT11_llSA_llS8_PT12_llPT13_lli.num_vgpr, 162
	.set _ZN12_GLOBAL__N_127rocblas_gemm_batched_kernelI19rocblas_complex_numIdELi16ELi16ELi32ELi32ELi8ELi32ELi8ELi8ELi32ELc84ELc78EKPKS2_S5_KPS2_EEvlllT_PT11_llSA_llS8_PT12_llPT13_lli.num_agpr, 0
	.set _ZN12_GLOBAL__N_127rocblas_gemm_batched_kernelI19rocblas_complex_numIdELi16ELi16ELi32ELi32ELi8ELi32ELi8ELi8ELi32ELc84ELc78EKPKS2_S5_KPS2_EEvlllT_PT11_llSA_llS8_PT12_llPT13_lli.numbered_sgpr, 52
	.set _ZN12_GLOBAL__N_127rocblas_gemm_batched_kernelI19rocblas_complex_numIdELi16ELi16ELi32ELi32ELi8ELi32ELi8ELi8ELi32ELc84ELc78EKPKS2_S5_KPS2_EEvlllT_PT11_llSA_llS8_PT12_llPT13_lli.num_named_barrier, 0
	.set _ZN12_GLOBAL__N_127rocblas_gemm_batched_kernelI19rocblas_complex_numIdELi16ELi16ELi32ELi32ELi8ELi32ELi8ELi8ELi32ELc84ELc78EKPKS2_S5_KPS2_EEvlllT_PT11_llSA_llS8_PT12_llPT13_lli.private_seg_size, 0
	.set _ZN12_GLOBAL__N_127rocblas_gemm_batched_kernelI19rocblas_complex_numIdELi16ELi16ELi32ELi32ELi8ELi32ELi8ELi8ELi32ELc84ELc78EKPKS2_S5_KPS2_EEvlllT_PT11_llSA_llS8_PT12_llPT13_lli.uses_vcc, 1
	.set _ZN12_GLOBAL__N_127rocblas_gemm_batched_kernelI19rocblas_complex_numIdELi16ELi16ELi32ELi32ELi8ELi32ELi8ELi8ELi32ELc84ELc78EKPKS2_S5_KPS2_EEvlllT_PT11_llSA_llS8_PT12_llPT13_lli.uses_flat_scratch, 0
	.set _ZN12_GLOBAL__N_127rocblas_gemm_batched_kernelI19rocblas_complex_numIdELi16ELi16ELi32ELi32ELi8ELi32ELi8ELi8ELi32ELc84ELc78EKPKS2_S5_KPS2_EEvlllT_PT11_llSA_llS8_PT12_llPT13_lli.has_dyn_sized_stack, 0
	.set _ZN12_GLOBAL__N_127rocblas_gemm_batched_kernelI19rocblas_complex_numIdELi16ELi16ELi32ELi32ELi8ELi32ELi8ELi8ELi32ELc84ELc78EKPKS2_S5_KPS2_EEvlllT_PT11_llSA_llS8_PT12_llPT13_lli.has_recursion, 0
	.set _ZN12_GLOBAL__N_127rocblas_gemm_batched_kernelI19rocblas_complex_numIdELi16ELi16ELi32ELi32ELi8ELi32ELi8ELi8ELi32ELc84ELc78EKPKS2_S5_KPS2_EEvlllT_PT11_llSA_llS8_PT12_llPT13_lli.has_indirect_call, 0
	.section	.AMDGPU.csdata,"",@progbits
; Kernel info:
; codeLenInByte = 3584
; TotalNumSgprs: 54
; NumVgprs: 162
; ScratchSize: 0
; MemoryBound: 0
; FloatMode: 240
; IeeeMode: 1
; LDSByteSize: 8192 bytes/workgroup (compile time only)
; SGPRBlocks: 0
; VGPRBlocks: 20
; NumSGPRsForWavesPerEU: 54
; NumVGPRsForWavesPerEU: 162
; Occupancy: 5
; WaveLimiterHint : 1
; COMPUTE_PGM_RSRC2:SCRATCH_EN: 0
; COMPUTE_PGM_RSRC2:USER_SGPR: 6
; COMPUTE_PGM_RSRC2:TRAP_HANDLER: 0
; COMPUTE_PGM_RSRC2:TGID_X_EN: 1
; COMPUTE_PGM_RSRC2:TGID_Y_EN: 1
; COMPUTE_PGM_RSRC2:TGID_Z_EN: 1
; COMPUTE_PGM_RSRC2:TIDIG_COMP_CNT: 1
	.section	.text._ZN12_GLOBAL__N_127rocblas_gemm_batched_kernelI19rocblas_complex_numIdELi16ELi16ELi32ELi32ELi8ELi32ELi8ELi8ELi32ELc78ELc84EKPKS2_S5_KPS2_EEvlllT_PT11_llSA_llS8_PT12_llPT13_lli,"axG",@progbits,_ZN12_GLOBAL__N_127rocblas_gemm_batched_kernelI19rocblas_complex_numIdELi16ELi16ELi32ELi32ELi8ELi32ELi8ELi8ELi32ELc78ELc84EKPKS2_S5_KPS2_EEvlllT_PT11_llSA_llS8_PT12_llPT13_lli,comdat
	.globl	_ZN12_GLOBAL__N_127rocblas_gemm_batched_kernelI19rocblas_complex_numIdELi16ELi16ELi32ELi32ELi8ELi32ELi8ELi8ELi32ELc78ELc84EKPKS2_S5_KPS2_EEvlllT_PT11_llSA_llS8_PT12_llPT13_lli ; -- Begin function _ZN12_GLOBAL__N_127rocblas_gemm_batched_kernelI19rocblas_complex_numIdELi16ELi16ELi32ELi32ELi8ELi32ELi8ELi8ELi32ELc78ELc84EKPKS2_S5_KPS2_EEvlllT_PT11_llSA_llS8_PT12_llPT13_lli
	.p2align	8
	.type	_ZN12_GLOBAL__N_127rocblas_gemm_batched_kernelI19rocblas_complex_numIdELi16ELi16ELi32ELi32ELi8ELi32ELi8ELi8ELi32ELc78ELc84EKPKS2_S5_KPS2_EEvlllT_PT11_llSA_llS8_PT12_llPT13_lli,@function
_ZN12_GLOBAL__N_127rocblas_gemm_batched_kernelI19rocblas_complex_numIdELi16ELi16ELi32ELi32ELi8ELi32ELi8ELi8ELi32ELc78ELc84EKPKS2_S5_KPS2_EEvlllT_PT11_llSA_llS8_PT12_llPT13_lli: ; @_ZN12_GLOBAL__N_127rocblas_gemm_batched_kernelI19rocblas_complex_numIdELi16ELi16ELi32ELi32ELi8ELi32ELi8ELi8ELi32ELc78ELc84EKPKS2_S5_KPS2_EEvlllT_PT11_llSA_llS8_PT12_llPT13_lli
; %bb.0:
	s_clause 0x1
	s_load_dwordx16 s[12:27], s[4:5], 0x50
	s_load_dwordx16 s[36:51], s[4:5], 0x10
	s_mov_b32 s9, 0
	s_mov_b32 s28, s7
	s_lshl_b64 s[10:11], s[8:9], 3
	s_waitcnt lgkmcnt(0)
	s_add_u32 s0, s18, s10
	s_addc_u32 s1, s19, s11
	s_add_u32 s2, s24, s10
	s_addc_u32 s3, s25, s11
	s_load_dwordx2 s[0:1], s[0:1], 0x0
	s_load_dwordx2 s[2:3], s[2:3], 0x0
	v_cmp_lt_i64_e64 s8, s[36:37], 1
	s_ashr_i32 s7, s6, 31
	s_ashr_i32 s29, s28, 31
	s_lshl_b64 s[6:7], s[6:7], 5
	s_and_b32 vcc_lo, exec_lo, s8
	s_lshl_b64 s[8:9], s[28:29], 5
	s_cbranch_vccnz .LBB262_3
; %bb.1:
	v_lshl_add_u32 v6, v1, 4, v0
	v_and_b32_e32 v8, 7, v0
	s_add_u32 s18, s42, s10
	s_addc_u32 s19, s43, s11
	s_add_u32 s10, s48, s10
	v_lshrrev_b32_e32 v10, 3, v6
	v_lshrrev_b32_e32 v9, 5, v6
	s_load_dwordx2 s[18:19], s[18:19], 0x0
	s_addc_u32 s11, s49, s11
	v_and_b32_e32 v11, 31, v6
	v_add_co_u32 v4, s24, v10, s8
	v_add_co_ci_u32_e64 v5, null, 0, s9, s24
	v_mad_u64_u32 v[2:3], null, s44, v9, s[6:7]
	s_load_dwordx2 s[24:25], s[10:11], 0x0
	v_mad_u64_u32 v[4:5], null, s50, v8, v[4:5]
	v_lshlrev_b32_e32 v12, 4, v8
	s_lshl_b64 s[10:11], s[46:47], 4
	v_mov_b32_e32 v16, 0
	v_mov_b32_e32 v14, 0
	v_lshlrev_b32_e32 v22, 4, v0
	v_lshl_or_b32 v10, v10, 7, v12
	v_mad_u64_u32 v[6:7], null, s45, v9, v[3:4]
	v_mov_b32_e32 v3, v5
	v_add_co_u32 v5, vcc_lo, v2, v11
	v_lshlrev_b32_e32 v7, 4, v11
	s_waitcnt lgkmcnt(0)
	s_add_u32 s10, s18, s10
	v_mad_u64_u32 v[2:3], null, s51, v8, v[3:4]
	v_add_co_ci_u32_e64 v6, null, 0, v6, vcc_lo
	v_lshl_or_b32 v24, v9, 9, v7
	s_addc_u32 s11, s19, s11
	s_lshl_b64 s[12:13], s[12:13], 4
	v_lshlrev_b64 v[6:7], 4, v[5:6]
	v_mov_b32_e32 v5, v2
	v_add_nc_u32_e32 v25, 0x1000, v10
	v_mov_b32_e32 v2, 0
	v_mov_b32_e32 v8, 0
	;; [unrolled: 1-line block ×3, first 2 shown]
	v_lshlrev_b64 v[20:21], 4, v[4:5]
	v_add_co_u32 v18, vcc_lo, s10, v6
	v_add_co_ci_u32_e64 v19, null, s11, v7, vcc_lo
	s_lshl_b64 s[10:11], s[44:45], 7
	s_add_u32 s12, s24, s12
	s_addc_u32 s13, s25, s13
	v_add_co_u32 v20, vcc_lo, s12, v20
	v_mov_b32_e32 v4, 0
	v_mov_b32_e32 v6, 0
	;; [unrolled: 1-line block ×3, first 2 shown]
	v_lshl_add_u32 v23, v1, 7, 0x1000
	v_mov_b32_e32 v5, 0
	v_mov_b32_e32 v3, 0
	;; [unrolled: 1-line block ×8, first 2 shown]
	v_add_co_ci_u32_e64 v21, null, s13, v21, vcc_lo
	s_lshl_b64 s[12:13], s[50:51], 7
	s_mov_b64 s[18:19], 0
.LBB262_2:                              ; =>This Inner Loop Header: Depth=1
	flat_load_dwordx4 v[26:29], v[18:19]
	flat_load_dwordx4 v[30:33], v[20:21]
	s_add_u32 s18, s18, 8
	s_addc_u32 s19, s19, 0
	v_add_co_u32 v18, vcc_lo, v18, s10
	v_cmp_lt_i64_e64 s24, s[18:19], s[36:37]
	v_add_co_ci_u32_e64 v19, null, s11, v19, vcc_lo
	v_add_co_u32 v20, vcc_lo, v20, s12
	v_add_co_ci_u32_e64 v21, null, s13, v21, vcc_lo
	s_and_b32 vcc_lo, exec_lo, s24
	s_waitcnt vmcnt(1) lgkmcnt(1)
	ds_write2_b64 v24, v[26:27], v[28:29] offset1:1
	s_waitcnt vmcnt(0) lgkmcnt(1)
	ds_write2_b64 v25, v[30:31], v[32:33] offset1:1
	s_waitcnt lgkmcnt(0)
	s_barrier
	buffer_gl0_inv
	ds_read_b128 v[26:29], v22
	ds_read_b128 v[30:33], v22 offset:256
	ds_read_b128 v[34:37], v23
	ds_read_b128 v[38:41], v23 offset:16
	ds_read_b128 v[42:45], v23 offset:2048
	ds_read_b128 v[46:49], v23 offset:2064
	ds_read_b128 v[50:53], v22 offset:512
	ds_read_b128 v[54:57], v22 offset:768
	ds_read_b128 v[58:61], v23 offset:32
	ds_read_b128 v[62:65], v23 offset:48
	ds_read_b128 v[66:69], v22 offset:1024
	ds_read_b128 v[70:73], v22 offset:1280
	ds_read_b128 v[74:77], v23 offset:2080
	ds_read_b128 v[78:81], v23 offset:2096
	ds_read_b128 v[82:85], v22 offset:1536
	ds_read_b128 v[86:89], v22 offset:1792
	ds_read_b128 v[90:93], v22 offset:2048
	ds_read_b128 v[94:97], v22 offset:2304
	ds_read_b128 v[98:101], v23 offset:64
	ds_read_b128 v[102:105], v23 offset:80
	ds_read_b128 v[106:109], v23 offset:2112
	ds_read_b128 v[110:113], v23 offset:2128
	ds_read_b128 v[114:117], v22 offset:2560
	ds_read_b128 v[118:121], v22 offset:2816
	ds_read_b128 v[122:125], v22 offset:3072
	ds_read_b128 v[126:129], v22 offset:3328
	ds_read_b128 v[130:133], v23 offset:96
	ds_read_b128 v[134:137], v23 offset:112
	ds_read_b128 v[138:141], v23 offset:2144
	ds_read_b128 v[142:145], v23 offset:2160
	ds_read_b128 v[146:149], v22 offset:3584
	s_waitcnt lgkmcnt(28)
	v_mul_f64 v[150:151], v[36:37], v[28:29]
	v_mul_f64 v[154:155], v[36:37], v[32:33]
	;; [unrolled: 1-line block ×4, first 2 shown]
	v_fma_f64 v[150:151], v[34:35], v[26:27], -v[150:151]
	v_fma_f64 v[34:35], v[34:35], v[30:31], -v[154:155]
	s_waitcnt lgkmcnt(26)
	v_mul_f64 v[154:155], v[44:45], v[28:29]
	v_mul_f64 v[28:29], v[42:43], v[28:29]
	v_fma_f64 v[152:153], v[36:37], v[26:27], v[152:153]
	v_fma_f64 v[36:37], v[36:37], v[30:31], v[156:157]
	v_add_f64 v[14:15], v[14:15], v[150:151]
	v_add_f64 v[10:11], v[10:11], v[34:35]
	v_fma_f64 v[154:155], v[42:43], v[26:27], -v[154:155]
	v_fma_f64 v[156:157], v[44:45], v[26:27], v[28:29]
	v_mul_f64 v[26:27], v[44:45], v[32:33]
	v_mul_f64 v[28:29], v[42:43], v[32:33]
	v_add_f64 v[16:17], v[152:153], v[16:17]
	v_add_f64 v[12:13], v[36:37], v[12:13]
	s_waitcnt lgkmcnt(16)
	v_mul_f64 v[34:35], v[64:65], v[84:85]
	v_mul_f64 v[36:37], v[62:63], v[84:85]
	s_waitcnt lgkmcnt(15)
	v_mul_f64 v[150:151], v[62:63], v[88:89]
	s_waitcnt lgkmcnt(12)
	v_mul_f64 v[152:153], v[98:99], v[96:97]
	v_add_f64 v[6:7], v[6:7], v[154:155]
	v_add_f64 v[8:9], v[156:157], v[8:9]
	v_fma_f64 v[32:33], v[42:43], v[30:31], -v[26:27]
	v_fma_f64 v[30:31], v[44:45], v[30:31], v[28:29]
	v_mul_f64 v[26:27], v[40:41], v[52:53]
	v_mul_f64 v[28:29], v[38:39], v[52:53]
	;; [unrolled: 1-line block ×4, first 2 shown]
	v_fma_f64 v[34:35], v[62:63], v[82:83], -v[34:35]
	v_fma_f64 v[36:37], v[64:65], v[82:83], v[36:37]
	v_add_f64 v[2:3], v[2:3], v[32:33]
	v_add_f64 v[4:5], v[30:31], v[4:5]
	v_fma_f64 v[158:159], v[38:39], v[50:51], -v[26:27]
	v_fma_f64 v[160:161], v[40:41], v[50:51], v[28:29]
	v_mul_f64 v[26:27], v[48:49], v[52:53]
	v_mul_f64 v[28:29], v[46:47], v[52:53]
	v_fma_f64 v[38:39], v[38:39], v[54:55], -v[42:43]
	v_fma_f64 v[40:41], v[40:41], v[54:55], v[44:45]
	v_mul_f64 v[52:53], v[58:59], v[72:73]
	v_mul_f64 v[30:31], v[80:81], v[84:85]
	;; [unrolled: 1-line block ×4, first 2 shown]
	v_add_f64 v[14:15], v[14:15], v[158:159]
	v_add_f64 v[16:17], v[160:161], v[16:17]
	v_fma_f64 v[42:43], v[46:47], v[50:51], -v[26:27]
	v_fma_f64 v[44:45], v[48:49], v[50:51], v[28:29]
	v_mul_f64 v[26:27], v[48:49], v[56:57]
	v_mul_f64 v[28:29], v[46:47], v[56:57]
	;; [unrolled: 1-line block ×3, first 2 shown]
	v_fma_f64 v[52:53], v[60:61], v[70:71], v[52:53]
	v_add_f64 v[10:11], v[10:11], v[38:39]
	v_add_f64 v[12:13], v[40:41], v[12:13]
	s_waitcnt lgkmcnt(10)
	v_mul_f64 v[38:39], v[108:109], v[92:93]
	v_mul_f64 v[40:41], v[106:107], v[92:93]
	v_fma_f64 v[30:31], v[78:79], v[82:83], -v[30:31]
	v_fma_f64 v[32:33], v[80:81], v[82:83], v[32:33]
	s_waitcnt lgkmcnt(8)
	v_mul_f64 v[82:83], v[112:113], v[116:117]
	v_add_f64 v[6:7], v[6:7], v[42:43]
	v_add_f64 v[8:9], v[44:45], v[8:9]
	v_fma_f64 v[46:47], v[46:47], v[54:55], -v[26:27]
	v_fma_f64 v[48:49], v[48:49], v[54:55], v[28:29]
	v_mul_f64 v[26:27], v[60:61], v[68:69]
	v_mul_f64 v[28:29], v[58:59], v[68:69]
	v_fma_f64 v[50:51], v[58:59], v[70:71], -v[50:51]
	v_mul_f64 v[42:43], v[108:109], v[96:97]
	v_mul_f64 v[44:45], v[106:107], v[96:97]
	v_add_f64 v[12:13], v[52:53], v[12:13]
	s_waitcnt lgkmcnt(7)
	v_mul_f64 v[52:53], v[110:111], v[120:121]
	v_fma_f64 v[38:39], v[106:107], v[90:91], -v[38:39]
	v_fma_f64 v[40:41], v[108:109], v[90:91], v[40:41]
	v_add_f64 v[2:3], v[2:3], v[46:47]
	v_add_f64 v[4:5], v[48:49], v[4:5]
	v_fma_f64 v[54:55], v[58:59], v[66:67], -v[26:27]
	v_fma_f64 v[56:57], v[60:61], v[66:67], v[28:29]
	v_mul_f64 v[26:27], v[76:77], v[68:69]
	v_mul_f64 v[28:29], v[74:75], v[68:69]
	;; [unrolled: 1-line block ×3, first 2 shown]
	v_add_f64 v[10:11], v[10:11], v[50:51]
	v_mul_f64 v[46:47], v[104:105], v[116:117]
	v_mul_f64 v[48:49], v[102:103], v[116:117]
	;; [unrolled: 1-line block ×3, first 2 shown]
	v_fma_f64 v[42:43], v[106:107], v[94:95], -v[42:43]
	v_fma_f64 v[44:45], v[108:109], v[94:95], v[44:45]
	v_fma_f64 v[52:53], v[112:113], v[118:119], v[52:53]
	v_add_f64 v[14:15], v[14:15], v[54:55]
	v_add_f64 v[16:17], v[56:57], v[16:17]
	v_fma_f64 v[58:59], v[74:75], v[66:67], -v[26:27]
	v_fma_f64 v[60:61], v[76:77], v[66:67], v[28:29]
	v_mul_f64 v[66:67], v[76:77], v[72:73]
	v_mul_f64 v[72:73], v[64:65], v[88:89]
	v_fma_f64 v[68:69], v[76:77], v[70:71], v[68:69]
	v_mul_f64 v[76:77], v[100:101], v[92:93]
	v_fma_f64 v[64:65], v[64:65], v[86:87], v[150:151]
	v_mul_f64 v[92:93], v[102:103], v[120:121]
	s_waitcnt lgkmcnt(4)
	v_mul_f64 v[54:55], v[132:133], v[124:125]
	v_mul_f64 v[56:57], v[130:131], v[124:125]
	v_fma_f64 v[46:47], v[102:103], v[114:115], -v[46:47]
	v_fma_f64 v[48:49], v[104:105], v[114:115], v[48:49]
	v_fma_f64 v[50:51], v[110:111], v[118:119], -v[50:51]
	ds_read_b128 v[26:29], v22 offset:3840
	s_waitcnt lgkmcnt(0)
	s_barrier
	buffer_gl0_inv
	v_add_f64 v[14:15], v[14:15], v[34:35]
	v_add_f64 v[16:17], v[36:37], v[16:17]
	;; [unrolled: 1-line block ×4, first 2 shown]
	v_fma_f64 v[66:67], v[74:75], v[70:71], -v[66:67]
	v_mul_f64 v[70:71], v[80:81], v[88:89]
	v_mul_f64 v[74:75], v[78:79], v[88:89]
	;; [unrolled: 1-line block ×3, first 2 shown]
	v_fma_f64 v[62:63], v[62:63], v[86:87], -v[72:73]
	v_add_f64 v[4:5], v[68:69], v[4:5]
	v_mul_f64 v[72:73], v[104:105], v[120:121]
	v_mul_f64 v[96:97], v[110:111], v[116:117]
	v_fma_f64 v[68:69], v[100:101], v[90:91], v[84:85]
	v_add_f64 v[12:13], v[64:65], v[12:13]
	v_mul_f64 v[58:59], v[132:133], v[128:129]
	v_mul_f64 v[60:61], v[130:131], v[128:129]
	;; [unrolled: 1-line block ×5, first 2 shown]
	v_fma_f64 v[54:55], v[130:131], v[122:123], -v[54:55]
	v_fma_f64 v[56:57], v[132:133], v[122:123], v[56:57]
	v_add_f64 v[6:7], v[6:7], v[30:31]
	v_add_f64 v[8:9], v[32:33], v[8:9]
	;; [unrolled: 1-line block ×3, first 2 shown]
	v_fma_f64 v[70:71], v[78:79], v[86:87], -v[70:71]
	v_fma_f64 v[74:75], v[80:81], v[86:87], v[74:75]
	v_fma_f64 v[66:67], v[98:99], v[90:91], -v[76:77]
	v_fma_f64 v[76:77], v[98:99], v[94:95], -v[88:89]
	v_fma_f64 v[78:79], v[100:101], v[94:95], v[152:153]
	v_add_f64 v[10:11], v[10:11], v[62:63]
	v_mul_f64 v[30:31], v[140:141], v[124:125]
	v_mul_f64 v[32:33], v[138:139], v[124:125]
	v_fma_f64 v[80:81], v[112:113], v[114:115], v[96:97]
	v_add_f64 v[16:17], v[68:69], v[16:17]
	v_mul_f64 v[62:63], v[136:137], v[148:149]
	v_fma_f64 v[58:59], v[130:131], v[126:127], -v[58:59]
	v_fma_f64 v[60:61], v[132:133], v[126:127], v[60:61]
	v_fma_f64 v[34:35], v[138:139], v[126:127], -v[34:35]
	v_fma_f64 v[36:37], v[140:141], v[126:127], v[36:37]
	v_add_f64 v[6:7], v[6:7], v[38:39]
	v_add_f64 v[8:9], v[40:41], v[8:9]
	v_mul_f64 v[38:39], v[136:137], v[28:29]
	v_add_f64 v[2:3], v[2:3], v[70:71]
	v_add_f64 v[4:5], v[74:75], v[4:5]
	v_fma_f64 v[70:71], v[102:103], v[118:119], -v[72:73]
	v_fma_f64 v[72:73], v[104:105], v[118:119], v[92:93]
	v_fma_f64 v[74:75], v[110:111], v[114:115], -v[82:83]
	v_add_f64 v[14:15], v[14:15], v[66:67]
	v_add_f64 v[10:11], v[10:11], v[76:77]
	;; [unrolled: 1-line block ×3, first 2 shown]
	v_mul_f64 v[40:41], v[134:135], v[28:29]
	v_mul_f64 v[66:67], v[144:145], v[28:29]
	;; [unrolled: 1-line block ×3, first 2 shown]
	v_fma_f64 v[30:31], v[138:139], v[122:123], -v[30:31]
	v_fma_f64 v[32:33], v[140:141], v[122:123], v[32:33]
	v_add_f64 v[16:17], v[48:49], v[16:17]
	v_fma_f64 v[48:49], v[136:137], v[146:147], v[64:65]
	v_add_f64 v[8:9], v[80:81], v[8:9]
	v_fma_f64 v[38:39], v[134:135], v[26:27], -v[38:39]
	v_add_f64 v[2:3], v[2:3], v[42:43]
	v_add_f64 v[4:5], v[44:45], v[4:5]
	v_mul_f64 v[42:43], v[144:145], v[148:149]
	v_mul_f64 v[44:45], v[142:143], v[148:149]
	v_add_f64 v[6:7], v[6:7], v[74:75]
	v_add_f64 v[14:15], v[14:15], v[46:47]
	;; [unrolled: 1-line block ×4, first 2 shown]
	v_fma_f64 v[46:47], v[134:135], v[146:147], -v[62:63]
	v_fma_f64 v[40:41], v[136:137], v[26:27], v[40:41]
	v_add_f64 v[16:17], v[56:57], v[16:17]
	v_add_f64 v[8:9], v[32:33], v[8:9]
	;; [unrolled: 1-line block ×4, first 2 shown]
	v_fma_f64 v[42:43], v[142:143], v[146:147], -v[42:43]
	v_fma_f64 v[44:45], v[144:145], v[146:147], v[44:45]
	v_fma_f64 v[50:51], v[142:143], v[26:27], -v[66:67]
	v_fma_f64 v[26:27], v[144:145], v[26:27], v[28:29]
	v_add_f64 v[14:15], v[14:15], v[54:55]
	v_add_f64 v[10:11], v[10:11], v[58:59]
	;; [unrolled: 1-line block ×14, first 2 shown]
	s_cbranch_vccnz .LBB262_2
	s_branch .LBB262_4
.LBB262_3:
	v_mov_b32_e32 v14, 0
	v_mov_b32_e32 v16, 0
	;; [unrolled: 1-line block ×16, first 2 shown]
.LBB262_4:
	s_load_dwordx2 s[4:5], s[4:5], 0x90
	v_cmp_neq_f64_e64 s10, s[14:15], 0
	v_cmp_neq_f64_e64 s11, s[16:17], 0
	v_add_co_u32 v22, s8, s8, v1
	v_add_co_ci_u32_e64 v23, null, s9, 0, s8
	s_waitcnt lgkmcnt(0)
	s_lshl_b64 s[4:5], s[4:5], 4
	s_add_u32 s2, s2, s4
	s_addc_u32 s3, s3, s5
	v_add_co_u32 v0, s5, s6, v0
	v_add_co_ci_u32_e64 v1, null, s7, 0, s5
	s_or_b32 s4, s10, s11
	s_and_b32 vcc_lo, exec_lo, s4
	s_cbranch_vccnz .LBB262_6
; %bb.5:
	v_mul_f64 v[20:21], s[40:41], v[16:17]
	v_mul_f64 v[26:27], s[38:39], v[16:17]
	;; [unrolled: 1-line block ×4, first 2 shown]
	v_mul_lo_u32 v24, v23, s26
	v_mul_lo_u32 v25, v22, s27
	v_mad_u64_u32 v[18:19], null, v22, s26, 0
	v_mul_f64 v[28:29], s[40:41], v[12:13]
	v_mul_f64 v[30:31], s[38:39], v[12:13]
	;; [unrolled: 1-line block ×4, first 2 shown]
	s_lshl_b64 s[4:5], s[26:27], 8
	v_lshlrev_b64 v[40:41], 4, v[0:1]
	v_add3_u32 v19, v19, v25, v24
	v_lshlrev_b64 v[18:19], 4, v[18:19]
	v_fma_f64 v[24:25], s[38:39], v[14:15], -v[20:21]
	v_fma_f64 v[26:27], s[40:41], v[14:15], v[26:27]
	v_fma_f64 v[36:37], s[38:39], v[2:3], -v[36:37]
	v_add_co_u32 v42, vcc_lo, s2, v18
	v_add_co_ci_u32_e64 v43, null, s3, v19, vcc_lo
	v_fma_f64 v[18:19], s[40:41], v[2:3], v[38:39]
	v_fma_f64 v[28:29], s[38:39], v[10:11], -v[28:29]
	v_fma_f64 v[30:31], s[40:41], v[10:11], v[30:31]
	v_fma_f64 v[32:33], s[38:39], v[6:7], -v[32:33]
	v_fma_f64 v[34:35], s[40:41], v[6:7], v[34:35]
	v_add_co_u32 v20, vcc_lo, v42, s4
	v_add_co_ci_u32_e64 v21, null, s5, v43, vcc_lo
	v_add_co_u32 v38, vcc_lo, v20, v40
	v_add_co_ci_u32_e64 v39, null, v21, v41, vcc_lo
	v_add_co_u32 v40, vcc_lo, v42, v40
	v_add_co_ci_u32_e64 v41, null, v43, v41, vcc_lo
	v_add_co_u32 v20, vcc_lo, 0x100, v38
	v_add_co_ci_u32_e64 v21, null, 0, v39, vcc_lo
	flat_store_dwordx4 v[40:41], v[24:27]
	flat_store_dwordx4 v[40:41], v[28:31] offset:256
	flat_store_dwordx4 v[38:39], v[32:35]
	flat_store_dwordx2 v[38:39], v[36:37] offset:256
	s_cbranch_execz .LBB262_7
	s_branch .LBB262_8
.LBB262_6:
                                        ; implicit-def: $vgpr18_vgpr19
                                        ; implicit-def: $vgpr20_vgpr21
.LBB262_7:
	v_mul_lo_u32 v20, v23, s20
	v_mul_lo_u32 v21, v22, s21
	v_mad_u64_u32 v[18:19], null, v22, s20, 0
	s_lshl_b64 s[4:5], s[22:23], 4
	v_lshlrev_b64 v[0:1], 4, v[0:1]
	s_add_u32 s0, s0, s4
	s_addc_u32 s1, s1, s5
	v_mul_f64 v[26:27], s[40:41], v[16:17]
	v_mul_f64 v[16:17], s[38:39], v[16:17]
	v_add3_u32 v19, v19, v21, v20
	v_mul_lo_u32 v23, v23, s26
	v_lshlrev_b64 v[18:19], 4, v[18:19]
	v_add_co_u32 v30, vcc_lo, s0, v18
	v_add_co_ci_u32_e64 v31, null, s1, v19, vcc_lo
	s_lshl_b64 s[0:1], s[20:21], 8
	v_add_co_u32 v24, vcc_lo, v30, v0
	v_add_co_ci_u32_e64 v25, null, v31, v1, vcc_lo
	v_fma_f64 v[26:27], s[38:39], v[14:15], -v[26:27]
	v_fma_f64 v[16:17], s[40:41], v[14:15], v[16:17]
	flat_load_dwordx4 v[18:21], v[24:25]
	s_waitcnt vmcnt(0) lgkmcnt(0)
	v_mul_f64 v[28:29], s[16:17], v[20:21]
	v_mul_f64 v[20:21], s[14:15], v[20:21]
	v_fma_f64 v[14:15], s[14:15], v[18:19], -v[28:29]
	v_fma_f64 v[18:19], s[16:17], v[18:19], v[20:21]
	v_mul_lo_u32 v28, v22, s27
	v_mad_u64_u32 v[20:21], null, v22, s26, 0
	v_add3_u32 v21, v21, v28, v23
	v_add_f64 v[14:15], v[26:27], v[14:15]
	v_add_f64 v[16:17], v[16:17], v[18:19]
	v_lshlrev_b64 v[18:19], 4, v[20:21]
	v_mul_f64 v[20:21], s[40:41], v[12:13]
	v_mul_f64 v[12:13], s[38:39], v[12:13]
	v_add_co_u32 v26, vcc_lo, s2, v18
	v_add_co_ci_u32_e64 v27, null, s3, v19, vcc_lo
	v_add_co_u32 v18, vcc_lo, v26, v0
	v_add_co_ci_u32_e64 v19, null, v27, v1, vcc_lo
	flat_store_dwordx4 v[18:19], v[14:17]
	flat_load_dwordx4 v[14:17], v[24:25] offset:256
	v_fma_f64 v[20:21], s[38:39], v[10:11], -v[20:21]
	v_fma_f64 v[12:13], s[40:41], v[10:11], v[12:13]
	s_waitcnt vmcnt(0) lgkmcnt(0)
	v_mul_f64 v[22:23], s[16:17], v[16:17]
	v_mul_f64 v[16:17], s[14:15], v[16:17]
	v_fma_f64 v[10:11], s[14:15], v[14:15], -v[22:23]
	v_fma_f64 v[14:15], s[16:17], v[14:15], v[16:17]
	v_mul_f64 v[16:17], s[40:41], v[8:9]
	v_mul_f64 v[8:9], s[38:39], v[8:9]
	v_add_f64 v[10:11], v[20:21], v[10:11]
	v_add_f64 v[12:13], v[12:13], v[14:15]
	v_add_co_u32 v14, vcc_lo, v30, s0
	v_add_co_ci_u32_e64 v15, null, s1, v31, vcc_lo
	v_fma_f64 v[16:17], s[38:39], v[6:7], -v[16:17]
	v_add_co_u32 v14, vcc_lo, v14, v0
	v_add_co_ci_u32_e64 v15, null, v15, v1, vcc_lo
	v_fma_f64 v[8:9], s[40:41], v[6:7], v[8:9]
	s_lshl_b64 s[0:1], s[26:27], 8
	flat_store_dwordx4 v[18:19], v[10:13] offset:256
	flat_load_dwordx4 v[10:13], v[14:15]
	s_waitcnt vmcnt(0) lgkmcnt(0)
	v_mul_f64 v[18:19], s[16:17], v[12:13]
	v_mul_f64 v[12:13], s[14:15], v[12:13]
	v_fma_f64 v[6:7], s[14:15], v[10:11], -v[18:19]
	v_fma_f64 v[10:11], s[16:17], v[10:11], v[12:13]
	v_add_f64 v[6:7], v[16:17], v[6:7]
	v_add_f64 v[8:9], v[8:9], v[10:11]
	v_add_co_u32 v10, vcc_lo, v26, s0
	v_add_co_ci_u32_e64 v11, null, s1, v27, vcc_lo
	v_add_co_u32 v0, vcc_lo, v10, v0
	v_add_co_ci_u32_e64 v1, null, v11, v1, vcc_lo
	v_mul_f64 v[10:11], s[40:41], v[4:5]
	v_mul_f64 v[4:5], s[38:39], v[4:5]
	v_add_co_u32 v20, vcc_lo, 0x100, v0
	v_add_co_ci_u32_e64 v21, null, 0, v1, vcc_lo
	flat_store_dwordx4 v[0:1], v[6:9]
	flat_load_dwordx4 v[6:9], v[14:15] offset:256
	v_fma_f64 v[10:11], s[38:39], v[2:3], -v[10:11]
	v_fma_f64 v[2:3], s[40:41], v[2:3], v[4:5]
	s_waitcnt vmcnt(0) lgkmcnt(0)
	v_mul_f64 v[12:13], s[16:17], v[8:9]
	v_mul_f64 v[8:9], s[14:15], v[8:9]
	v_fma_f64 v[4:5], s[14:15], v[6:7], -v[12:13]
	v_fma_f64 v[6:7], s[16:17], v[6:7], v[8:9]
	v_add_f64 v[4:5], v[10:11], v[4:5]
	v_add_f64 v[18:19], v[2:3], v[6:7]
	flat_store_dwordx2 v[0:1], v[4:5] offset:256
.LBB262_8:
	flat_store_dwordx2 v[20:21], v[18:19] offset:8
	s_endpgm
	.section	.rodata,"a",@progbits
	.p2align	6, 0x0
	.amdhsa_kernel _ZN12_GLOBAL__N_127rocblas_gemm_batched_kernelI19rocblas_complex_numIdELi16ELi16ELi32ELi32ELi8ELi32ELi8ELi8ELi32ELc78ELc84EKPKS2_S5_KPS2_EEvlllT_PT11_llSA_llS8_PT12_llPT13_lli
		.amdhsa_group_segment_fixed_size 8192
		.amdhsa_private_segment_fixed_size 0
		.amdhsa_kernarg_size 156
		.amdhsa_user_sgpr_count 6
		.amdhsa_user_sgpr_private_segment_buffer 1
		.amdhsa_user_sgpr_dispatch_ptr 0
		.amdhsa_user_sgpr_queue_ptr 0
		.amdhsa_user_sgpr_kernarg_segment_ptr 1
		.amdhsa_user_sgpr_dispatch_id 0
		.amdhsa_user_sgpr_flat_scratch_init 0
		.amdhsa_user_sgpr_private_segment_size 0
		.amdhsa_wavefront_size32 1
		.amdhsa_uses_dynamic_stack 0
		.amdhsa_system_sgpr_private_segment_wavefront_offset 0
		.amdhsa_system_sgpr_workgroup_id_x 1
		.amdhsa_system_sgpr_workgroup_id_y 1
		.amdhsa_system_sgpr_workgroup_id_z 1
		.amdhsa_system_sgpr_workgroup_info 0
		.amdhsa_system_vgpr_workitem_id 1
		.amdhsa_next_free_vgpr 162
		.amdhsa_next_free_sgpr 52
		.amdhsa_reserve_vcc 1
		.amdhsa_reserve_flat_scratch 0
		.amdhsa_float_round_mode_32 0
		.amdhsa_float_round_mode_16_64 0
		.amdhsa_float_denorm_mode_32 3
		.amdhsa_float_denorm_mode_16_64 3
		.amdhsa_dx10_clamp 1
		.amdhsa_ieee_mode 1
		.amdhsa_fp16_overflow 0
		.amdhsa_workgroup_processor_mode 1
		.amdhsa_memory_ordered 1
		.amdhsa_forward_progress 1
		.amdhsa_shared_vgpr_count 0
		.amdhsa_exception_fp_ieee_invalid_op 0
		.amdhsa_exception_fp_denorm_src 0
		.amdhsa_exception_fp_ieee_div_zero 0
		.amdhsa_exception_fp_ieee_overflow 0
		.amdhsa_exception_fp_ieee_underflow 0
		.amdhsa_exception_fp_ieee_inexact 0
		.amdhsa_exception_int_div_zero 0
	.end_amdhsa_kernel
	.section	.text._ZN12_GLOBAL__N_127rocblas_gemm_batched_kernelI19rocblas_complex_numIdELi16ELi16ELi32ELi32ELi8ELi32ELi8ELi8ELi32ELc78ELc84EKPKS2_S5_KPS2_EEvlllT_PT11_llSA_llS8_PT12_llPT13_lli,"axG",@progbits,_ZN12_GLOBAL__N_127rocblas_gemm_batched_kernelI19rocblas_complex_numIdELi16ELi16ELi32ELi32ELi8ELi32ELi8ELi8ELi32ELc78ELc84EKPKS2_S5_KPS2_EEvlllT_PT11_llSA_llS8_PT12_llPT13_lli,comdat
.Lfunc_end262:
	.size	_ZN12_GLOBAL__N_127rocblas_gemm_batched_kernelI19rocblas_complex_numIdELi16ELi16ELi32ELi32ELi8ELi32ELi8ELi8ELi32ELc78ELc84EKPKS2_S5_KPS2_EEvlllT_PT11_llSA_llS8_PT12_llPT13_lli, .Lfunc_end262-_ZN12_GLOBAL__N_127rocblas_gemm_batched_kernelI19rocblas_complex_numIdELi16ELi16ELi32ELi32ELi8ELi32ELi8ELi8ELi32ELc78ELc84EKPKS2_S5_KPS2_EEvlllT_PT11_llSA_llS8_PT12_llPT13_lli
                                        ; -- End function
	.set _ZN12_GLOBAL__N_127rocblas_gemm_batched_kernelI19rocblas_complex_numIdELi16ELi16ELi32ELi32ELi8ELi32ELi8ELi8ELi32ELc78ELc84EKPKS2_S5_KPS2_EEvlllT_PT11_llSA_llS8_PT12_llPT13_lli.num_vgpr, 162
	.set _ZN12_GLOBAL__N_127rocblas_gemm_batched_kernelI19rocblas_complex_numIdELi16ELi16ELi32ELi32ELi8ELi32ELi8ELi8ELi32ELc78ELc84EKPKS2_S5_KPS2_EEvlllT_PT11_llSA_llS8_PT12_llPT13_lli.num_agpr, 0
	.set _ZN12_GLOBAL__N_127rocblas_gemm_batched_kernelI19rocblas_complex_numIdELi16ELi16ELi32ELi32ELi8ELi32ELi8ELi8ELi32ELc78ELc84EKPKS2_S5_KPS2_EEvlllT_PT11_llSA_llS8_PT12_llPT13_lli.numbered_sgpr, 52
	.set _ZN12_GLOBAL__N_127rocblas_gemm_batched_kernelI19rocblas_complex_numIdELi16ELi16ELi32ELi32ELi8ELi32ELi8ELi8ELi32ELc78ELc84EKPKS2_S5_KPS2_EEvlllT_PT11_llSA_llS8_PT12_llPT13_lli.num_named_barrier, 0
	.set _ZN12_GLOBAL__N_127rocblas_gemm_batched_kernelI19rocblas_complex_numIdELi16ELi16ELi32ELi32ELi8ELi32ELi8ELi8ELi32ELc78ELc84EKPKS2_S5_KPS2_EEvlllT_PT11_llSA_llS8_PT12_llPT13_lli.private_seg_size, 0
	.set _ZN12_GLOBAL__N_127rocblas_gemm_batched_kernelI19rocblas_complex_numIdELi16ELi16ELi32ELi32ELi8ELi32ELi8ELi8ELi32ELc78ELc84EKPKS2_S5_KPS2_EEvlllT_PT11_llSA_llS8_PT12_llPT13_lli.uses_vcc, 1
	.set _ZN12_GLOBAL__N_127rocblas_gemm_batched_kernelI19rocblas_complex_numIdELi16ELi16ELi32ELi32ELi8ELi32ELi8ELi8ELi32ELc78ELc84EKPKS2_S5_KPS2_EEvlllT_PT11_llSA_llS8_PT12_llPT13_lli.uses_flat_scratch, 0
	.set _ZN12_GLOBAL__N_127rocblas_gemm_batched_kernelI19rocblas_complex_numIdELi16ELi16ELi32ELi32ELi8ELi32ELi8ELi8ELi32ELc78ELc84EKPKS2_S5_KPS2_EEvlllT_PT11_llSA_llS8_PT12_llPT13_lli.has_dyn_sized_stack, 0
	.set _ZN12_GLOBAL__N_127rocblas_gemm_batched_kernelI19rocblas_complex_numIdELi16ELi16ELi32ELi32ELi8ELi32ELi8ELi8ELi32ELc78ELc84EKPKS2_S5_KPS2_EEvlllT_PT11_llSA_llS8_PT12_llPT13_lli.has_recursion, 0
	.set _ZN12_GLOBAL__N_127rocblas_gemm_batched_kernelI19rocblas_complex_numIdELi16ELi16ELi32ELi32ELi8ELi32ELi8ELi8ELi32ELc78ELc84EKPKS2_S5_KPS2_EEvlllT_PT11_llSA_llS8_PT12_llPT13_lli.has_indirect_call, 0
	.section	.AMDGPU.csdata,"",@progbits
; Kernel info:
; codeLenInByte = 3508
; TotalNumSgprs: 54
; NumVgprs: 162
; ScratchSize: 0
; MemoryBound: 0
; FloatMode: 240
; IeeeMode: 1
; LDSByteSize: 8192 bytes/workgroup (compile time only)
; SGPRBlocks: 0
; VGPRBlocks: 20
; NumSGPRsForWavesPerEU: 54
; NumVGPRsForWavesPerEU: 162
; Occupancy: 5
; WaveLimiterHint : 1
; COMPUTE_PGM_RSRC2:SCRATCH_EN: 0
; COMPUTE_PGM_RSRC2:USER_SGPR: 6
; COMPUTE_PGM_RSRC2:TRAP_HANDLER: 0
; COMPUTE_PGM_RSRC2:TGID_X_EN: 1
; COMPUTE_PGM_RSRC2:TGID_Y_EN: 1
; COMPUTE_PGM_RSRC2:TGID_Z_EN: 1
; COMPUTE_PGM_RSRC2:TIDIG_COMP_CNT: 1
	.section	.text._ZN12_GLOBAL__N_127rocblas_gemm_batched_kernelI19rocblas_complex_numIdELi16ELi16ELi32ELi32ELi8ELi32ELi8ELi8ELi32ELc84ELc84EKPKS2_S5_KPS2_EEvlllT_PT11_llSA_llS8_PT12_llPT13_lli,"axG",@progbits,_ZN12_GLOBAL__N_127rocblas_gemm_batched_kernelI19rocblas_complex_numIdELi16ELi16ELi32ELi32ELi8ELi32ELi8ELi8ELi32ELc84ELc84EKPKS2_S5_KPS2_EEvlllT_PT11_llSA_llS8_PT12_llPT13_lli,comdat
	.globl	_ZN12_GLOBAL__N_127rocblas_gemm_batched_kernelI19rocblas_complex_numIdELi16ELi16ELi32ELi32ELi8ELi32ELi8ELi8ELi32ELc84ELc84EKPKS2_S5_KPS2_EEvlllT_PT11_llSA_llS8_PT12_llPT13_lli ; -- Begin function _ZN12_GLOBAL__N_127rocblas_gemm_batched_kernelI19rocblas_complex_numIdELi16ELi16ELi32ELi32ELi8ELi32ELi8ELi8ELi32ELc84ELc84EKPKS2_S5_KPS2_EEvlllT_PT11_llSA_llS8_PT12_llPT13_lli
	.p2align	8
	.type	_ZN12_GLOBAL__N_127rocblas_gemm_batched_kernelI19rocblas_complex_numIdELi16ELi16ELi32ELi32ELi8ELi32ELi8ELi8ELi32ELc84ELc84EKPKS2_S5_KPS2_EEvlllT_PT11_llSA_llS8_PT12_llPT13_lli,@function
_ZN12_GLOBAL__N_127rocblas_gemm_batched_kernelI19rocblas_complex_numIdELi16ELi16ELi32ELi32ELi8ELi32ELi8ELi8ELi32ELc84ELc84EKPKS2_S5_KPS2_EEvlllT_PT11_llSA_llS8_PT12_llPT13_lli: ; @_ZN12_GLOBAL__N_127rocblas_gemm_batched_kernelI19rocblas_complex_numIdELi16ELi16ELi32ELi32ELi8ELi32ELi8ELi8ELi32ELc84ELc84EKPKS2_S5_KPS2_EEvlllT_PT11_llSA_llS8_PT12_llPT13_lli
; %bb.0:
	s_clause 0x1
	s_load_dwordx16 s[12:27], s[4:5], 0x50
	s_load_dwordx16 s[36:51], s[4:5], 0x10
	s_mov_b32 s9, 0
	s_mov_b32 s28, s7
	s_lshl_b64 s[10:11], s[8:9], 3
	s_waitcnt lgkmcnt(0)
	s_add_u32 s0, s18, s10
	s_addc_u32 s1, s19, s11
	s_add_u32 s2, s24, s10
	s_addc_u32 s3, s25, s11
	s_load_dwordx2 s[0:1], s[0:1], 0x0
	s_load_dwordx2 s[2:3], s[2:3], 0x0
	v_cmp_lt_i64_e64 s8, s[36:37], 1
	s_ashr_i32 s7, s6, 31
	s_ashr_i32 s29, s28, 31
	s_lshl_b64 s[6:7], s[6:7], 5
	s_and_b32 vcc_lo, exec_lo, s8
	s_lshl_b64 s[8:9], s[28:29], 5
	s_cbranch_vccnz .LBB263_3
; %bb.1:
	v_lshl_add_u32 v6, v1, 4, v0
	v_and_b32_e32 v7, 7, v0
	v_mov_b32_e32 v16, 0
	v_mov_b32_e32 v14, 0
	v_lshlrev_b32_e32 v24, 4, v0
	v_lshrrev_b32_e32 v8, 3, v6
	v_and_b32_e32 v9, 31, v6
	v_lshrrev_b32_e32 v12, 5, v6
	v_lshlrev_b32_e32 v13, 4, v7
	v_lshl_add_u32 v25, v1, 7, 0x1000
	v_add_co_u32 v2, s18, v8, s8
	v_add_co_ci_u32_e64 v3, null, 0, s9, s18
	v_add_co_u32 v4, s18, s6, v9
	v_add_co_ci_u32_e64 v5, null, s7, 0, s18
	v_mad_u64_u32 v[2:3], null, s50, v7, v[2:3]
	v_mul_lo_u32 v10, s45, v4
	v_mul_lo_u32 v11, s44, v5
	v_mad_u64_u32 v[4:5], null, s44, v4, 0
	s_add_u32 s18, s42, s10
	s_addc_u32 s19, s43, s11
	s_add_u32 s10, s48, s10
	s_addc_u32 s11, s49, s11
	s_load_dwordx2 s[18:19], s[18:19], 0x0
	s_load_dwordx2 s[10:11], s[10:11], 0x0
	v_add3_u32 v5, v5, v11, v10
	v_mad_u64_u32 v[6:7], null, s51, v7, v[3:4]
	v_lshlrev_b32_e32 v3, 4, v9
	s_lshl_b64 s[24:25], s[46:47], 4
	v_lshlrev_b64 v[4:5], 4, v[4:5]
	v_lshl_or_b32 v7, v8, 7, v13
	s_lshl_b64 s[12:13], s[12:13], 4
	v_lshl_or_b32 v22, v12, 9, v3
	v_mov_b32_e32 v3, v6
	v_lshlrev_b32_e32 v6, 4, v12
	v_add_co_u32 v4, vcc_lo, v4, s24
	v_add_co_ci_u32_e64 v5, null, s25, v5, vcc_lo
	v_lshlrev_b64 v[20:21], 4, v[2:3]
	v_add_co_u32 v4, vcc_lo, v4, v6
	v_add_co_ci_u32_e64 v5, null, 0, v5, vcc_lo
	s_waitcnt lgkmcnt(0)
	s_add_u32 s10, s10, s12
	v_add_co_u32 v18, vcc_lo, s18, v4
	v_add_co_ci_u32_e64 v19, null, s19, v5, vcc_lo
	s_addc_u32 s11, s11, s13
	v_add_co_u32 v20, vcc_lo, s10, v20
	v_add_nc_u32_e32 v23, 0x1000, v7
	v_mov_b32_e32 v4, 0
	v_mov_b32_e32 v2, 0
	;; [unrolled: 1-line block ×14, first 2 shown]
	v_add_co_ci_u32_e64 v21, null, s11, v21, vcc_lo
	s_lshl_b64 s[10:11], s[50:51], 7
	s_mov_b64 s[12:13], 0
.LBB263_2:                              ; =>This Inner Loop Header: Depth=1
	flat_load_dwordx4 v[26:29], v[18:19]
	flat_load_dwordx4 v[30:33], v[20:21]
	s_add_u32 s12, s12, 8
	s_addc_u32 s13, s13, 0
	v_add_co_u32 v18, vcc_lo, 0x80, v18
	v_cmp_lt_i64_e64 s18, s[12:13], s[36:37]
	v_add_co_ci_u32_e64 v19, null, 0, v19, vcc_lo
	v_add_co_u32 v20, vcc_lo, v20, s10
	v_add_co_ci_u32_e64 v21, null, s11, v21, vcc_lo
	s_and_b32 vcc_lo, exec_lo, s18
	s_waitcnt vmcnt(1) lgkmcnt(1)
	ds_write2_b64 v22, v[26:27], v[28:29] offset1:1
	s_waitcnt vmcnt(0) lgkmcnt(1)
	ds_write2_b64 v23, v[30:31], v[32:33] offset1:1
	s_waitcnt lgkmcnt(0)
	s_barrier
	buffer_gl0_inv
	ds_read_b128 v[26:29], v24
	ds_read_b128 v[30:33], v24 offset:256
	ds_read_b128 v[34:37], v25
	ds_read_b128 v[38:41], v25 offset:16
	ds_read_b128 v[42:45], v25 offset:2048
	;; [unrolled: 1-line block ×28, first 2 shown]
	s_waitcnt lgkmcnt(28)
	v_mul_f64 v[150:151], v[36:37], v[28:29]
	v_mul_f64 v[154:155], v[36:37], v[32:33]
	;; [unrolled: 1-line block ×4, first 2 shown]
	v_fma_f64 v[150:151], v[34:35], v[26:27], -v[150:151]
	v_fma_f64 v[34:35], v[34:35], v[30:31], -v[154:155]
	s_waitcnt lgkmcnt(26)
	v_mul_f64 v[154:155], v[44:45], v[28:29]
	v_mul_f64 v[28:29], v[42:43], v[28:29]
	v_fma_f64 v[152:153], v[36:37], v[26:27], v[152:153]
	v_fma_f64 v[36:37], v[36:37], v[30:31], v[156:157]
	v_add_f64 v[14:15], v[14:15], v[150:151]
	v_add_f64 v[10:11], v[10:11], v[34:35]
	v_fma_f64 v[154:155], v[42:43], v[26:27], -v[154:155]
	v_fma_f64 v[156:157], v[44:45], v[26:27], v[28:29]
	v_mul_f64 v[26:27], v[44:45], v[32:33]
	v_mul_f64 v[28:29], v[42:43], v[32:33]
	v_add_f64 v[16:17], v[152:153], v[16:17]
	v_add_f64 v[12:13], v[36:37], v[12:13]
	s_waitcnt lgkmcnt(16)
	v_mul_f64 v[34:35], v[64:65], v[84:85]
	v_mul_f64 v[36:37], v[62:63], v[84:85]
	s_waitcnt lgkmcnt(15)
	v_mul_f64 v[150:151], v[62:63], v[88:89]
	s_waitcnt lgkmcnt(12)
	v_mul_f64 v[152:153], v[98:99], v[96:97]
	v_add_f64 v[6:7], v[6:7], v[154:155]
	v_add_f64 v[8:9], v[156:157], v[8:9]
	v_fma_f64 v[32:33], v[42:43], v[30:31], -v[26:27]
	v_fma_f64 v[30:31], v[44:45], v[30:31], v[28:29]
	v_mul_f64 v[26:27], v[40:41], v[52:53]
	v_mul_f64 v[28:29], v[38:39], v[52:53]
	;; [unrolled: 1-line block ×4, first 2 shown]
	v_fma_f64 v[34:35], v[62:63], v[82:83], -v[34:35]
	v_fma_f64 v[36:37], v[64:65], v[82:83], v[36:37]
	v_add_f64 v[2:3], v[2:3], v[32:33]
	v_add_f64 v[4:5], v[30:31], v[4:5]
	v_fma_f64 v[158:159], v[38:39], v[50:51], -v[26:27]
	v_fma_f64 v[160:161], v[40:41], v[50:51], v[28:29]
	v_mul_f64 v[26:27], v[48:49], v[52:53]
	v_mul_f64 v[28:29], v[46:47], v[52:53]
	v_fma_f64 v[38:39], v[38:39], v[54:55], -v[42:43]
	v_fma_f64 v[40:41], v[40:41], v[54:55], v[44:45]
	v_mul_f64 v[52:53], v[58:59], v[72:73]
	v_mul_f64 v[30:31], v[80:81], v[84:85]
	;; [unrolled: 1-line block ×4, first 2 shown]
	v_add_f64 v[14:15], v[14:15], v[158:159]
	v_add_f64 v[16:17], v[160:161], v[16:17]
	v_fma_f64 v[42:43], v[46:47], v[50:51], -v[26:27]
	v_fma_f64 v[44:45], v[48:49], v[50:51], v[28:29]
	v_mul_f64 v[26:27], v[48:49], v[56:57]
	v_mul_f64 v[28:29], v[46:47], v[56:57]
	;; [unrolled: 1-line block ×3, first 2 shown]
	v_fma_f64 v[52:53], v[60:61], v[70:71], v[52:53]
	v_add_f64 v[10:11], v[10:11], v[38:39]
	v_add_f64 v[12:13], v[40:41], v[12:13]
	s_waitcnt lgkmcnt(10)
	v_mul_f64 v[38:39], v[108:109], v[92:93]
	v_mul_f64 v[40:41], v[106:107], v[92:93]
	v_fma_f64 v[30:31], v[78:79], v[82:83], -v[30:31]
	v_fma_f64 v[32:33], v[80:81], v[82:83], v[32:33]
	s_waitcnt lgkmcnt(8)
	v_mul_f64 v[82:83], v[112:113], v[116:117]
	v_add_f64 v[6:7], v[6:7], v[42:43]
	v_add_f64 v[8:9], v[44:45], v[8:9]
	v_fma_f64 v[46:47], v[46:47], v[54:55], -v[26:27]
	v_fma_f64 v[48:49], v[48:49], v[54:55], v[28:29]
	v_mul_f64 v[26:27], v[60:61], v[68:69]
	v_mul_f64 v[28:29], v[58:59], v[68:69]
	v_fma_f64 v[50:51], v[58:59], v[70:71], -v[50:51]
	v_mul_f64 v[42:43], v[108:109], v[96:97]
	v_mul_f64 v[44:45], v[106:107], v[96:97]
	v_add_f64 v[12:13], v[52:53], v[12:13]
	s_waitcnt lgkmcnt(7)
	v_mul_f64 v[52:53], v[110:111], v[120:121]
	v_fma_f64 v[38:39], v[106:107], v[90:91], -v[38:39]
	v_fma_f64 v[40:41], v[108:109], v[90:91], v[40:41]
	v_add_f64 v[2:3], v[2:3], v[46:47]
	v_add_f64 v[4:5], v[48:49], v[4:5]
	v_fma_f64 v[54:55], v[58:59], v[66:67], -v[26:27]
	v_fma_f64 v[56:57], v[60:61], v[66:67], v[28:29]
	v_mul_f64 v[26:27], v[76:77], v[68:69]
	v_mul_f64 v[28:29], v[74:75], v[68:69]
	;; [unrolled: 1-line block ×3, first 2 shown]
	v_add_f64 v[10:11], v[10:11], v[50:51]
	v_mul_f64 v[46:47], v[104:105], v[116:117]
	v_mul_f64 v[48:49], v[102:103], v[116:117]
	v_mul_f64 v[50:51], v[112:113], v[120:121]
	v_fma_f64 v[42:43], v[106:107], v[94:95], -v[42:43]
	v_fma_f64 v[44:45], v[108:109], v[94:95], v[44:45]
	v_fma_f64 v[52:53], v[112:113], v[118:119], v[52:53]
	v_add_f64 v[14:15], v[14:15], v[54:55]
	v_add_f64 v[16:17], v[56:57], v[16:17]
	v_fma_f64 v[58:59], v[74:75], v[66:67], -v[26:27]
	v_fma_f64 v[60:61], v[76:77], v[66:67], v[28:29]
	v_mul_f64 v[66:67], v[76:77], v[72:73]
	v_mul_f64 v[72:73], v[64:65], v[88:89]
	v_fma_f64 v[68:69], v[76:77], v[70:71], v[68:69]
	v_mul_f64 v[76:77], v[100:101], v[92:93]
	v_fma_f64 v[64:65], v[64:65], v[86:87], v[150:151]
	v_mul_f64 v[92:93], v[102:103], v[120:121]
	s_waitcnt lgkmcnt(4)
	v_mul_f64 v[54:55], v[132:133], v[124:125]
	v_mul_f64 v[56:57], v[130:131], v[124:125]
	v_fma_f64 v[46:47], v[102:103], v[114:115], -v[46:47]
	v_fma_f64 v[48:49], v[104:105], v[114:115], v[48:49]
	v_fma_f64 v[50:51], v[110:111], v[118:119], -v[50:51]
	ds_read_b128 v[26:29], v24 offset:3840
	s_waitcnt lgkmcnt(0)
	s_barrier
	buffer_gl0_inv
	v_add_f64 v[14:15], v[14:15], v[34:35]
	v_add_f64 v[16:17], v[36:37], v[16:17]
	;; [unrolled: 1-line block ×4, first 2 shown]
	v_fma_f64 v[66:67], v[74:75], v[70:71], -v[66:67]
	v_mul_f64 v[70:71], v[80:81], v[88:89]
	v_mul_f64 v[74:75], v[78:79], v[88:89]
	;; [unrolled: 1-line block ×3, first 2 shown]
	v_fma_f64 v[62:63], v[62:63], v[86:87], -v[72:73]
	v_add_f64 v[4:5], v[68:69], v[4:5]
	v_mul_f64 v[72:73], v[104:105], v[120:121]
	v_mul_f64 v[96:97], v[110:111], v[116:117]
	v_fma_f64 v[68:69], v[100:101], v[90:91], v[84:85]
	v_add_f64 v[12:13], v[64:65], v[12:13]
	v_mul_f64 v[58:59], v[132:133], v[128:129]
	v_mul_f64 v[60:61], v[130:131], v[128:129]
	;; [unrolled: 1-line block ×5, first 2 shown]
	v_fma_f64 v[54:55], v[130:131], v[122:123], -v[54:55]
	v_fma_f64 v[56:57], v[132:133], v[122:123], v[56:57]
	v_add_f64 v[6:7], v[6:7], v[30:31]
	v_add_f64 v[8:9], v[32:33], v[8:9]
	;; [unrolled: 1-line block ×3, first 2 shown]
	v_fma_f64 v[70:71], v[78:79], v[86:87], -v[70:71]
	v_fma_f64 v[74:75], v[80:81], v[86:87], v[74:75]
	v_fma_f64 v[66:67], v[98:99], v[90:91], -v[76:77]
	v_fma_f64 v[76:77], v[98:99], v[94:95], -v[88:89]
	v_fma_f64 v[78:79], v[100:101], v[94:95], v[152:153]
	v_add_f64 v[10:11], v[10:11], v[62:63]
	v_mul_f64 v[30:31], v[140:141], v[124:125]
	v_mul_f64 v[32:33], v[138:139], v[124:125]
	v_fma_f64 v[80:81], v[112:113], v[114:115], v[96:97]
	v_add_f64 v[16:17], v[68:69], v[16:17]
	v_mul_f64 v[62:63], v[136:137], v[148:149]
	v_fma_f64 v[58:59], v[130:131], v[126:127], -v[58:59]
	v_fma_f64 v[60:61], v[132:133], v[126:127], v[60:61]
	v_fma_f64 v[34:35], v[138:139], v[126:127], -v[34:35]
	v_fma_f64 v[36:37], v[140:141], v[126:127], v[36:37]
	v_add_f64 v[6:7], v[6:7], v[38:39]
	v_add_f64 v[8:9], v[40:41], v[8:9]
	v_mul_f64 v[38:39], v[136:137], v[28:29]
	v_add_f64 v[2:3], v[2:3], v[70:71]
	v_add_f64 v[4:5], v[74:75], v[4:5]
	v_fma_f64 v[70:71], v[102:103], v[118:119], -v[72:73]
	v_fma_f64 v[72:73], v[104:105], v[118:119], v[92:93]
	v_fma_f64 v[74:75], v[110:111], v[114:115], -v[82:83]
	v_add_f64 v[14:15], v[14:15], v[66:67]
	v_add_f64 v[10:11], v[10:11], v[76:77]
	;; [unrolled: 1-line block ×3, first 2 shown]
	v_mul_f64 v[40:41], v[134:135], v[28:29]
	v_mul_f64 v[66:67], v[144:145], v[28:29]
	;; [unrolled: 1-line block ×3, first 2 shown]
	v_fma_f64 v[30:31], v[138:139], v[122:123], -v[30:31]
	v_fma_f64 v[32:33], v[140:141], v[122:123], v[32:33]
	v_add_f64 v[16:17], v[48:49], v[16:17]
	v_fma_f64 v[48:49], v[136:137], v[146:147], v[64:65]
	v_add_f64 v[8:9], v[80:81], v[8:9]
	v_fma_f64 v[38:39], v[134:135], v[26:27], -v[38:39]
	v_add_f64 v[2:3], v[2:3], v[42:43]
	v_add_f64 v[4:5], v[44:45], v[4:5]
	v_mul_f64 v[42:43], v[144:145], v[148:149]
	v_mul_f64 v[44:45], v[142:143], v[148:149]
	v_add_f64 v[6:7], v[6:7], v[74:75]
	v_add_f64 v[14:15], v[14:15], v[46:47]
	;; [unrolled: 1-line block ×4, first 2 shown]
	v_fma_f64 v[46:47], v[134:135], v[146:147], -v[62:63]
	v_fma_f64 v[40:41], v[136:137], v[26:27], v[40:41]
	v_add_f64 v[16:17], v[56:57], v[16:17]
	v_add_f64 v[8:9], v[32:33], v[8:9]
	;; [unrolled: 1-line block ×4, first 2 shown]
	v_fma_f64 v[42:43], v[142:143], v[146:147], -v[42:43]
	v_fma_f64 v[44:45], v[144:145], v[146:147], v[44:45]
	v_fma_f64 v[50:51], v[142:143], v[26:27], -v[66:67]
	v_fma_f64 v[26:27], v[144:145], v[26:27], v[28:29]
	v_add_f64 v[14:15], v[14:15], v[54:55]
	v_add_f64 v[10:11], v[10:11], v[58:59]
	;; [unrolled: 1-line block ×14, first 2 shown]
	s_cbranch_vccnz .LBB263_2
	s_branch .LBB263_4
.LBB263_3:
	v_mov_b32_e32 v14, 0
	v_mov_b32_e32 v16, 0
	;; [unrolled: 1-line block ×16, first 2 shown]
.LBB263_4:
	s_load_dwordx2 s[4:5], s[4:5], 0x90
	v_cmp_neq_f64_e64 s10, s[14:15], 0
	v_cmp_neq_f64_e64 s11, s[16:17], 0
	v_add_co_u32 v22, s8, s8, v1
	v_add_co_ci_u32_e64 v23, null, s9, 0, s8
	s_waitcnt lgkmcnt(0)
	s_lshl_b64 s[4:5], s[4:5], 4
	s_add_u32 s2, s2, s4
	s_addc_u32 s3, s3, s5
	v_add_co_u32 v0, s5, s6, v0
	v_add_co_ci_u32_e64 v1, null, s7, 0, s5
	s_or_b32 s4, s10, s11
	s_and_b32 vcc_lo, exec_lo, s4
	s_cbranch_vccnz .LBB263_6
; %bb.5:
	v_mul_f64 v[20:21], s[40:41], v[16:17]
	v_mul_f64 v[26:27], s[38:39], v[16:17]
	;; [unrolled: 1-line block ×4, first 2 shown]
	v_mul_lo_u32 v24, v23, s26
	v_mul_lo_u32 v25, v22, s27
	v_mad_u64_u32 v[18:19], null, v22, s26, 0
	v_mul_f64 v[28:29], s[40:41], v[12:13]
	v_mul_f64 v[30:31], s[38:39], v[12:13]
	;; [unrolled: 1-line block ×4, first 2 shown]
	s_lshl_b64 s[4:5], s[26:27], 8
	v_lshlrev_b64 v[40:41], 4, v[0:1]
	v_add3_u32 v19, v19, v25, v24
	v_lshlrev_b64 v[18:19], 4, v[18:19]
	v_fma_f64 v[24:25], s[38:39], v[14:15], -v[20:21]
	v_fma_f64 v[26:27], s[40:41], v[14:15], v[26:27]
	v_fma_f64 v[36:37], s[38:39], v[2:3], -v[36:37]
	v_add_co_u32 v42, vcc_lo, s2, v18
	v_add_co_ci_u32_e64 v43, null, s3, v19, vcc_lo
	v_fma_f64 v[18:19], s[40:41], v[2:3], v[38:39]
	v_fma_f64 v[28:29], s[38:39], v[10:11], -v[28:29]
	v_fma_f64 v[30:31], s[40:41], v[10:11], v[30:31]
	v_fma_f64 v[32:33], s[38:39], v[6:7], -v[32:33]
	v_fma_f64 v[34:35], s[40:41], v[6:7], v[34:35]
	v_add_co_u32 v20, vcc_lo, v42, s4
	v_add_co_ci_u32_e64 v21, null, s5, v43, vcc_lo
	v_add_co_u32 v38, vcc_lo, v20, v40
	v_add_co_ci_u32_e64 v39, null, v21, v41, vcc_lo
	;; [unrolled: 2-line block ×4, first 2 shown]
	flat_store_dwordx4 v[40:41], v[24:27]
	flat_store_dwordx4 v[40:41], v[28:31] offset:256
	flat_store_dwordx4 v[38:39], v[32:35]
	flat_store_dwordx2 v[38:39], v[36:37] offset:256
	s_cbranch_execz .LBB263_7
	s_branch .LBB263_8
.LBB263_6:
                                        ; implicit-def: $vgpr18_vgpr19
                                        ; implicit-def: $vgpr20_vgpr21
.LBB263_7:
	v_mul_lo_u32 v20, v23, s20
	v_mul_lo_u32 v21, v22, s21
	v_mad_u64_u32 v[18:19], null, v22, s20, 0
	s_lshl_b64 s[4:5], s[22:23], 4
	v_lshlrev_b64 v[0:1], 4, v[0:1]
	s_add_u32 s0, s0, s4
	s_addc_u32 s1, s1, s5
	v_mul_f64 v[26:27], s[40:41], v[16:17]
	v_mul_f64 v[16:17], s[38:39], v[16:17]
	v_add3_u32 v19, v19, v21, v20
	v_mul_lo_u32 v23, v23, s26
	v_lshlrev_b64 v[18:19], 4, v[18:19]
	v_add_co_u32 v30, vcc_lo, s0, v18
	v_add_co_ci_u32_e64 v31, null, s1, v19, vcc_lo
	s_lshl_b64 s[0:1], s[20:21], 8
	v_add_co_u32 v24, vcc_lo, v30, v0
	v_add_co_ci_u32_e64 v25, null, v31, v1, vcc_lo
	v_fma_f64 v[26:27], s[38:39], v[14:15], -v[26:27]
	v_fma_f64 v[16:17], s[40:41], v[14:15], v[16:17]
	flat_load_dwordx4 v[18:21], v[24:25]
	s_waitcnt vmcnt(0) lgkmcnt(0)
	v_mul_f64 v[28:29], s[16:17], v[20:21]
	v_mul_f64 v[20:21], s[14:15], v[20:21]
	v_fma_f64 v[14:15], s[14:15], v[18:19], -v[28:29]
	v_fma_f64 v[18:19], s[16:17], v[18:19], v[20:21]
	v_mul_lo_u32 v28, v22, s27
	v_mad_u64_u32 v[20:21], null, v22, s26, 0
	v_add3_u32 v21, v21, v28, v23
	v_add_f64 v[14:15], v[26:27], v[14:15]
	v_add_f64 v[16:17], v[16:17], v[18:19]
	v_lshlrev_b64 v[18:19], 4, v[20:21]
	v_mul_f64 v[20:21], s[40:41], v[12:13]
	v_mul_f64 v[12:13], s[38:39], v[12:13]
	v_add_co_u32 v26, vcc_lo, s2, v18
	v_add_co_ci_u32_e64 v27, null, s3, v19, vcc_lo
	v_add_co_u32 v18, vcc_lo, v26, v0
	v_add_co_ci_u32_e64 v19, null, v27, v1, vcc_lo
	flat_store_dwordx4 v[18:19], v[14:17]
	flat_load_dwordx4 v[14:17], v[24:25] offset:256
	v_fma_f64 v[20:21], s[38:39], v[10:11], -v[20:21]
	v_fma_f64 v[12:13], s[40:41], v[10:11], v[12:13]
	s_waitcnt vmcnt(0) lgkmcnt(0)
	v_mul_f64 v[22:23], s[16:17], v[16:17]
	v_mul_f64 v[16:17], s[14:15], v[16:17]
	v_fma_f64 v[10:11], s[14:15], v[14:15], -v[22:23]
	v_fma_f64 v[14:15], s[16:17], v[14:15], v[16:17]
	v_mul_f64 v[16:17], s[40:41], v[8:9]
	v_mul_f64 v[8:9], s[38:39], v[8:9]
	v_add_f64 v[10:11], v[20:21], v[10:11]
	v_add_f64 v[12:13], v[12:13], v[14:15]
	v_add_co_u32 v14, vcc_lo, v30, s0
	v_add_co_ci_u32_e64 v15, null, s1, v31, vcc_lo
	v_fma_f64 v[16:17], s[38:39], v[6:7], -v[16:17]
	v_add_co_u32 v14, vcc_lo, v14, v0
	v_add_co_ci_u32_e64 v15, null, v15, v1, vcc_lo
	v_fma_f64 v[8:9], s[40:41], v[6:7], v[8:9]
	s_lshl_b64 s[0:1], s[26:27], 8
	flat_store_dwordx4 v[18:19], v[10:13] offset:256
	flat_load_dwordx4 v[10:13], v[14:15]
	s_waitcnt vmcnt(0) lgkmcnt(0)
	v_mul_f64 v[18:19], s[16:17], v[12:13]
	v_mul_f64 v[12:13], s[14:15], v[12:13]
	v_fma_f64 v[6:7], s[14:15], v[10:11], -v[18:19]
	v_fma_f64 v[10:11], s[16:17], v[10:11], v[12:13]
	v_add_f64 v[6:7], v[16:17], v[6:7]
	v_add_f64 v[8:9], v[8:9], v[10:11]
	v_add_co_u32 v10, vcc_lo, v26, s0
	v_add_co_ci_u32_e64 v11, null, s1, v27, vcc_lo
	v_add_co_u32 v0, vcc_lo, v10, v0
	v_add_co_ci_u32_e64 v1, null, v11, v1, vcc_lo
	v_mul_f64 v[10:11], s[40:41], v[4:5]
	v_mul_f64 v[4:5], s[38:39], v[4:5]
	v_add_co_u32 v20, vcc_lo, 0x100, v0
	v_add_co_ci_u32_e64 v21, null, 0, v1, vcc_lo
	flat_store_dwordx4 v[0:1], v[6:9]
	flat_load_dwordx4 v[6:9], v[14:15] offset:256
	v_fma_f64 v[10:11], s[38:39], v[2:3], -v[10:11]
	v_fma_f64 v[2:3], s[40:41], v[2:3], v[4:5]
	s_waitcnt vmcnt(0) lgkmcnt(0)
	v_mul_f64 v[12:13], s[16:17], v[8:9]
	v_mul_f64 v[8:9], s[14:15], v[8:9]
	v_fma_f64 v[4:5], s[14:15], v[6:7], -v[12:13]
	v_fma_f64 v[6:7], s[16:17], v[6:7], v[8:9]
	v_add_f64 v[4:5], v[10:11], v[4:5]
	v_add_f64 v[18:19], v[2:3], v[6:7]
	flat_store_dwordx2 v[0:1], v[4:5] offset:256
.LBB263_8:
	flat_store_dwordx2 v[20:21], v[18:19] offset:8
	s_endpgm
	.section	.rodata,"a",@progbits
	.p2align	6, 0x0
	.amdhsa_kernel _ZN12_GLOBAL__N_127rocblas_gemm_batched_kernelI19rocblas_complex_numIdELi16ELi16ELi32ELi32ELi8ELi32ELi8ELi8ELi32ELc84ELc84EKPKS2_S5_KPS2_EEvlllT_PT11_llSA_llS8_PT12_llPT13_lli
		.amdhsa_group_segment_fixed_size 8192
		.amdhsa_private_segment_fixed_size 0
		.amdhsa_kernarg_size 156
		.amdhsa_user_sgpr_count 6
		.amdhsa_user_sgpr_private_segment_buffer 1
		.amdhsa_user_sgpr_dispatch_ptr 0
		.amdhsa_user_sgpr_queue_ptr 0
		.amdhsa_user_sgpr_kernarg_segment_ptr 1
		.amdhsa_user_sgpr_dispatch_id 0
		.amdhsa_user_sgpr_flat_scratch_init 0
		.amdhsa_user_sgpr_private_segment_size 0
		.amdhsa_wavefront_size32 1
		.amdhsa_uses_dynamic_stack 0
		.amdhsa_system_sgpr_private_segment_wavefront_offset 0
		.amdhsa_system_sgpr_workgroup_id_x 1
		.amdhsa_system_sgpr_workgroup_id_y 1
		.amdhsa_system_sgpr_workgroup_id_z 1
		.amdhsa_system_sgpr_workgroup_info 0
		.amdhsa_system_vgpr_workitem_id 1
		.amdhsa_next_free_vgpr 162
		.amdhsa_next_free_sgpr 52
		.amdhsa_reserve_vcc 1
		.amdhsa_reserve_flat_scratch 0
		.amdhsa_float_round_mode_32 0
		.amdhsa_float_round_mode_16_64 0
		.amdhsa_float_denorm_mode_32 3
		.amdhsa_float_denorm_mode_16_64 3
		.amdhsa_dx10_clamp 1
		.amdhsa_ieee_mode 1
		.amdhsa_fp16_overflow 0
		.amdhsa_workgroup_processor_mode 1
		.amdhsa_memory_ordered 1
		.amdhsa_forward_progress 1
		.amdhsa_shared_vgpr_count 0
		.amdhsa_exception_fp_ieee_invalid_op 0
		.amdhsa_exception_fp_denorm_src 0
		.amdhsa_exception_fp_ieee_div_zero 0
		.amdhsa_exception_fp_ieee_overflow 0
		.amdhsa_exception_fp_ieee_underflow 0
		.amdhsa_exception_fp_ieee_inexact 0
		.amdhsa_exception_int_div_zero 0
	.end_amdhsa_kernel
	.section	.text._ZN12_GLOBAL__N_127rocblas_gemm_batched_kernelI19rocblas_complex_numIdELi16ELi16ELi32ELi32ELi8ELi32ELi8ELi8ELi32ELc84ELc84EKPKS2_S5_KPS2_EEvlllT_PT11_llSA_llS8_PT12_llPT13_lli,"axG",@progbits,_ZN12_GLOBAL__N_127rocblas_gemm_batched_kernelI19rocblas_complex_numIdELi16ELi16ELi32ELi32ELi8ELi32ELi8ELi8ELi32ELc84ELc84EKPKS2_S5_KPS2_EEvlllT_PT11_llSA_llS8_PT12_llPT13_lli,comdat
.Lfunc_end263:
	.size	_ZN12_GLOBAL__N_127rocblas_gemm_batched_kernelI19rocblas_complex_numIdELi16ELi16ELi32ELi32ELi8ELi32ELi8ELi8ELi32ELc84ELc84EKPKS2_S5_KPS2_EEvlllT_PT11_llSA_llS8_PT12_llPT13_lli, .Lfunc_end263-_ZN12_GLOBAL__N_127rocblas_gemm_batched_kernelI19rocblas_complex_numIdELi16ELi16ELi32ELi32ELi8ELi32ELi8ELi8ELi32ELc84ELc84EKPKS2_S5_KPS2_EEvlllT_PT11_llSA_llS8_PT12_llPT13_lli
                                        ; -- End function
	.set _ZN12_GLOBAL__N_127rocblas_gemm_batched_kernelI19rocblas_complex_numIdELi16ELi16ELi32ELi32ELi8ELi32ELi8ELi8ELi32ELc84ELc84EKPKS2_S5_KPS2_EEvlllT_PT11_llSA_llS8_PT12_llPT13_lli.num_vgpr, 162
	.set _ZN12_GLOBAL__N_127rocblas_gemm_batched_kernelI19rocblas_complex_numIdELi16ELi16ELi32ELi32ELi8ELi32ELi8ELi8ELi32ELc84ELc84EKPKS2_S5_KPS2_EEvlllT_PT11_llSA_llS8_PT12_llPT13_lli.num_agpr, 0
	.set _ZN12_GLOBAL__N_127rocblas_gemm_batched_kernelI19rocblas_complex_numIdELi16ELi16ELi32ELi32ELi8ELi32ELi8ELi8ELi32ELc84ELc84EKPKS2_S5_KPS2_EEvlllT_PT11_llSA_llS8_PT12_llPT13_lli.numbered_sgpr, 52
	.set _ZN12_GLOBAL__N_127rocblas_gemm_batched_kernelI19rocblas_complex_numIdELi16ELi16ELi32ELi32ELi8ELi32ELi8ELi8ELi32ELc84ELc84EKPKS2_S5_KPS2_EEvlllT_PT11_llSA_llS8_PT12_llPT13_lli.num_named_barrier, 0
	.set _ZN12_GLOBAL__N_127rocblas_gemm_batched_kernelI19rocblas_complex_numIdELi16ELi16ELi32ELi32ELi8ELi32ELi8ELi8ELi32ELc84ELc84EKPKS2_S5_KPS2_EEvlllT_PT11_llSA_llS8_PT12_llPT13_lli.private_seg_size, 0
	.set _ZN12_GLOBAL__N_127rocblas_gemm_batched_kernelI19rocblas_complex_numIdELi16ELi16ELi32ELi32ELi8ELi32ELi8ELi8ELi32ELc84ELc84EKPKS2_S5_KPS2_EEvlllT_PT11_llSA_llS8_PT12_llPT13_lli.uses_vcc, 1
	.set _ZN12_GLOBAL__N_127rocblas_gemm_batched_kernelI19rocblas_complex_numIdELi16ELi16ELi32ELi32ELi8ELi32ELi8ELi8ELi32ELc84ELc84EKPKS2_S5_KPS2_EEvlllT_PT11_llSA_llS8_PT12_llPT13_lli.uses_flat_scratch, 0
	.set _ZN12_GLOBAL__N_127rocblas_gemm_batched_kernelI19rocblas_complex_numIdELi16ELi16ELi32ELi32ELi8ELi32ELi8ELi8ELi32ELc84ELc84EKPKS2_S5_KPS2_EEvlllT_PT11_llSA_llS8_PT12_llPT13_lli.has_dyn_sized_stack, 0
	.set _ZN12_GLOBAL__N_127rocblas_gemm_batched_kernelI19rocblas_complex_numIdELi16ELi16ELi32ELi32ELi8ELi32ELi8ELi8ELi32ELc84ELc84EKPKS2_S5_KPS2_EEvlllT_PT11_llSA_llS8_PT12_llPT13_lli.has_recursion, 0
	.set _ZN12_GLOBAL__N_127rocblas_gemm_batched_kernelI19rocblas_complex_numIdELi16ELi16ELi32ELi32ELi8ELi32ELi8ELi8ELi32ELc84ELc84EKPKS2_S5_KPS2_EEvlllT_PT11_llSA_llS8_PT12_llPT13_lli.has_indirect_call, 0
	.section	.AMDGPU.csdata,"",@progbits
; Kernel info:
; codeLenInByte = 3548
; TotalNumSgprs: 54
; NumVgprs: 162
; ScratchSize: 0
; MemoryBound: 0
; FloatMode: 240
; IeeeMode: 1
; LDSByteSize: 8192 bytes/workgroup (compile time only)
; SGPRBlocks: 0
; VGPRBlocks: 20
; NumSGPRsForWavesPerEU: 54
; NumVGPRsForWavesPerEU: 162
; Occupancy: 5
; WaveLimiterHint : 1
; COMPUTE_PGM_RSRC2:SCRATCH_EN: 0
; COMPUTE_PGM_RSRC2:USER_SGPR: 6
; COMPUTE_PGM_RSRC2:TRAP_HANDLER: 0
; COMPUTE_PGM_RSRC2:TGID_X_EN: 1
; COMPUTE_PGM_RSRC2:TGID_Y_EN: 1
; COMPUTE_PGM_RSRC2:TGID_Z_EN: 1
; COMPUTE_PGM_RSRC2:TIDIG_COMP_CNT: 1
	.section	.text._ZN12_GLOBAL__N_127rocblas_gemm_batched_kernelI19rocblas_complex_numIdELi16ELi16ELi32ELi32ELi8ELi32ELi8ELi8ELi32ELc67ELc67EKPKS2_S5_KPS2_EEvlllT_PT11_llSA_llS8_PT12_llPT13_lli,"axG",@progbits,_ZN12_GLOBAL__N_127rocblas_gemm_batched_kernelI19rocblas_complex_numIdELi16ELi16ELi32ELi32ELi8ELi32ELi8ELi8ELi32ELc67ELc67EKPKS2_S5_KPS2_EEvlllT_PT11_llSA_llS8_PT12_llPT13_lli,comdat
	.globl	_ZN12_GLOBAL__N_127rocblas_gemm_batched_kernelI19rocblas_complex_numIdELi16ELi16ELi32ELi32ELi8ELi32ELi8ELi8ELi32ELc67ELc67EKPKS2_S5_KPS2_EEvlllT_PT11_llSA_llS8_PT12_llPT13_lli ; -- Begin function _ZN12_GLOBAL__N_127rocblas_gemm_batched_kernelI19rocblas_complex_numIdELi16ELi16ELi32ELi32ELi8ELi32ELi8ELi8ELi32ELc67ELc67EKPKS2_S5_KPS2_EEvlllT_PT11_llSA_llS8_PT12_llPT13_lli
	.p2align	8
	.type	_ZN12_GLOBAL__N_127rocblas_gemm_batched_kernelI19rocblas_complex_numIdELi16ELi16ELi32ELi32ELi8ELi32ELi8ELi8ELi32ELc67ELc67EKPKS2_S5_KPS2_EEvlllT_PT11_llSA_llS8_PT12_llPT13_lli,@function
_ZN12_GLOBAL__N_127rocblas_gemm_batched_kernelI19rocblas_complex_numIdELi16ELi16ELi32ELi32ELi8ELi32ELi8ELi8ELi32ELc67ELc67EKPKS2_S5_KPS2_EEvlllT_PT11_llSA_llS8_PT12_llPT13_lli: ; @_ZN12_GLOBAL__N_127rocblas_gemm_batched_kernelI19rocblas_complex_numIdELi16ELi16ELi32ELi32ELi8ELi32ELi8ELi8ELi32ELc67ELc67EKPKS2_S5_KPS2_EEvlllT_PT11_llSA_llS8_PT12_llPT13_lli
; %bb.0:
	s_clause 0x1
	s_load_dwordx16 s[12:27], s[4:5], 0x50
	s_load_dwordx16 s[36:51], s[4:5], 0x10
	s_mov_b32 s9, 0
	s_mov_b32 s10, s7
	s_lshl_b64 s[0:1], s[8:9], 3
	s_waitcnt lgkmcnt(0)
	s_add_u32 s2, s18, s0
	s_addc_u32 s3, s19, s1
	s_add_u32 s8, s24, s0
	s_addc_u32 s9, s25, s1
	s_load_dwordx2 s[2:3], s[2:3], 0x0
	s_load_dwordx2 s[8:9], s[8:9], 0x0
	v_cmp_lt_i64_e64 s18, s[36:37], 1
	s_ashr_i32 s7, s6, 31
	s_ashr_i32 s11, s10, 31
	s_lshl_b64 s[6:7], s[6:7], 5
	s_lshl_b64 s[10:11], s[10:11], 5
	s_and_b32 vcc_lo, exec_lo, s18
	s_cbranch_vccnz .LBB264_3
; %bb.1:
	v_lshl_add_u32 v6, v1, 4, v0
	v_and_b32_e32 v7, 7, v0
	v_mov_b32_e32 v18, 0
	v_mov_b32_e32 v14, 0
	v_lshlrev_b32_e32 v24, 4, v0
	v_lshrrev_b32_e32 v8, 3, v6
	v_and_b32_e32 v9, 31, v6
	v_lshrrev_b32_e32 v12, 5, v6
	v_lshlrev_b32_e32 v13, 4, v7
	v_lshl_add_u32 v25, v1, 7, 0x1000
	v_add_co_u32 v2, s18, v8, s10
	v_add_co_ci_u32_e64 v3, null, 0, s11, s18
	v_add_co_u32 v4, s18, s6, v9
	v_add_co_ci_u32_e64 v5, null, s7, 0, s18
	v_mad_u64_u32 v[2:3], null, s50, v7, v[2:3]
	v_mul_lo_u32 v10, s45, v4
	v_mul_lo_u32 v11, s44, v5
	v_mad_u64_u32 v[4:5], null, s44, v4, 0
	s_add_u32 s18, s42, s0
	s_addc_u32 s19, s43, s1
	s_add_u32 s0, s48, s0
	s_addc_u32 s1, s49, s1
	s_load_dwordx2 s[18:19], s[18:19], 0x0
	s_load_dwordx2 s[0:1], s[0:1], 0x0
	v_add3_u32 v5, v5, v11, v10
	v_mad_u64_u32 v[6:7], null, s51, v7, v[3:4]
	v_lshlrev_b32_e32 v3, 4, v9
	s_lshl_b64 s[24:25], s[46:47], 4
	v_lshlrev_b64 v[4:5], 4, v[4:5]
	v_lshl_or_b32 v7, v8, 7, v13
	s_lshl_b64 s[12:13], s[12:13], 4
	v_lshl_or_b32 v22, v12, 9, v3
	v_mov_b32_e32 v3, v6
	v_lshlrev_b32_e32 v6, 4, v12
	v_add_co_u32 v4, vcc_lo, v4, s24
	v_add_co_ci_u32_e64 v5, null, s25, v5, vcc_lo
	v_lshlrev_b64 v[20:21], 4, v[2:3]
	v_add_co_u32 v4, vcc_lo, v4, v6
	v_add_co_ci_u32_e64 v5, null, 0, v5, vcc_lo
	s_waitcnt lgkmcnt(0)
	s_add_u32 s0, s0, s12
	v_add_co_u32 v16, vcc_lo, s18, v4
	v_add_co_ci_u32_e64 v17, null, s19, v5, vcc_lo
	s_addc_u32 s1, s1, s13
	v_add_co_u32 v20, vcc_lo, s0, v20
	v_add_nc_u32_e32 v23, 0x1000, v7
	v_mov_b32_e32 v4, 0
	v_mov_b32_e32 v2, 0
	;; [unrolled: 1-line block ×14, first 2 shown]
	v_add_co_ci_u32_e64 v21, null, s1, v21, vcc_lo
	s_lshl_b64 s[12:13], s[50:51], 7
	s_mov_b64 s[18:19], 0
.LBB264_2:                              ; =>This Inner Loop Header: Depth=1
	flat_load_dwordx4 v[26:29], v[16:17]
	s_add_u32 s18, s18, 8
	s_addc_u32 s19, s19, 0
	v_add_co_u32 v16, vcc_lo, 0x80, v16
	v_cmp_lt_i64_e64 s0, s[18:19], s[36:37]
	v_add_co_ci_u32_e64 v17, null, 0, v17, vcc_lo
	s_and_b32 vcc_lo, exec_lo, s0
	s_waitcnt vmcnt(0) lgkmcnt(0)
	v_xor_b32_e32 v29, 0x80000000, v29
	ds_write_b128 v22, v[26:29]
	flat_load_dwordx4 v[26:29], v[20:21]
	v_add_co_u32 v20, s0, v20, s12
	v_add_co_ci_u32_e64 v21, null, s13, v21, s0
	s_waitcnt vmcnt(0) lgkmcnt(0)
	v_xor_b32_e32 v29, 0x80000000, v29
	ds_write_b128 v23, v[26:29]
	s_waitcnt lgkmcnt(0)
	s_barrier
	buffer_gl0_inv
	ds_read_b128 v[26:29], v24
	ds_read_b128 v[30:33], v24 offset:256
	ds_read_b128 v[34:37], v25
	ds_read_b128 v[38:41], v25 offset:16
	ds_read_b128 v[42:45], v25 offset:2048
	;; [unrolled: 1-line block ×28, first 2 shown]
	s_waitcnt lgkmcnt(28)
	v_mul_f64 v[150:151], v[36:37], v[28:29]
	v_mul_f64 v[154:155], v[36:37], v[32:33]
	;; [unrolled: 1-line block ×4, first 2 shown]
	v_fma_f64 v[150:151], v[34:35], v[26:27], -v[150:151]
	v_fma_f64 v[34:35], v[34:35], v[30:31], -v[154:155]
	s_waitcnt lgkmcnt(26)
	v_mul_f64 v[154:155], v[44:45], v[28:29]
	v_mul_f64 v[28:29], v[42:43], v[28:29]
	v_fma_f64 v[152:153], v[36:37], v[26:27], v[152:153]
	v_fma_f64 v[36:37], v[36:37], v[30:31], v[156:157]
	v_add_f64 v[14:15], v[14:15], v[150:151]
	v_add_f64 v[10:11], v[10:11], v[34:35]
	v_fma_f64 v[154:155], v[42:43], v[26:27], -v[154:155]
	v_fma_f64 v[156:157], v[44:45], v[26:27], v[28:29]
	v_mul_f64 v[26:27], v[44:45], v[32:33]
	v_mul_f64 v[28:29], v[42:43], v[32:33]
	v_add_f64 v[18:19], v[152:153], v[18:19]
	v_add_f64 v[12:13], v[36:37], v[12:13]
	s_waitcnt lgkmcnt(16)
	v_mul_f64 v[34:35], v[64:65], v[84:85]
	v_mul_f64 v[36:37], v[62:63], v[84:85]
	s_waitcnt lgkmcnt(15)
	v_mul_f64 v[150:151], v[62:63], v[88:89]
	s_waitcnt lgkmcnt(12)
	v_mul_f64 v[152:153], v[98:99], v[96:97]
	v_add_f64 v[6:7], v[6:7], v[154:155]
	v_add_f64 v[8:9], v[156:157], v[8:9]
	v_fma_f64 v[32:33], v[42:43], v[30:31], -v[26:27]
	v_fma_f64 v[30:31], v[44:45], v[30:31], v[28:29]
	v_mul_f64 v[26:27], v[40:41], v[52:53]
	v_mul_f64 v[28:29], v[38:39], v[52:53]
	;; [unrolled: 1-line block ×4, first 2 shown]
	v_fma_f64 v[34:35], v[62:63], v[82:83], -v[34:35]
	v_fma_f64 v[36:37], v[64:65], v[82:83], v[36:37]
	v_add_f64 v[2:3], v[2:3], v[32:33]
	v_add_f64 v[4:5], v[30:31], v[4:5]
	v_fma_f64 v[158:159], v[38:39], v[50:51], -v[26:27]
	v_fma_f64 v[160:161], v[40:41], v[50:51], v[28:29]
	v_mul_f64 v[26:27], v[48:49], v[52:53]
	v_mul_f64 v[28:29], v[46:47], v[52:53]
	v_fma_f64 v[38:39], v[38:39], v[54:55], -v[42:43]
	v_fma_f64 v[40:41], v[40:41], v[54:55], v[44:45]
	v_mul_f64 v[52:53], v[58:59], v[72:73]
	v_mul_f64 v[30:31], v[80:81], v[84:85]
	;; [unrolled: 1-line block ×4, first 2 shown]
	v_add_f64 v[14:15], v[14:15], v[158:159]
	v_add_f64 v[18:19], v[160:161], v[18:19]
	v_fma_f64 v[42:43], v[46:47], v[50:51], -v[26:27]
	v_fma_f64 v[44:45], v[48:49], v[50:51], v[28:29]
	v_mul_f64 v[26:27], v[48:49], v[56:57]
	v_mul_f64 v[28:29], v[46:47], v[56:57]
	;; [unrolled: 1-line block ×3, first 2 shown]
	v_fma_f64 v[52:53], v[60:61], v[70:71], v[52:53]
	v_add_f64 v[10:11], v[10:11], v[38:39]
	v_add_f64 v[12:13], v[40:41], v[12:13]
	s_waitcnt lgkmcnt(10)
	v_mul_f64 v[38:39], v[108:109], v[92:93]
	v_mul_f64 v[40:41], v[106:107], v[92:93]
	v_fma_f64 v[30:31], v[78:79], v[82:83], -v[30:31]
	v_fma_f64 v[32:33], v[80:81], v[82:83], v[32:33]
	s_waitcnt lgkmcnt(8)
	v_mul_f64 v[82:83], v[112:113], v[116:117]
	v_add_f64 v[6:7], v[6:7], v[42:43]
	v_add_f64 v[8:9], v[44:45], v[8:9]
	v_fma_f64 v[46:47], v[46:47], v[54:55], -v[26:27]
	v_fma_f64 v[48:49], v[48:49], v[54:55], v[28:29]
	v_mul_f64 v[26:27], v[60:61], v[68:69]
	v_mul_f64 v[28:29], v[58:59], v[68:69]
	v_fma_f64 v[50:51], v[58:59], v[70:71], -v[50:51]
	v_mul_f64 v[42:43], v[108:109], v[96:97]
	v_mul_f64 v[44:45], v[106:107], v[96:97]
	v_add_f64 v[12:13], v[52:53], v[12:13]
	s_waitcnt lgkmcnt(7)
	v_mul_f64 v[52:53], v[110:111], v[120:121]
	v_fma_f64 v[38:39], v[106:107], v[90:91], -v[38:39]
	v_fma_f64 v[40:41], v[108:109], v[90:91], v[40:41]
	v_add_f64 v[2:3], v[2:3], v[46:47]
	v_add_f64 v[4:5], v[48:49], v[4:5]
	v_fma_f64 v[54:55], v[58:59], v[66:67], -v[26:27]
	v_fma_f64 v[56:57], v[60:61], v[66:67], v[28:29]
	v_mul_f64 v[26:27], v[76:77], v[68:69]
	v_mul_f64 v[28:29], v[74:75], v[68:69]
	;; [unrolled: 1-line block ×3, first 2 shown]
	v_add_f64 v[10:11], v[10:11], v[50:51]
	v_mul_f64 v[46:47], v[104:105], v[116:117]
	v_mul_f64 v[48:49], v[102:103], v[116:117]
	;; [unrolled: 1-line block ×3, first 2 shown]
	v_fma_f64 v[42:43], v[106:107], v[94:95], -v[42:43]
	v_fma_f64 v[44:45], v[108:109], v[94:95], v[44:45]
	v_fma_f64 v[52:53], v[112:113], v[118:119], v[52:53]
	v_add_f64 v[14:15], v[14:15], v[54:55]
	v_add_f64 v[18:19], v[56:57], v[18:19]
	v_fma_f64 v[58:59], v[74:75], v[66:67], -v[26:27]
	v_fma_f64 v[60:61], v[76:77], v[66:67], v[28:29]
	v_mul_f64 v[66:67], v[76:77], v[72:73]
	v_mul_f64 v[72:73], v[64:65], v[88:89]
	v_fma_f64 v[68:69], v[76:77], v[70:71], v[68:69]
	v_mul_f64 v[76:77], v[100:101], v[92:93]
	v_fma_f64 v[64:65], v[64:65], v[86:87], v[150:151]
	v_mul_f64 v[92:93], v[102:103], v[120:121]
	s_waitcnt lgkmcnt(4)
	v_mul_f64 v[54:55], v[132:133], v[124:125]
	v_mul_f64 v[56:57], v[130:131], v[124:125]
	v_fma_f64 v[46:47], v[102:103], v[114:115], -v[46:47]
	v_fma_f64 v[48:49], v[104:105], v[114:115], v[48:49]
	v_fma_f64 v[50:51], v[110:111], v[118:119], -v[50:51]
	ds_read_b128 v[26:29], v24 offset:3840
	s_waitcnt lgkmcnt(0)
	s_barrier
	buffer_gl0_inv
	v_add_f64 v[14:15], v[14:15], v[34:35]
	v_add_f64 v[18:19], v[36:37], v[18:19]
	;; [unrolled: 1-line block ×4, first 2 shown]
	v_fma_f64 v[66:67], v[74:75], v[70:71], -v[66:67]
	v_mul_f64 v[70:71], v[80:81], v[88:89]
	v_mul_f64 v[74:75], v[78:79], v[88:89]
	;; [unrolled: 1-line block ×3, first 2 shown]
	v_fma_f64 v[62:63], v[62:63], v[86:87], -v[72:73]
	v_add_f64 v[4:5], v[68:69], v[4:5]
	v_mul_f64 v[72:73], v[104:105], v[120:121]
	v_mul_f64 v[96:97], v[110:111], v[116:117]
	v_fma_f64 v[68:69], v[100:101], v[90:91], v[84:85]
	v_add_f64 v[12:13], v[64:65], v[12:13]
	v_mul_f64 v[58:59], v[132:133], v[128:129]
	v_mul_f64 v[60:61], v[130:131], v[128:129]
	;; [unrolled: 1-line block ×5, first 2 shown]
	v_fma_f64 v[54:55], v[130:131], v[122:123], -v[54:55]
	v_fma_f64 v[56:57], v[132:133], v[122:123], v[56:57]
	v_add_f64 v[6:7], v[6:7], v[30:31]
	v_add_f64 v[8:9], v[32:33], v[8:9]
	;; [unrolled: 1-line block ×3, first 2 shown]
	v_fma_f64 v[70:71], v[78:79], v[86:87], -v[70:71]
	v_fma_f64 v[74:75], v[80:81], v[86:87], v[74:75]
	v_fma_f64 v[66:67], v[98:99], v[90:91], -v[76:77]
	v_fma_f64 v[76:77], v[98:99], v[94:95], -v[88:89]
	v_fma_f64 v[78:79], v[100:101], v[94:95], v[152:153]
	v_add_f64 v[10:11], v[10:11], v[62:63]
	v_mul_f64 v[30:31], v[140:141], v[124:125]
	v_mul_f64 v[32:33], v[138:139], v[124:125]
	v_fma_f64 v[80:81], v[112:113], v[114:115], v[96:97]
	v_add_f64 v[18:19], v[68:69], v[18:19]
	v_mul_f64 v[62:63], v[136:137], v[148:149]
	v_fma_f64 v[58:59], v[130:131], v[126:127], -v[58:59]
	v_fma_f64 v[60:61], v[132:133], v[126:127], v[60:61]
	v_fma_f64 v[34:35], v[138:139], v[126:127], -v[34:35]
	v_fma_f64 v[36:37], v[140:141], v[126:127], v[36:37]
	v_add_f64 v[6:7], v[6:7], v[38:39]
	v_add_f64 v[8:9], v[40:41], v[8:9]
	v_mul_f64 v[38:39], v[136:137], v[28:29]
	v_add_f64 v[2:3], v[2:3], v[70:71]
	v_add_f64 v[4:5], v[74:75], v[4:5]
	v_fma_f64 v[70:71], v[102:103], v[118:119], -v[72:73]
	v_fma_f64 v[72:73], v[104:105], v[118:119], v[92:93]
	v_fma_f64 v[74:75], v[110:111], v[114:115], -v[82:83]
	v_add_f64 v[14:15], v[14:15], v[66:67]
	v_add_f64 v[10:11], v[10:11], v[76:77]
	;; [unrolled: 1-line block ×3, first 2 shown]
	v_mul_f64 v[40:41], v[134:135], v[28:29]
	v_mul_f64 v[66:67], v[144:145], v[28:29]
	;; [unrolled: 1-line block ×3, first 2 shown]
	v_fma_f64 v[30:31], v[138:139], v[122:123], -v[30:31]
	v_fma_f64 v[32:33], v[140:141], v[122:123], v[32:33]
	v_add_f64 v[18:19], v[48:49], v[18:19]
	v_fma_f64 v[48:49], v[136:137], v[146:147], v[64:65]
	v_add_f64 v[8:9], v[80:81], v[8:9]
	v_fma_f64 v[38:39], v[134:135], v[26:27], -v[38:39]
	v_add_f64 v[2:3], v[2:3], v[42:43]
	v_add_f64 v[4:5], v[44:45], v[4:5]
	v_mul_f64 v[42:43], v[144:145], v[148:149]
	v_mul_f64 v[44:45], v[142:143], v[148:149]
	v_add_f64 v[6:7], v[6:7], v[74:75]
	v_add_f64 v[14:15], v[14:15], v[46:47]
	;; [unrolled: 1-line block ×4, first 2 shown]
	v_fma_f64 v[46:47], v[134:135], v[146:147], -v[62:63]
	v_fma_f64 v[40:41], v[136:137], v[26:27], v[40:41]
	v_add_f64 v[18:19], v[56:57], v[18:19]
	v_add_f64 v[8:9], v[32:33], v[8:9]
	;; [unrolled: 1-line block ×4, first 2 shown]
	v_fma_f64 v[42:43], v[142:143], v[146:147], -v[42:43]
	v_fma_f64 v[44:45], v[144:145], v[146:147], v[44:45]
	v_fma_f64 v[50:51], v[142:143], v[26:27], -v[66:67]
	v_fma_f64 v[26:27], v[144:145], v[26:27], v[28:29]
	v_add_f64 v[14:15], v[14:15], v[54:55]
	v_add_f64 v[10:11], v[10:11], v[58:59]
	;; [unrolled: 1-line block ×14, first 2 shown]
	s_cbranch_vccnz .LBB264_2
	s_branch .LBB264_4
.LBB264_3:
	v_mov_b32_e32 v14, 0
	v_mov_b32_e32 v18, 0
	;; [unrolled: 1-line block ×16, first 2 shown]
.LBB264_4:
	s_load_dwordx2 s[0:1], s[4:5], 0x90
	v_cmp_neq_f64_e64 s4, s[14:15], 0
	v_cmp_neq_f64_e64 s5, s[16:17], 0
	v_add_co_u32 v22, s10, s10, v1
	v_add_co_ci_u32_e64 v23, null, s11, 0, s10
	s_waitcnt lgkmcnt(0)
	s_lshl_b64 s[0:1], s[0:1], 4
	s_add_u32 s0, s8, s0
	s_addc_u32 s1, s9, s1
	s_or_b32 s4, s4, s5
	v_add_co_u32 v0, s5, s6, v0
	v_add_co_ci_u32_e64 v1, null, s7, 0, s5
	s_and_b32 vcc_lo, exec_lo, s4
	s_cbranch_vccnz .LBB264_6
; %bb.5:
	v_mul_f64 v[20:21], s[40:41], v[18:19]
	v_mul_f64 v[26:27], s[38:39], v[18:19]
	;; [unrolled: 1-line block ×4, first 2 shown]
	v_mul_lo_u32 v24, v23, s26
	v_mul_lo_u32 v25, v22, s27
	v_mad_u64_u32 v[16:17], null, v22, s26, 0
	v_mul_f64 v[28:29], s[40:41], v[12:13]
	v_mul_f64 v[30:31], s[38:39], v[12:13]
	;; [unrolled: 1-line block ×4, first 2 shown]
	s_lshl_b64 s[4:5], s[26:27], 8
	v_lshlrev_b64 v[40:41], 4, v[0:1]
	v_add3_u32 v17, v17, v25, v24
	v_lshlrev_b64 v[16:17], 4, v[16:17]
	v_fma_f64 v[24:25], s[38:39], v[14:15], -v[20:21]
	v_fma_f64 v[26:27], s[40:41], v[14:15], v[26:27]
	v_fma_f64 v[36:37], s[38:39], v[2:3], -v[36:37]
	v_add_co_u32 v42, vcc_lo, s0, v16
	v_add_co_ci_u32_e64 v43, null, s1, v17, vcc_lo
	v_fma_f64 v[16:17], s[40:41], v[2:3], v[38:39]
	v_fma_f64 v[28:29], s[38:39], v[10:11], -v[28:29]
	v_fma_f64 v[30:31], s[40:41], v[10:11], v[30:31]
	v_fma_f64 v[32:33], s[38:39], v[6:7], -v[32:33]
	v_fma_f64 v[34:35], s[40:41], v[6:7], v[34:35]
	v_add_co_u32 v20, vcc_lo, v42, s4
	v_add_co_ci_u32_e64 v21, null, s5, v43, vcc_lo
	v_add_co_u32 v38, vcc_lo, v20, v40
	v_add_co_ci_u32_e64 v39, null, v21, v41, vcc_lo
	;; [unrolled: 2-line block ×4, first 2 shown]
	flat_store_dwordx4 v[40:41], v[24:27]
	flat_store_dwordx4 v[40:41], v[28:31] offset:256
	flat_store_dwordx4 v[38:39], v[32:35]
	flat_store_dwordx2 v[38:39], v[36:37] offset:256
	s_cbranch_execz .LBB264_7
	s_branch .LBB264_8
.LBB264_6:
                                        ; implicit-def: $vgpr16_vgpr17
                                        ; implicit-def: $vgpr20_vgpr21
.LBB264_7:
	v_mul_lo_u32 v20, v23, s20
	v_mul_lo_u32 v21, v22, s21
	v_mad_u64_u32 v[16:17], null, v22, s20, 0
	s_lshl_b64 s[4:5], s[22:23], 4
	v_lshlrev_b64 v[0:1], 4, v[0:1]
	s_add_u32 s2, s2, s4
	s_addc_u32 s3, s3, s5
	v_add3_u32 v17, v17, v21, v20
	v_lshlrev_b64 v[16:17], 4, v[16:17]
	v_add_co_u32 v30, vcc_lo, s2, v16
	v_add_co_ci_u32_e64 v31, null, s3, v17, vcc_lo
	v_mul_f64 v[16:17], s[40:41], v[18:19]
	v_add_co_u32 v20, vcc_lo, v30, v0
	v_add_co_ci_u32_e64 v21, null, v31, v1, vcc_lo
	v_mul_f64 v[18:19], s[38:39], v[18:19]
	flat_load_dwordx4 v[24:27], v[20:21]
	v_fma_f64 v[16:17], s[38:39], v[14:15], -v[16:17]
	v_fma_f64 v[18:19], s[40:41], v[14:15], v[18:19]
	s_waitcnt vmcnt(0) lgkmcnt(0)
	v_mul_f64 v[28:29], s[16:17], v[26:27]
	v_mul_f64 v[26:27], s[14:15], v[26:27]
	v_fma_f64 v[14:15], s[14:15], v[24:25], -v[28:29]
	v_fma_f64 v[24:25], s[16:17], v[24:25], v[26:27]
	v_mul_lo_u32 v26, v23, s26
	v_mul_lo_u32 v27, v22, s27
	v_mad_u64_u32 v[22:23], null, v22, s26, 0
	v_add3_u32 v23, v23, v27, v26
	v_add_f64 v[14:15], v[16:17], v[14:15]
	v_add_f64 v[16:17], v[18:19], v[24:25]
	v_lshlrev_b64 v[18:19], 4, v[22:23]
	v_add_co_u32 v24, vcc_lo, s0, v18
	v_add_co_ci_u32_e64 v25, null, s1, v19, vcc_lo
	s_lshl_b64 s[0:1], s[20:21], 8
	v_add_co_u32 v18, vcc_lo, v24, v0
	v_add_co_ci_u32_e64 v19, null, v25, v1, vcc_lo
	flat_store_dwordx4 v[18:19], v[14:17]
	flat_load_dwordx4 v[14:17], v[20:21] offset:256
	v_mul_f64 v[20:21], s[40:41], v[12:13]
	v_mul_f64 v[12:13], s[38:39], v[12:13]
	v_fma_f64 v[20:21], s[38:39], v[10:11], -v[20:21]
	v_fma_f64 v[12:13], s[40:41], v[10:11], v[12:13]
	s_waitcnt vmcnt(0) lgkmcnt(0)
	v_mul_f64 v[22:23], s[16:17], v[16:17]
	v_mul_f64 v[16:17], s[14:15], v[16:17]
	v_fma_f64 v[10:11], s[14:15], v[14:15], -v[22:23]
	v_fma_f64 v[14:15], s[16:17], v[14:15], v[16:17]
	v_mul_f64 v[16:17], s[40:41], v[8:9]
	v_mul_f64 v[8:9], s[38:39], v[8:9]
	v_add_f64 v[10:11], v[20:21], v[10:11]
	v_add_f64 v[12:13], v[12:13], v[14:15]
	v_add_co_u32 v14, vcc_lo, v30, s0
	v_add_co_ci_u32_e64 v15, null, s1, v31, vcc_lo
	v_fma_f64 v[16:17], s[38:39], v[6:7], -v[16:17]
	v_add_co_u32 v14, vcc_lo, v14, v0
	v_add_co_ci_u32_e64 v15, null, v15, v1, vcc_lo
	v_fma_f64 v[8:9], s[40:41], v[6:7], v[8:9]
	s_lshl_b64 s[0:1], s[26:27], 8
	flat_store_dwordx4 v[18:19], v[10:13] offset:256
	flat_load_dwordx4 v[10:13], v[14:15]
	s_waitcnt vmcnt(0) lgkmcnt(0)
	v_mul_f64 v[18:19], s[16:17], v[12:13]
	v_mul_f64 v[12:13], s[14:15], v[12:13]
	v_fma_f64 v[6:7], s[14:15], v[10:11], -v[18:19]
	v_fma_f64 v[10:11], s[16:17], v[10:11], v[12:13]
	v_add_f64 v[6:7], v[16:17], v[6:7]
	v_add_f64 v[8:9], v[8:9], v[10:11]
	v_add_co_u32 v10, vcc_lo, v24, s0
	v_add_co_ci_u32_e64 v11, null, s1, v25, vcc_lo
	v_add_co_u32 v0, vcc_lo, v10, v0
	v_add_co_ci_u32_e64 v1, null, v11, v1, vcc_lo
	v_mul_f64 v[10:11], s[40:41], v[4:5]
	v_mul_f64 v[4:5], s[38:39], v[4:5]
	v_add_co_u32 v20, vcc_lo, 0x100, v0
	v_add_co_ci_u32_e64 v21, null, 0, v1, vcc_lo
	flat_store_dwordx4 v[0:1], v[6:9]
	flat_load_dwordx4 v[6:9], v[14:15] offset:256
	v_fma_f64 v[10:11], s[38:39], v[2:3], -v[10:11]
	v_fma_f64 v[2:3], s[40:41], v[2:3], v[4:5]
	s_waitcnt vmcnt(0) lgkmcnt(0)
	v_mul_f64 v[12:13], s[16:17], v[8:9]
	v_mul_f64 v[8:9], s[14:15], v[8:9]
	v_fma_f64 v[4:5], s[14:15], v[6:7], -v[12:13]
	v_fma_f64 v[6:7], s[16:17], v[6:7], v[8:9]
	v_add_f64 v[4:5], v[10:11], v[4:5]
	v_add_f64 v[16:17], v[2:3], v[6:7]
	flat_store_dwordx2 v[0:1], v[4:5] offset:256
.LBB264_8:
	flat_store_dwordx2 v[20:21], v[16:17] offset:8
	s_endpgm
	.section	.rodata,"a",@progbits
	.p2align	6, 0x0
	.amdhsa_kernel _ZN12_GLOBAL__N_127rocblas_gemm_batched_kernelI19rocblas_complex_numIdELi16ELi16ELi32ELi32ELi8ELi32ELi8ELi8ELi32ELc67ELc67EKPKS2_S5_KPS2_EEvlllT_PT11_llSA_llS8_PT12_llPT13_lli
		.amdhsa_group_segment_fixed_size 8192
		.amdhsa_private_segment_fixed_size 0
		.amdhsa_kernarg_size 156
		.amdhsa_user_sgpr_count 6
		.amdhsa_user_sgpr_private_segment_buffer 1
		.amdhsa_user_sgpr_dispatch_ptr 0
		.amdhsa_user_sgpr_queue_ptr 0
		.amdhsa_user_sgpr_kernarg_segment_ptr 1
		.amdhsa_user_sgpr_dispatch_id 0
		.amdhsa_user_sgpr_flat_scratch_init 0
		.amdhsa_user_sgpr_private_segment_size 0
		.amdhsa_wavefront_size32 1
		.amdhsa_uses_dynamic_stack 0
		.amdhsa_system_sgpr_private_segment_wavefront_offset 0
		.amdhsa_system_sgpr_workgroup_id_x 1
		.amdhsa_system_sgpr_workgroup_id_y 1
		.amdhsa_system_sgpr_workgroup_id_z 1
		.amdhsa_system_sgpr_workgroup_info 0
		.amdhsa_system_vgpr_workitem_id 1
		.amdhsa_next_free_vgpr 162
		.amdhsa_next_free_sgpr 52
		.amdhsa_reserve_vcc 1
		.amdhsa_reserve_flat_scratch 0
		.amdhsa_float_round_mode_32 0
		.amdhsa_float_round_mode_16_64 0
		.amdhsa_float_denorm_mode_32 3
		.amdhsa_float_denorm_mode_16_64 3
		.amdhsa_dx10_clamp 1
		.amdhsa_ieee_mode 1
		.amdhsa_fp16_overflow 0
		.amdhsa_workgroup_processor_mode 1
		.amdhsa_memory_ordered 1
		.amdhsa_forward_progress 1
		.amdhsa_shared_vgpr_count 0
		.amdhsa_exception_fp_ieee_invalid_op 0
		.amdhsa_exception_fp_denorm_src 0
		.amdhsa_exception_fp_ieee_div_zero 0
		.amdhsa_exception_fp_ieee_overflow 0
		.amdhsa_exception_fp_ieee_underflow 0
		.amdhsa_exception_fp_ieee_inexact 0
		.amdhsa_exception_int_div_zero 0
	.end_amdhsa_kernel
	.section	.text._ZN12_GLOBAL__N_127rocblas_gemm_batched_kernelI19rocblas_complex_numIdELi16ELi16ELi32ELi32ELi8ELi32ELi8ELi8ELi32ELc67ELc67EKPKS2_S5_KPS2_EEvlllT_PT11_llSA_llS8_PT12_llPT13_lli,"axG",@progbits,_ZN12_GLOBAL__N_127rocblas_gemm_batched_kernelI19rocblas_complex_numIdELi16ELi16ELi32ELi32ELi8ELi32ELi8ELi8ELi32ELc67ELc67EKPKS2_S5_KPS2_EEvlllT_PT11_llSA_llS8_PT12_llPT13_lli,comdat
.Lfunc_end264:
	.size	_ZN12_GLOBAL__N_127rocblas_gemm_batched_kernelI19rocblas_complex_numIdELi16ELi16ELi32ELi32ELi8ELi32ELi8ELi8ELi32ELc67ELc67EKPKS2_S5_KPS2_EEvlllT_PT11_llSA_llS8_PT12_llPT13_lli, .Lfunc_end264-_ZN12_GLOBAL__N_127rocblas_gemm_batched_kernelI19rocblas_complex_numIdELi16ELi16ELi32ELi32ELi8ELi32ELi8ELi8ELi32ELc67ELc67EKPKS2_S5_KPS2_EEvlllT_PT11_llSA_llS8_PT12_llPT13_lli
                                        ; -- End function
	.set _ZN12_GLOBAL__N_127rocblas_gemm_batched_kernelI19rocblas_complex_numIdELi16ELi16ELi32ELi32ELi8ELi32ELi8ELi8ELi32ELc67ELc67EKPKS2_S5_KPS2_EEvlllT_PT11_llSA_llS8_PT12_llPT13_lli.num_vgpr, 162
	.set _ZN12_GLOBAL__N_127rocblas_gemm_batched_kernelI19rocblas_complex_numIdELi16ELi16ELi32ELi32ELi8ELi32ELi8ELi8ELi32ELc67ELc67EKPKS2_S5_KPS2_EEvlllT_PT11_llSA_llS8_PT12_llPT13_lli.num_agpr, 0
	.set _ZN12_GLOBAL__N_127rocblas_gemm_batched_kernelI19rocblas_complex_numIdELi16ELi16ELi32ELi32ELi8ELi32ELi8ELi8ELi32ELc67ELc67EKPKS2_S5_KPS2_EEvlllT_PT11_llSA_llS8_PT12_llPT13_lli.numbered_sgpr, 52
	.set _ZN12_GLOBAL__N_127rocblas_gemm_batched_kernelI19rocblas_complex_numIdELi16ELi16ELi32ELi32ELi8ELi32ELi8ELi8ELi32ELc67ELc67EKPKS2_S5_KPS2_EEvlllT_PT11_llSA_llS8_PT12_llPT13_lli.num_named_barrier, 0
	.set _ZN12_GLOBAL__N_127rocblas_gemm_batched_kernelI19rocblas_complex_numIdELi16ELi16ELi32ELi32ELi8ELi32ELi8ELi8ELi32ELc67ELc67EKPKS2_S5_KPS2_EEvlllT_PT11_llSA_llS8_PT12_llPT13_lli.private_seg_size, 0
	.set _ZN12_GLOBAL__N_127rocblas_gemm_batched_kernelI19rocblas_complex_numIdELi16ELi16ELi32ELi32ELi8ELi32ELi8ELi8ELi32ELc67ELc67EKPKS2_S5_KPS2_EEvlllT_PT11_llSA_llS8_PT12_llPT13_lli.uses_vcc, 1
	.set _ZN12_GLOBAL__N_127rocblas_gemm_batched_kernelI19rocblas_complex_numIdELi16ELi16ELi32ELi32ELi8ELi32ELi8ELi8ELi32ELc67ELc67EKPKS2_S5_KPS2_EEvlllT_PT11_llSA_llS8_PT12_llPT13_lli.uses_flat_scratch, 0
	.set _ZN12_GLOBAL__N_127rocblas_gemm_batched_kernelI19rocblas_complex_numIdELi16ELi16ELi32ELi32ELi8ELi32ELi8ELi8ELi32ELc67ELc67EKPKS2_S5_KPS2_EEvlllT_PT11_llSA_llS8_PT12_llPT13_lli.has_dyn_sized_stack, 0
	.set _ZN12_GLOBAL__N_127rocblas_gemm_batched_kernelI19rocblas_complex_numIdELi16ELi16ELi32ELi32ELi8ELi32ELi8ELi8ELi32ELc67ELc67EKPKS2_S5_KPS2_EEvlllT_PT11_llSA_llS8_PT12_llPT13_lli.has_recursion, 0
	.set _ZN12_GLOBAL__N_127rocblas_gemm_batched_kernelI19rocblas_complex_numIdELi16ELi16ELi32ELi32ELi8ELi32ELi8ELi8ELi32ELc67ELc67EKPKS2_S5_KPS2_EEvlllT_PT11_llSA_llS8_PT12_llPT13_lli.has_indirect_call, 0
	.section	.AMDGPU.csdata,"",@progbits
; Kernel info:
; codeLenInByte = 3564
; TotalNumSgprs: 54
; NumVgprs: 162
; ScratchSize: 0
; MemoryBound: 0
; FloatMode: 240
; IeeeMode: 1
; LDSByteSize: 8192 bytes/workgroup (compile time only)
; SGPRBlocks: 0
; VGPRBlocks: 20
; NumSGPRsForWavesPerEU: 54
; NumVGPRsForWavesPerEU: 162
; Occupancy: 5
; WaveLimiterHint : 1
; COMPUTE_PGM_RSRC2:SCRATCH_EN: 0
; COMPUTE_PGM_RSRC2:USER_SGPR: 6
; COMPUTE_PGM_RSRC2:TRAP_HANDLER: 0
; COMPUTE_PGM_RSRC2:TGID_X_EN: 1
; COMPUTE_PGM_RSRC2:TGID_Y_EN: 1
; COMPUTE_PGM_RSRC2:TGID_Z_EN: 1
; COMPUTE_PGM_RSRC2:TIDIG_COMP_CNT: 1
	.section	.text._ZN12_GLOBAL__N_127rocblas_gemm_batched_kernelI19rocblas_complex_numIdELi16ELi16ELi32ELi32ELi8ELi32ELi8ELi8ELi32ELc67ELc78EKPKS2_S5_KPS2_EEvlllT_PT11_llSA_llS8_PT12_llPT13_lli,"axG",@progbits,_ZN12_GLOBAL__N_127rocblas_gemm_batched_kernelI19rocblas_complex_numIdELi16ELi16ELi32ELi32ELi8ELi32ELi8ELi8ELi32ELc67ELc78EKPKS2_S5_KPS2_EEvlllT_PT11_llSA_llS8_PT12_llPT13_lli,comdat
	.globl	_ZN12_GLOBAL__N_127rocblas_gemm_batched_kernelI19rocblas_complex_numIdELi16ELi16ELi32ELi32ELi8ELi32ELi8ELi8ELi32ELc67ELc78EKPKS2_S5_KPS2_EEvlllT_PT11_llSA_llS8_PT12_llPT13_lli ; -- Begin function _ZN12_GLOBAL__N_127rocblas_gemm_batched_kernelI19rocblas_complex_numIdELi16ELi16ELi32ELi32ELi8ELi32ELi8ELi8ELi32ELc67ELc78EKPKS2_S5_KPS2_EEvlllT_PT11_llSA_llS8_PT12_llPT13_lli
	.p2align	8
	.type	_ZN12_GLOBAL__N_127rocblas_gemm_batched_kernelI19rocblas_complex_numIdELi16ELi16ELi32ELi32ELi8ELi32ELi8ELi8ELi32ELc67ELc78EKPKS2_S5_KPS2_EEvlllT_PT11_llSA_llS8_PT12_llPT13_lli,@function
_ZN12_GLOBAL__N_127rocblas_gemm_batched_kernelI19rocblas_complex_numIdELi16ELi16ELi32ELi32ELi8ELi32ELi8ELi8ELi32ELc67ELc78EKPKS2_S5_KPS2_EEvlllT_PT11_llSA_llS8_PT12_llPT13_lli: ; @_ZN12_GLOBAL__N_127rocblas_gemm_batched_kernelI19rocblas_complex_numIdELi16ELi16ELi32ELi32ELi8ELi32ELi8ELi8ELi32ELc67ELc78EKPKS2_S5_KPS2_EEvlllT_PT11_llSA_llS8_PT12_llPT13_lli
; %bb.0:
	s_clause 0x1
	s_load_dwordx16 s[12:27], s[4:5], 0x50
	s_load_dwordx16 s[36:51], s[4:5], 0x10
	s_mov_b32 s9, 0
	s_mov_b32 s28, s7
	s_lshl_b64 s[10:11], s[8:9], 3
	s_waitcnt lgkmcnt(0)
	s_add_u32 s0, s18, s10
	s_addc_u32 s1, s19, s11
	s_add_u32 s2, s24, s10
	s_addc_u32 s3, s25, s11
	s_load_dwordx2 s[0:1], s[0:1], 0x0
	s_load_dwordx2 s[2:3], s[2:3], 0x0
	v_cmp_lt_i64_e64 s8, s[36:37], 1
	s_ashr_i32 s7, s6, 31
	s_ashr_i32 s29, s28, 31
	s_lshl_b64 s[6:7], s[6:7], 5
	s_and_b32 vcc_lo, exec_lo, s8
	s_lshl_b64 s[8:9], s[28:29], 5
	s_cbranch_vccnz .LBB265_3
; %bb.1:
	v_lshl_add_u32 v4, v1, 4, v0
	v_and_b32_e32 v2, 7, v0
	s_add_u32 s18, s42, s10
	s_addc_u32 s19, s43, s11
	s_add_u32 s10, s48, s10
	v_and_b32_e32 v5, 31, v4
	v_lshrrev_b32_e32 v7, 3, v4
	v_lshlrev_b32_e32 v8, 4, v2
	v_lshrrev_b32_e32 v12, 5, v4
	s_load_dwordx2 s[18:19], s[18:19], 0x0
	v_add_co_u32 v3, s24, s6, v5
	v_add_co_ci_u32_e64 v6, null, s7, 0, s24
	v_add_co_u32 v10, s24, v7, s8
	v_mul_lo_u32 v9, s45, v3
	v_mul_lo_u32 v6, s44, v6
	v_mad_u64_u32 v[2:3], null, s44, v3, 0
	v_add_co_ci_u32_e64 v11, null, 0, s9, s24
	v_lshlrev_b32_e32 v13, 4, v5
	v_mad_u64_u32 v[4:5], null, s50, v10, 0
	s_addc_u32 s11, s49, s11
	v_add3_u32 v3, v3, v6, v9
	v_mul_lo_u32 v6, s51, v10
	v_mul_lo_u32 v9, s50, v11
	v_lshl_or_b32 v7, v7, 7, v8
	s_load_dwordx2 s[10:11], s[10:11], 0x0
	v_lshlrev_b64 v[2:3], 4, v[2:3]
	s_lshl_b64 s[24:25], s[46:47], 4
	s_lshl_b64 s[12:13], s[12:13], 4
	v_add_nc_u32_e32 v23, 0x1000, v7
	v_lshlrev_b32_e32 v7, 4, v12
	v_add3_u32 v5, v5, v9, v6
	v_add_co_u32 v6, vcc_lo, v2, s24
	v_add_co_ci_u32_e64 v9, null, s25, v3, vcc_lo
	v_lshlrev_b64 v[2:3], 4, v[4:5]
	v_add_co_u32 v4, vcc_lo, v6, v7
	v_add_co_ci_u32_e64 v5, null, 0, v9, vcc_lo
	v_lshl_or_b32 v22, v12, 9, v13
	v_add_co_u32 v2, vcc_lo, v2, s12
	v_add_co_ci_u32_e64 v3, null, s13, v3, vcc_lo
	s_waitcnt lgkmcnt(0)
	v_add_co_u32 v18, vcc_lo, s18, v4
	v_add_co_ci_u32_e64 v19, null, s19, v5, vcc_lo
	v_add_co_u32 v20, vcc_lo, v2, v8
	v_add_co_ci_u32_e64 v21, null, 0, v3, vcc_lo
	v_mov_b32_e32 v4, 0
	v_add_co_u32 v20, vcc_lo, s10, v20
	v_mov_b32_e32 v2, 0
	v_mov_b32_e32 v8, 0
	;; [unrolled: 1-line block ×7, first 2 shown]
	v_lshlrev_b32_e32 v24, 4, v0
	v_lshl_add_u32 v25, v1, 7, 0x1000
	v_mov_b32_e32 v5, 0
	v_mov_b32_e32 v3, 0
	;; [unrolled: 1-line block ×8, first 2 shown]
	v_add_co_ci_u32_e64 v21, null, s11, v21, vcc_lo
	s_mov_b64 s[10:11], 0
.LBB265_2:                              ; =>This Inner Loop Header: Depth=1
	flat_load_dwordx4 v[26:29], v[18:19]
	flat_load_dwordx4 v[30:33], v[20:21]
	s_add_u32 s10, s10, 8
	s_addc_u32 s11, s11, 0
	v_add_co_u32 v18, vcc_lo, 0x80, v18
	v_cmp_lt_i64_e64 s12, s[10:11], s[36:37]
	v_add_co_ci_u32_e64 v19, null, 0, v19, vcc_lo
	v_add_co_u32 v20, vcc_lo, 0x80, v20
	v_add_co_ci_u32_e64 v21, null, 0, v21, vcc_lo
	s_and_b32 vcc_lo, exec_lo, s12
	s_waitcnt vmcnt(1) lgkmcnt(1)
	v_xor_b32_e32 v29, 0x80000000, v29
	s_waitcnt vmcnt(0) lgkmcnt(0)
	ds_write2_b64 v23, v[30:31], v[32:33] offset1:1
	ds_write_b128 v22, v[26:29]
	s_waitcnt lgkmcnt(0)
	s_barrier
	buffer_gl0_inv
	ds_read_b128 v[26:29], v24
	ds_read_b128 v[30:33], v24 offset:256
	ds_read_b128 v[34:37], v25
	ds_read_b128 v[38:41], v25 offset:16
	ds_read_b128 v[42:45], v25 offset:2048
	;; [unrolled: 1-line block ×28, first 2 shown]
	s_waitcnt lgkmcnt(28)
	v_mul_f64 v[150:151], v[36:37], v[28:29]
	v_mul_f64 v[154:155], v[36:37], v[32:33]
	;; [unrolled: 1-line block ×4, first 2 shown]
	v_fma_f64 v[150:151], v[34:35], v[26:27], -v[150:151]
	v_fma_f64 v[34:35], v[34:35], v[30:31], -v[154:155]
	s_waitcnt lgkmcnt(26)
	v_mul_f64 v[154:155], v[44:45], v[28:29]
	v_mul_f64 v[28:29], v[42:43], v[28:29]
	v_fma_f64 v[152:153], v[36:37], v[26:27], v[152:153]
	v_fma_f64 v[36:37], v[36:37], v[30:31], v[156:157]
	v_add_f64 v[14:15], v[14:15], v[150:151]
	v_add_f64 v[10:11], v[10:11], v[34:35]
	v_fma_f64 v[154:155], v[42:43], v[26:27], -v[154:155]
	v_fma_f64 v[156:157], v[44:45], v[26:27], v[28:29]
	v_mul_f64 v[26:27], v[44:45], v[32:33]
	v_mul_f64 v[28:29], v[42:43], v[32:33]
	v_add_f64 v[16:17], v[152:153], v[16:17]
	v_add_f64 v[12:13], v[36:37], v[12:13]
	s_waitcnt lgkmcnt(16)
	v_mul_f64 v[34:35], v[64:65], v[84:85]
	v_mul_f64 v[36:37], v[62:63], v[84:85]
	s_waitcnt lgkmcnt(15)
	v_mul_f64 v[150:151], v[62:63], v[88:89]
	s_waitcnt lgkmcnt(12)
	v_mul_f64 v[152:153], v[98:99], v[96:97]
	v_add_f64 v[6:7], v[6:7], v[154:155]
	v_add_f64 v[8:9], v[156:157], v[8:9]
	v_fma_f64 v[32:33], v[42:43], v[30:31], -v[26:27]
	v_fma_f64 v[30:31], v[44:45], v[30:31], v[28:29]
	v_mul_f64 v[26:27], v[40:41], v[52:53]
	v_mul_f64 v[28:29], v[38:39], v[52:53]
	;; [unrolled: 1-line block ×4, first 2 shown]
	v_fma_f64 v[34:35], v[62:63], v[82:83], -v[34:35]
	v_fma_f64 v[36:37], v[64:65], v[82:83], v[36:37]
	v_add_f64 v[2:3], v[2:3], v[32:33]
	v_add_f64 v[4:5], v[30:31], v[4:5]
	v_fma_f64 v[158:159], v[38:39], v[50:51], -v[26:27]
	v_fma_f64 v[160:161], v[40:41], v[50:51], v[28:29]
	v_mul_f64 v[26:27], v[48:49], v[52:53]
	v_mul_f64 v[28:29], v[46:47], v[52:53]
	v_fma_f64 v[38:39], v[38:39], v[54:55], -v[42:43]
	v_fma_f64 v[40:41], v[40:41], v[54:55], v[44:45]
	v_mul_f64 v[52:53], v[58:59], v[72:73]
	v_mul_f64 v[30:31], v[80:81], v[84:85]
	;; [unrolled: 1-line block ×4, first 2 shown]
	v_add_f64 v[14:15], v[14:15], v[158:159]
	v_add_f64 v[16:17], v[160:161], v[16:17]
	v_fma_f64 v[42:43], v[46:47], v[50:51], -v[26:27]
	v_fma_f64 v[44:45], v[48:49], v[50:51], v[28:29]
	v_mul_f64 v[26:27], v[48:49], v[56:57]
	v_mul_f64 v[28:29], v[46:47], v[56:57]
	;; [unrolled: 1-line block ×3, first 2 shown]
	v_fma_f64 v[52:53], v[60:61], v[70:71], v[52:53]
	v_add_f64 v[10:11], v[10:11], v[38:39]
	v_add_f64 v[12:13], v[40:41], v[12:13]
	s_waitcnt lgkmcnt(10)
	v_mul_f64 v[38:39], v[108:109], v[92:93]
	v_mul_f64 v[40:41], v[106:107], v[92:93]
	v_fma_f64 v[30:31], v[78:79], v[82:83], -v[30:31]
	v_fma_f64 v[32:33], v[80:81], v[82:83], v[32:33]
	s_waitcnt lgkmcnt(8)
	v_mul_f64 v[82:83], v[112:113], v[116:117]
	v_add_f64 v[6:7], v[6:7], v[42:43]
	v_add_f64 v[8:9], v[44:45], v[8:9]
	v_fma_f64 v[46:47], v[46:47], v[54:55], -v[26:27]
	v_fma_f64 v[48:49], v[48:49], v[54:55], v[28:29]
	v_mul_f64 v[26:27], v[60:61], v[68:69]
	v_mul_f64 v[28:29], v[58:59], v[68:69]
	v_fma_f64 v[50:51], v[58:59], v[70:71], -v[50:51]
	v_mul_f64 v[42:43], v[108:109], v[96:97]
	v_mul_f64 v[44:45], v[106:107], v[96:97]
	v_add_f64 v[12:13], v[52:53], v[12:13]
	s_waitcnt lgkmcnt(7)
	v_mul_f64 v[52:53], v[110:111], v[120:121]
	v_fma_f64 v[38:39], v[106:107], v[90:91], -v[38:39]
	v_fma_f64 v[40:41], v[108:109], v[90:91], v[40:41]
	v_add_f64 v[2:3], v[2:3], v[46:47]
	v_add_f64 v[4:5], v[48:49], v[4:5]
	v_fma_f64 v[54:55], v[58:59], v[66:67], -v[26:27]
	v_fma_f64 v[56:57], v[60:61], v[66:67], v[28:29]
	v_mul_f64 v[26:27], v[76:77], v[68:69]
	v_mul_f64 v[28:29], v[74:75], v[68:69]
	;; [unrolled: 1-line block ×3, first 2 shown]
	v_add_f64 v[10:11], v[10:11], v[50:51]
	v_mul_f64 v[46:47], v[104:105], v[116:117]
	v_mul_f64 v[48:49], v[102:103], v[116:117]
	;; [unrolled: 1-line block ×3, first 2 shown]
	v_fma_f64 v[42:43], v[106:107], v[94:95], -v[42:43]
	v_fma_f64 v[44:45], v[108:109], v[94:95], v[44:45]
	v_fma_f64 v[52:53], v[112:113], v[118:119], v[52:53]
	v_add_f64 v[14:15], v[14:15], v[54:55]
	v_add_f64 v[16:17], v[56:57], v[16:17]
	v_fma_f64 v[58:59], v[74:75], v[66:67], -v[26:27]
	v_fma_f64 v[60:61], v[76:77], v[66:67], v[28:29]
	v_mul_f64 v[66:67], v[76:77], v[72:73]
	v_mul_f64 v[72:73], v[64:65], v[88:89]
	v_fma_f64 v[68:69], v[76:77], v[70:71], v[68:69]
	v_mul_f64 v[76:77], v[100:101], v[92:93]
	v_fma_f64 v[64:65], v[64:65], v[86:87], v[150:151]
	v_mul_f64 v[92:93], v[102:103], v[120:121]
	s_waitcnt lgkmcnt(4)
	v_mul_f64 v[54:55], v[132:133], v[124:125]
	v_mul_f64 v[56:57], v[130:131], v[124:125]
	v_fma_f64 v[46:47], v[102:103], v[114:115], -v[46:47]
	v_fma_f64 v[48:49], v[104:105], v[114:115], v[48:49]
	v_fma_f64 v[50:51], v[110:111], v[118:119], -v[50:51]
	ds_read_b128 v[26:29], v24 offset:3840
	s_waitcnt lgkmcnt(0)
	s_barrier
	buffer_gl0_inv
	v_add_f64 v[14:15], v[14:15], v[34:35]
	v_add_f64 v[16:17], v[36:37], v[16:17]
	;; [unrolled: 1-line block ×4, first 2 shown]
	v_fma_f64 v[66:67], v[74:75], v[70:71], -v[66:67]
	v_mul_f64 v[70:71], v[80:81], v[88:89]
	v_mul_f64 v[74:75], v[78:79], v[88:89]
	;; [unrolled: 1-line block ×3, first 2 shown]
	v_fma_f64 v[62:63], v[62:63], v[86:87], -v[72:73]
	v_add_f64 v[4:5], v[68:69], v[4:5]
	v_mul_f64 v[72:73], v[104:105], v[120:121]
	v_mul_f64 v[96:97], v[110:111], v[116:117]
	v_fma_f64 v[68:69], v[100:101], v[90:91], v[84:85]
	v_add_f64 v[12:13], v[64:65], v[12:13]
	v_mul_f64 v[58:59], v[132:133], v[128:129]
	v_mul_f64 v[60:61], v[130:131], v[128:129]
	;; [unrolled: 1-line block ×5, first 2 shown]
	v_fma_f64 v[54:55], v[130:131], v[122:123], -v[54:55]
	v_fma_f64 v[56:57], v[132:133], v[122:123], v[56:57]
	v_add_f64 v[6:7], v[6:7], v[30:31]
	v_add_f64 v[8:9], v[32:33], v[8:9]
	;; [unrolled: 1-line block ×3, first 2 shown]
	v_fma_f64 v[70:71], v[78:79], v[86:87], -v[70:71]
	v_fma_f64 v[74:75], v[80:81], v[86:87], v[74:75]
	v_fma_f64 v[66:67], v[98:99], v[90:91], -v[76:77]
	v_fma_f64 v[76:77], v[98:99], v[94:95], -v[88:89]
	v_fma_f64 v[78:79], v[100:101], v[94:95], v[152:153]
	v_add_f64 v[10:11], v[10:11], v[62:63]
	v_mul_f64 v[30:31], v[140:141], v[124:125]
	v_mul_f64 v[32:33], v[138:139], v[124:125]
	v_fma_f64 v[80:81], v[112:113], v[114:115], v[96:97]
	v_add_f64 v[16:17], v[68:69], v[16:17]
	v_mul_f64 v[62:63], v[136:137], v[148:149]
	v_fma_f64 v[58:59], v[130:131], v[126:127], -v[58:59]
	v_fma_f64 v[60:61], v[132:133], v[126:127], v[60:61]
	v_fma_f64 v[34:35], v[138:139], v[126:127], -v[34:35]
	v_fma_f64 v[36:37], v[140:141], v[126:127], v[36:37]
	v_add_f64 v[6:7], v[6:7], v[38:39]
	v_add_f64 v[8:9], v[40:41], v[8:9]
	v_mul_f64 v[38:39], v[136:137], v[28:29]
	v_add_f64 v[2:3], v[2:3], v[70:71]
	v_add_f64 v[4:5], v[74:75], v[4:5]
	v_fma_f64 v[70:71], v[102:103], v[118:119], -v[72:73]
	v_fma_f64 v[72:73], v[104:105], v[118:119], v[92:93]
	v_fma_f64 v[74:75], v[110:111], v[114:115], -v[82:83]
	v_add_f64 v[14:15], v[14:15], v[66:67]
	v_add_f64 v[10:11], v[10:11], v[76:77]
	;; [unrolled: 1-line block ×3, first 2 shown]
	v_mul_f64 v[40:41], v[134:135], v[28:29]
	v_mul_f64 v[66:67], v[144:145], v[28:29]
	;; [unrolled: 1-line block ×3, first 2 shown]
	v_fma_f64 v[30:31], v[138:139], v[122:123], -v[30:31]
	v_fma_f64 v[32:33], v[140:141], v[122:123], v[32:33]
	v_add_f64 v[16:17], v[48:49], v[16:17]
	v_fma_f64 v[48:49], v[136:137], v[146:147], v[64:65]
	v_add_f64 v[8:9], v[80:81], v[8:9]
	v_fma_f64 v[38:39], v[134:135], v[26:27], -v[38:39]
	v_add_f64 v[2:3], v[2:3], v[42:43]
	v_add_f64 v[4:5], v[44:45], v[4:5]
	v_mul_f64 v[42:43], v[144:145], v[148:149]
	v_mul_f64 v[44:45], v[142:143], v[148:149]
	v_add_f64 v[6:7], v[6:7], v[74:75]
	v_add_f64 v[14:15], v[14:15], v[46:47]
	;; [unrolled: 1-line block ×4, first 2 shown]
	v_fma_f64 v[46:47], v[134:135], v[146:147], -v[62:63]
	v_fma_f64 v[40:41], v[136:137], v[26:27], v[40:41]
	v_add_f64 v[16:17], v[56:57], v[16:17]
	v_add_f64 v[8:9], v[32:33], v[8:9]
	;; [unrolled: 1-line block ×4, first 2 shown]
	v_fma_f64 v[42:43], v[142:143], v[146:147], -v[42:43]
	v_fma_f64 v[44:45], v[144:145], v[146:147], v[44:45]
	v_fma_f64 v[50:51], v[142:143], v[26:27], -v[66:67]
	v_fma_f64 v[26:27], v[144:145], v[26:27], v[28:29]
	v_add_f64 v[14:15], v[14:15], v[54:55]
	v_add_f64 v[10:11], v[10:11], v[58:59]
	v_add_f64 v[12:13], v[60:61], v[12:13]
	v_add_f64 v[6:7], v[6:7], v[30:31]
	v_add_f64 v[16:17], v[48:49], v[16:17]
	v_add_f64 v[2:3], v[2:3], v[34:35]
	v_add_f64 v[4:5], v[36:37], v[4:5]
	v_add_f64 v[8:9], v[44:45], v[8:9]
	v_add_f64 v[14:15], v[14:15], v[46:47]
	v_add_f64 v[10:11], v[10:11], v[38:39]
	v_add_f64 v[12:13], v[40:41], v[12:13]
	v_add_f64 v[6:7], v[6:7], v[42:43]
	v_add_f64 v[2:3], v[2:3], v[50:51]
	v_add_f64 v[4:5], v[26:27], v[4:5]
	s_cbranch_vccnz .LBB265_2
	s_branch .LBB265_4
.LBB265_3:
	v_mov_b32_e32 v14, 0
	v_mov_b32_e32 v16, 0
	;; [unrolled: 1-line block ×16, first 2 shown]
.LBB265_4:
	s_load_dwordx2 s[4:5], s[4:5], 0x90
	v_cmp_neq_f64_e64 s10, s[14:15], 0
	v_cmp_neq_f64_e64 s11, s[16:17], 0
	v_add_co_u32 v22, s8, s8, v1
	v_add_co_ci_u32_e64 v23, null, s9, 0, s8
	s_waitcnt lgkmcnt(0)
	s_lshl_b64 s[4:5], s[4:5], 4
	s_add_u32 s2, s2, s4
	s_addc_u32 s3, s3, s5
	v_add_co_u32 v0, s5, s6, v0
	v_add_co_ci_u32_e64 v1, null, s7, 0, s5
	s_or_b32 s4, s10, s11
	s_and_b32 vcc_lo, exec_lo, s4
	s_cbranch_vccnz .LBB265_6
; %bb.5:
	v_mul_f64 v[20:21], s[40:41], v[16:17]
	v_mul_f64 v[26:27], s[38:39], v[16:17]
	;; [unrolled: 1-line block ×4, first 2 shown]
	v_mul_lo_u32 v24, v23, s26
	v_mul_lo_u32 v25, v22, s27
	v_mad_u64_u32 v[18:19], null, v22, s26, 0
	v_mul_f64 v[28:29], s[40:41], v[12:13]
	v_mul_f64 v[30:31], s[38:39], v[12:13]
	;; [unrolled: 1-line block ×4, first 2 shown]
	s_lshl_b64 s[4:5], s[26:27], 8
	v_lshlrev_b64 v[40:41], 4, v[0:1]
	v_add3_u32 v19, v19, v25, v24
	v_lshlrev_b64 v[18:19], 4, v[18:19]
	v_fma_f64 v[24:25], s[38:39], v[14:15], -v[20:21]
	v_fma_f64 v[26:27], s[40:41], v[14:15], v[26:27]
	v_fma_f64 v[36:37], s[38:39], v[2:3], -v[36:37]
	v_add_co_u32 v42, vcc_lo, s2, v18
	v_add_co_ci_u32_e64 v43, null, s3, v19, vcc_lo
	v_fma_f64 v[18:19], s[40:41], v[2:3], v[38:39]
	v_fma_f64 v[28:29], s[38:39], v[10:11], -v[28:29]
	v_fma_f64 v[30:31], s[40:41], v[10:11], v[30:31]
	v_fma_f64 v[32:33], s[38:39], v[6:7], -v[32:33]
	v_fma_f64 v[34:35], s[40:41], v[6:7], v[34:35]
	v_add_co_u32 v20, vcc_lo, v42, s4
	v_add_co_ci_u32_e64 v21, null, s5, v43, vcc_lo
	v_add_co_u32 v38, vcc_lo, v20, v40
	v_add_co_ci_u32_e64 v39, null, v21, v41, vcc_lo
	;; [unrolled: 2-line block ×4, first 2 shown]
	flat_store_dwordx4 v[40:41], v[24:27]
	flat_store_dwordx4 v[40:41], v[28:31] offset:256
	flat_store_dwordx4 v[38:39], v[32:35]
	flat_store_dwordx2 v[38:39], v[36:37] offset:256
	s_cbranch_execz .LBB265_7
	s_branch .LBB265_8
.LBB265_6:
                                        ; implicit-def: $vgpr18_vgpr19
                                        ; implicit-def: $vgpr20_vgpr21
.LBB265_7:
	v_mul_lo_u32 v20, v23, s20
	v_mul_lo_u32 v21, v22, s21
	v_mad_u64_u32 v[18:19], null, v22, s20, 0
	s_lshl_b64 s[4:5], s[22:23], 4
	v_lshlrev_b64 v[0:1], 4, v[0:1]
	s_add_u32 s0, s0, s4
	s_addc_u32 s1, s1, s5
	v_mul_f64 v[26:27], s[40:41], v[16:17]
	v_mul_f64 v[16:17], s[38:39], v[16:17]
	v_add3_u32 v19, v19, v21, v20
	v_mul_lo_u32 v23, v23, s26
	v_lshlrev_b64 v[18:19], 4, v[18:19]
	v_add_co_u32 v30, vcc_lo, s0, v18
	v_add_co_ci_u32_e64 v31, null, s1, v19, vcc_lo
	s_lshl_b64 s[0:1], s[20:21], 8
	v_add_co_u32 v24, vcc_lo, v30, v0
	v_add_co_ci_u32_e64 v25, null, v31, v1, vcc_lo
	v_fma_f64 v[26:27], s[38:39], v[14:15], -v[26:27]
	v_fma_f64 v[16:17], s[40:41], v[14:15], v[16:17]
	flat_load_dwordx4 v[18:21], v[24:25]
	s_waitcnt vmcnt(0) lgkmcnt(0)
	v_mul_f64 v[28:29], s[16:17], v[20:21]
	v_mul_f64 v[20:21], s[14:15], v[20:21]
	v_fma_f64 v[14:15], s[14:15], v[18:19], -v[28:29]
	v_fma_f64 v[18:19], s[16:17], v[18:19], v[20:21]
	v_mul_lo_u32 v28, v22, s27
	v_mad_u64_u32 v[20:21], null, v22, s26, 0
	v_add3_u32 v21, v21, v28, v23
	v_add_f64 v[14:15], v[26:27], v[14:15]
	v_add_f64 v[16:17], v[16:17], v[18:19]
	v_lshlrev_b64 v[18:19], 4, v[20:21]
	v_mul_f64 v[20:21], s[40:41], v[12:13]
	v_mul_f64 v[12:13], s[38:39], v[12:13]
	v_add_co_u32 v26, vcc_lo, s2, v18
	v_add_co_ci_u32_e64 v27, null, s3, v19, vcc_lo
	v_add_co_u32 v18, vcc_lo, v26, v0
	v_add_co_ci_u32_e64 v19, null, v27, v1, vcc_lo
	flat_store_dwordx4 v[18:19], v[14:17]
	flat_load_dwordx4 v[14:17], v[24:25] offset:256
	v_fma_f64 v[20:21], s[38:39], v[10:11], -v[20:21]
	v_fma_f64 v[12:13], s[40:41], v[10:11], v[12:13]
	s_waitcnt vmcnt(0) lgkmcnt(0)
	v_mul_f64 v[22:23], s[16:17], v[16:17]
	v_mul_f64 v[16:17], s[14:15], v[16:17]
	v_fma_f64 v[10:11], s[14:15], v[14:15], -v[22:23]
	v_fma_f64 v[14:15], s[16:17], v[14:15], v[16:17]
	v_mul_f64 v[16:17], s[40:41], v[8:9]
	v_mul_f64 v[8:9], s[38:39], v[8:9]
	v_add_f64 v[10:11], v[20:21], v[10:11]
	v_add_f64 v[12:13], v[12:13], v[14:15]
	v_add_co_u32 v14, vcc_lo, v30, s0
	v_add_co_ci_u32_e64 v15, null, s1, v31, vcc_lo
	v_fma_f64 v[16:17], s[38:39], v[6:7], -v[16:17]
	v_add_co_u32 v14, vcc_lo, v14, v0
	v_add_co_ci_u32_e64 v15, null, v15, v1, vcc_lo
	v_fma_f64 v[8:9], s[40:41], v[6:7], v[8:9]
	s_lshl_b64 s[0:1], s[26:27], 8
	flat_store_dwordx4 v[18:19], v[10:13] offset:256
	flat_load_dwordx4 v[10:13], v[14:15]
	s_waitcnt vmcnt(0) lgkmcnt(0)
	v_mul_f64 v[18:19], s[16:17], v[12:13]
	v_mul_f64 v[12:13], s[14:15], v[12:13]
	v_fma_f64 v[6:7], s[14:15], v[10:11], -v[18:19]
	v_fma_f64 v[10:11], s[16:17], v[10:11], v[12:13]
	v_add_f64 v[6:7], v[16:17], v[6:7]
	v_add_f64 v[8:9], v[8:9], v[10:11]
	v_add_co_u32 v10, vcc_lo, v26, s0
	v_add_co_ci_u32_e64 v11, null, s1, v27, vcc_lo
	v_add_co_u32 v0, vcc_lo, v10, v0
	v_add_co_ci_u32_e64 v1, null, v11, v1, vcc_lo
	v_mul_f64 v[10:11], s[40:41], v[4:5]
	v_mul_f64 v[4:5], s[38:39], v[4:5]
	v_add_co_u32 v20, vcc_lo, 0x100, v0
	v_add_co_ci_u32_e64 v21, null, 0, v1, vcc_lo
	flat_store_dwordx4 v[0:1], v[6:9]
	flat_load_dwordx4 v[6:9], v[14:15] offset:256
	v_fma_f64 v[10:11], s[38:39], v[2:3], -v[10:11]
	v_fma_f64 v[2:3], s[40:41], v[2:3], v[4:5]
	s_waitcnt vmcnt(0) lgkmcnt(0)
	v_mul_f64 v[12:13], s[16:17], v[8:9]
	v_mul_f64 v[8:9], s[14:15], v[8:9]
	v_fma_f64 v[4:5], s[14:15], v[6:7], -v[12:13]
	v_fma_f64 v[6:7], s[16:17], v[6:7], v[8:9]
	v_add_f64 v[4:5], v[10:11], v[4:5]
	v_add_f64 v[18:19], v[2:3], v[6:7]
	flat_store_dwordx2 v[0:1], v[4:5] offset:256
.LBB265_8:
	flat_store_dwordx2 v[20:21], v[18:19] offset:8
	s_endpgm
	.section	.rodata,"a",@progbits
	.p2align	6, 0x0
	.amdhsa_kernel _ZN12_GLOBAL__N_127rocblas_gemm_batched_kernelI19rocblas_complex_numIdELi16ELi16ELi32ELi32ELi8ELi32ELi8ELi8ELi32ELc67ELc78EKPKS2_S5_KPS2_EEvlllT_PT11_llSA_llS8_PT12_llPT13_lli
		.amdhsa_group_segment_fixed_size 8192
		.amdhsa_private_segment_fixed_size 0
		.amdhsa_kernarg_size 156
		.amdhsa_user_sgpr_count 6
		.amdhsa_user_sgpr_private_segment_buffer 1
		.amdhsa_user_sgpr_dispatch_ptr 0
		.amdhsa_user_sgpr_queue_ptr 0
		.amdhsa_user_sgpr_kernarg_segment_ptr 1
		.amdhsa_user_sgpr_dispatch_id 0
		.amdhsa_user_sgpr_flat_scratch_init 0
		.amdhsa_user_sgpr_private_segment_size 0
		.amdhsa_wavefront_size32 1
		.amdhsa_uses_dynamic_stack 0
		.amdhsa_system_sgpr_private_segment_wavefront_offset 0
		.amdhsa_system_sgpr_workgroup_id_x 1
		.amdhsa_system_sgpr_workgroup_id_y 1
		.amdhsa_system_sgpr_workgroup_id_z 1
		.amdhsa_system_sgpr_workgroup_info 0
		.amdhsa_system_vgpr_workitem_id 1
		.amdhsa_next_free_vgpr 162
		.amdhsa_next_free_sgpr 52
		.amdhsa_reserve_vcc 1
		.amdhsa_reserve_flat_scratch 0
		.amdhsa_float_round_mode_32 0
		.amdhsa_float_round_mode_16_64 0
		.amdhsa_float_denorm_mode_32 3
		.amdhsa_float_denorm_mode_16_64 3
		.amdhsa_dx10_clamp 1
		.amdhsa_ieee_mode 1
		.amdhsa_fp16_overflow 0
		.amdhsa_workgroup_processor_mode 1
		.amdhsa_memory_ordered 1
		.amdhsa_forward_progress 1
		.amdhsa_shared_vgpr_count 0
		.amdhsa_exception_fp_ieee_invalid_op 0
		.amdhsa_exception_fp_denorm_src 0
		.amdhsa_exception_fp_ieee_div_zero 0
		.amdhsa_exception_fp_ieee_overflow 0
		.amdhsa_exception_fp_ieee_underflow 0
		.amdhsa_exception_fp_ieee_inexact 0
		.amdhsa_exception_int_div_zero 0
	.end_amdhsa_kernel
	.section	.text._ZN12_GLOBAL__N_127rocblas_gemm_batched_kernelI19rocblas_complex_numIdELi16ELi16ELi32ELi32ELi8ELi32ELi8ELi8ELi32ELc67ELc78EKPKS2_S5_KPS2_EEvlllT_PT11_llSA_llS8_PT12_llPT13_lli,"axG",@progbits,_ZN12_GLOBAL__N_127rocblas_gemm_batched_kernelI19rocblas_complex_numIdELi16ELi16ELi32ELi32ELi8ELi32ELi8ELi8ELi32ELc67ELc78EKPKS2_S5_KPS2_EEvlllT_PT11_llSA_llS8_PT12_llPT13_lli,comdat
.Lfunc_end265:
	.size	_ZN12_GLOBAL__N_127rocblas_gemm_batched_kernelI19rocblas_complex_numIdELi16ELi16ELi32ELi32ELi8ELi32ELi8ELi8ELi32ELc67ELc78EKPKS2_S5_KPS2_EEvlllT_PT11_llSA_llS8_PT12_llPT13_lli, .Lfunc_end265-_ZN12_GLOBAL__N_127rocblas_gemm_batched_kernelI19rocblas_complex_numIdELi16ELi16ELi32ELi32ELi8ELi32ELi8ELi8ELi32ELc67ELc78EKPKS2_S5_KPS2_EEvlllT_PT11_llSA_llS8_PT12_llPT13_lli
                                        ; -- End function
	.set _ZN12_GLOBAL__N_127rocblas_gemm_batched_kernelI19rocblas_complex_numIdELi16ELi16ELi32ELi32ELi8ELi32ELi8ELi8ELi32ELc67ELc78EKPKS2_S5_KPS2_EEvlllT_PT11_llSA_llS8_PT12_llPT13_lli.num_vgpr, 162
	.set _ZN12_GLOBAL__N_127rocblas_gemm_batched_kernelI19rocblas_complex_numIdELi16ELi16ELi32ELi32ELi8ELi32ELi8ELi8ELi32ELc67ELc78EKPKS2_S5_KPS2_EEvlllT_PT11_llSA_llS8_PT12_llPT13_lli.num_agpr, 0
	.set _ZN12_GLOBAL__N_127rocblas_gemm_batched_kernelI19rocblas_complex_numIdELi16ELi16ELi32ELi32ELi8ELi32ELi8ELi8ELi32ELc67ELc78EKPKS2_S5_KPS2_EEvlllT_PT11_llSA_llS8_PT12_llPT13_lli.numbered_sgpr, 52
	.set _ZN12_GLOBAL__N_127rocblas_gemm_batched_kernelI19rocblas_complex_numIdELi16ELi16ELi32ELi32ELi8ELi32ELi8ELi8ELi32ELc67ELc78EKPKS2_S5_KPS2_EEvlllT_PT11_llSA_llS8_PT12_llPT13_lli.num_named_barrier, 0
	.set _ZN12_GLOBAL__N_127rocblas_gemm_batched_kernelI19rocblas_complex_numIdELi16ELi16ELi32ELi32ELi8ELi32ELi8ELi8ELi32ELc67ELc78EKPKS2_S5_KPS2_EEvlllT_PT11_llSA_llS8_PT12_llPT13_lli.private_seg_size, 0
	.set _ZN12_GLOBAL__N_127rocblas_gemm_batched_kernelI19rocblas_complex_numIdELi16ELi16ELi32ELi32ELi8ELi32ELi8ELi8ELi32ELc67ELc78EKPKS2_S5_KPS2_EEvlllT_PT11_llSA_llS8_PT12_llPT13_lli.uses_vcc, 1
	.set _ZN12_GLOBAL__N_127rocblas_gemm_batched_kernelI19rocblas_complex_numIdELi16ELi16ELi32ELi32ELi8ELi32ELi8ELi8ELi32ELc67ELc78EKPKS2_S5_KPS2_EEvlllT_PT11_llSA_llS8_PT12_llPT13_lli.uses_flat_scratch, 0
	.set _ZN12_GLOBAL__N_127rocblas_gemm_batched_kernelI19rocblas_complex_numIdELi16ELi16ELi32ELi32ELi8ELi32ELi8ELi8ELi32ELc67ELc78EKPKS2_S5_KPS2_EEvlllT_PT11_llSA_llS8_PT12_llPT13_lli.has_dyn_sized_stack, 0
	.set _ZN12_GLOBAL__N_127rocblas_gemm_batched_kernelI19rocblas_complex_numIdELi16ELi16ELi32ELi32ELi8ELi32ELi8ELi8ELi32ELc67ELc78EKPKS2_S5_KPS2_EEvlllT_PT11_llSA_llS8_PT12_llPT13_lli.has_recursion, 0
	.set _ZN12_GLOBAL__N_127rocblas_gemm_batched_kernelI19rocblas_complex_numIdELi16ELi16ELi32ELi32ELi8ELi32ELi8ELi8ELi32ELc67ELc78EKPKS2_S5_KPS2_EEvlllT_PT11_llSA_llS8_PT12_llPT13_lli.has_indirect_call, 0
	.section	.AMDGPU.csdata,"",@progbits
; Kernel info:
; codeLenInByte = 3592
; TotalNumSgprs: 54
; NumVgprs: 162
; ScratchSize: 0
; MemoryBound: 0
; FloatMode: 240
; IeeeMode: 1
; LDSByteSize: 8192 bytes/workgroup (compile time only)
; SGPRBlocks: 0
; VGPRBlocks: 20
; NumSGPRsForWavesPerEU: 54
; NumVGPRsForWavesPerEU: 162
; Occupancy: 5
; WaveLimiterHint : 1
; COMPUTE_PGM_RSRC2:SCRATCH_EN: 0
; COMPUTE_PGM_RSRC2:USER_SGPR: 6
; COMPUTE_PGM_RSRC2:TRAP_HANDLER: 0
; COMPUTE_PGM_RSRC2:TGID_X_EN: 1
; COMPUTE_PGM_RSRC2:TGID_Y_EN: 1
; COMPUTE_PGM_RSRC2:TGID_Z_EN: 1
; COMPUTE_PGM_RSRC2:TIDIG_COMP_CNT: 1
	.section	.text._ZN12_GLOBAL__N_127rocblas_gemm_batched_kernelI19rocblas_complex_numIdELi16ELi16ELi32ELi32ELi8ELi32ELi8ELi8ELi32ELc67ELc84EKPKS2_S5_KPS2_EEvlllT_PT11_llSA_llS8_PT12_llPT13_lli,"axG",@progbits,_ZN12_GLOBAL__N_127rocblas_gemm_batched_kernelI19rocblas_complex_numIdELi16ELi16ELi32ELi32ELi8ELi32ELi8ELi8ELi32ELc67ELc84EKPKS2_S5_KPS2_EEvlllT_PT11_llSA_llS8_PT12_llPT13_lli,comdat
	.globl	_ZN12_GLOBAL__N_127rocblas_gemm_batched_kernelI19rocblas_complex_numIdELi16ELi16ELi32ELi32ELi8ELi32ELi8ELi8ELi32ELc67ELc84EKPKS2_S5_KPS2_EEvlllT_PT11_llSA_llS8_PT12_llPT13_lli ; -- Begin function _ZN12_GLOBAL__N_127rocblas_gemm_batched_kernelI19rocblas_complex_numIdELi16ELi16ELi32ELi32ELi8ELi32ELi8ELi8ELi32ELc67ELc84EKPKS2_S5_KPS2_EEvlllT_PT11_llSA_llS8_PT12_llPT13_lli
	.p2align	8
	.type	_ZN12_GLOBAL__N_127rocblas_gemm_batched_kernelI19rocblas_complex_numIdELi16ELi16ELi32ELi32ELi8ELi32ELi8ELi8ELi32ELc67ELc84EKPKS2_S5_KPS2_EEvlllT_PT11_llSA_llS8_PT12_llPT13_lli,@function
_ZN12_GLOBAL__N_127rocblas_gemm_batched_kernelI19rocblas_complex_numIdELi16ELi16ELi32ELi32ELi8ELi32ELi8ELi8ELi32ELc67ELc84EKPKS2_S5_KPS2_EEvlllT_PT11_llSA_llS8_PT12_llPT13_lli: ; @_ZN12_GLOBAL__N_127rocblas_gemm_batched_kernelI19rocblas_complex_numIdELi16ELi16ELi32ELi32ELi8ELi32ELi8ELi8ELi32ELc67ELc84EKPKS2_S5_KPS2_EEvlllT_PT11_llSA_llS8_PT12_llPT13_lli
; %bb.0:
	s_clause 0x1
	s_load_dwordx16 s[12:27], s[4:5], 0x50
	s_load_dwordx16 s[36:51], s[4:5], 0x10
	s_mov_b32 s9, 0
	s_mov_b32 s28, s7
	s_lshl_b64 s[10:11], s[8:9], 3
	s_waitcnt lgkmcnt(0)
	s_add_u32 s0, s18, s10
	s_addc_u32 s1, s19, s11
	s_add_u32 s2, s24, s10
	s_addc_u32 s3, s25, s11
	s_load_dwordx2 s[0:1], s[0:1], 0x0
	s_load_dwordx2 s[2:3], s[2:3], 0x0
	v_cmp_lt_i64_e64 s8, s[36:37], 1
	s_ashr_i32 s7, s6, 31
	s_ashr_i32 s29, s28, 31
	s_lshl_b64 s[6:7], s[6:7], 5
	s_and_b32 vcc_lo, exec_lo, s8
	s_lshl_b64 s[8:9], s[28:29], 5
	s_cbranch_vccnz .LBB266_3
; %bb.1:
	v_lshl_add_u32 v6, v1, 4, v0
	v_and_b32_e32 v7, 7, v0
	v_mov_b32_e32 v16, 0
	v_mov_b32_e32 v14, 0
	v_lshlrev_b32_e32 v24, 4, v0
	v_lshrrev_b32_e32 v8, 3, v6
	v_and_b32_e32 v9, 31, v6
	v_lshrrev_b32_e32 v12, 5, v6
	v_lshlrev_b32_e32 v13, 4, v7
	v_lshl_add_u32 v25, v1, 7, 0x1000
	v_add_co_u32 v2, s18, v8, s8
	v_add_co_ci_u32_e64 v3, null, 0, s9, s18
	v_add_co_u32 v4, s18, s6, v9
	v_add_co_ci_u32_e64 v5, null, s7, 0, s18
	v_mad_u64_u32 v[2:3], null, s50, v7, v[2:3]
	v_mul_lo_u32 v10, s45, v4
	v_mul_lo_u32 v11, s44, v5
	v_mad_u64_u32 v[4:5], null, s44, v4, 0
	s_add_u32 s18, s42, s10
	s_addc_u32 s19, s43, s11
	s_add_u32 s10, s48, s10
	s_addc_u32 s11, s49, s11
	s_load_dwordx2 s[18:19], s[18:19], 0x0
	s_load_dwordx2 s[10:11], s[10:11], 0x0
	v_add3_u32 v5, v5, v11, v10
	v_mad_u64_u32 v[6:7], null, s51, v7, v[3:4]
	v_lshlrev_b32_e32 v3, 4, v9
	s_lshl_b64 s[24:25], s[46:47], 4
	v_lshlrev_b64 v[4:5], 4, v[4:5]
	v_lshl_or_b32 v7, v8, 7, v13
	s_lshl_b64 s[12:13], s[12:13], 4
	v_lshl_or_b32 v22, v12, 9, v3
	v_mov_b32_e32 v3, v6
	v_lshlrev_b32_e32 v6, 4, v12
	v_add_co_u32 v4, vcc_lo, v4, s24
	v_add_co_ci_u32_e64 v5, null, s25, v5, vcc_lo
	v_lshlrev_b64 v[20:21], 4, v[2:3]
	v_add_co_u32 v4, vcc_lo, v4, v6
	v_add_co_ci_u32_e64 v5, null, 0, v5, vcc_lo
	s_waitcnt lgkmcnt(0)
	s_add_u32 s10, s10, s12
	v_add_co_u32 v18, vcc_lo, s18, v4
	v_add_co_ci_u32_e64 v19, null, s19, v5, vcc_lo
	s_addc_u32 s11, s11, s13
	v_add_co_u32 v20, vcc_lo, s10, v20
	v_add_nc_u32_e32 v23, 0x1000, v7
	v_mov_b32_e32 v4, 0
	v_mov_b32_e32 v2, 0
	;; [unrolled: 1-line block ×14, first 2 shown]
	v_add_co_ci_u32_e64 v21, null, s11, v21, vcc_lo
	s_lshl_b64 s[10:11], s[50:51], 7
	s_mov_b64 s[12:13], 0
.LBB266_2:                              ; =>This Inner Loop Header: Depth=1
	flat_load_dwordx4 v[26:29], v[18:19]
	flat_load_dwordx4 v[30:33], v[20:21]
	s_add_u32 s12, s12, 8
	s_addc_u32 s13, s13, 0
	v_add_co_u32 v18, vcc_lo, 0x80, v18
	v_cmp_lt_i64_e64 s18, s[12:13], s[36:37]
	v_add_co_ci_u32_e64 v19, null, 0, v19, vcc_lo
	v_add_co_u32 v20, vcc_lo, v20, s10
	v_add_co_ci_u32_e64 v21, null, s11, v21, vcc_lo
	s_and_b32 vcc_lo, exec_lo, s18
	s_waitcnt vmcnt(1) lgkmcnt(1)
	v_xor_b32_e32 v29, 0x80000000, v29
	s_waitcnt vmcnt(0) lgkmcnt(0)
	ds_write2_b64 v23, v[30:31], v[32:33] offset1:1
	ds_write_b128 v22, v[26:29]
	s_waitcnt lgkmcnt(0)
	s_barrier
	buffer_gl0_inv
	ds_read_b128 v[26:29], v24
	ds_read_b128 v[30:33], v24 offset:256
	ds_read_b128 v[34:37], v25
	ds_read_b128 v[38:41], v25 offset:16
	ds_read_b128 v[42:45], v25 offset:2048
	;; [unrolled: 1-line block ×28, first 2 shown]
	s_waitcnt lgkmcnt(28)
	v_mul_f64 v[150:151], v[36:37], v[28:29]
	v_mul_f64 v[154:155], v[36:37], v[32:33]
	;; [unrolled: 1-line block ×4, first 2 shown]
	v_fma_f64 v[150:151], v[34:35], v[26:27], -v[150:151]
	v_fma_f64 v[34:35], v[34:35], v[30:31], -v[154:155]
	s_waitcnt lgkmcnt(26)
	v_mul_f64 v[154:155], v[44:45], v[28:29]
	v_mul_f64 v[28:29], v[42:43], v[28:29]
	v_fma_f64 v[152:153], v[36:37], v[26:27], v[152:153]
	v_fma_f64 v[36:37], v[36:37], v[30:31], v[156:157]
	v_add_f64 v[14:15], v[14:15], v[150:151]
	v_add_f64 v[10:11], v[10:11], v[34:35]
	v_fma_f64 v[154:155], v[42:43], v[26:27], -v[154:155]
	v_fma_f64 v[156:157], v[44:45], v[26:27], v[28:29]
	v_mul_f64 v[26:27], v[44:45], v[32:33]
	v_mul_f64 v[28:29], v[42:43], v[32:33]
	v_add_f64 v[16:17], v[152:153], v[16:17]
	v_add_f64 v[12:13], v[36:37], v[12:13]
	s_waitcnt lgkmcnt(16)
	v_mul_f64 v[34:35], v[64:65], v[84:85]
	v_mul_f64 v[36:37], v[62:63], v[84:85]
	s_waitcnt lgkmcnt(15)
	v_mul_f64 v[150:151], v[62:63], v[88:89]
	s_waitcnt lgkmcnt(12)
	v_mul_f64 v[152:153], v[98:99], v[96:97]
	v_add_f64 v[6:7], v[6:7], v[154:155]
	v_add_f64 v[8:9], v[156:157], v[8:9]
	v_fma_f64 v[32:33], v[42:43], v[30:31], -v[26:27]
	v_fma_f64 v[30:31], v[44:45], v[30:31], v[28:29]
	v_mul_f64 v[26:27], v[40:41], v[52:53]
	v_mul_f64 v[28:29], v[38:39], v[52:53]
	;; [unrolled: 1-line block ×4, first 2 shown]
	v_fma_f64 v[34:35], v[62:63], v[82:83], -v[34:35]
	v_fma_f64 v[36:37], v[64:65], v[82:83], v[36:37]
	v_add_f64 v[2:3], v[2:3], v[32:33]
	v_add_f64 v[4:5], v[30:31], v[4:5]
	v_fma_f64 v[158:159], v[38:39], v[50:51], -v[26:27]
	v_fma_f64 v[160:161], v[40:41], v[50:51], v[28:29]
	v_mul_f64 v[26:27], v[48:49], v[52:53]
	v_mul_f64 v[28:29], v[46:47], v[52:53]
	v_fma_f64 v[38:39], v[38:39], v[54:55], -v[42:43]
	v_fma_f64 v[40:41], v[40:41], v[54:55], v[44:45]
	v_mul_f64 v[52:53], v[58:59], v[72:73]
	v_mul_f64 v[30:31], v[80:81], v[84:85]
	;; [unrolled: 1-line block ×4, first 2 shown]
	v_add_f64 v[14:15], v[14:15], v[158:159]
	v_add_f64 v[16:17], v[160:161], v[16:17]
	v_fma_f64 v[42:43], v[46:47], v[50:51], -v[26:27]
	v_fma_f64 v[44:45], v[48:49], v[50:51], v[28:29]
	v_mul_f64 v[26:27], v[48:49], v[56:57]
	v_mul_f64 v[28:29], v[46:47], v[56:57]
	;; [unrolled: 1-line block ×3, first 2 shown]
	v_fma_f64 v[52:53], v[60:61], v[70:71], v[52:53]
	v_add_f64 v[10:11], v[10:11], v[38:39]
	v_add_f64 v[12:13], v[40:41], v[12:13]
	s_waitcnt lgkmcnt(10)
	v_mul_f64 v[38:39], v[108:109], v[92:93]
	v_mul_f64 v[40:41], v[106:107], v[92:93]
	v_fma_f64 v[30:31], v[78:79], v[82:83], -v[30:31]
	v_fma_f64 v[32:33], v[80:81], v[82:83], v[32:33]
	s_waitcnt lgkmcnt(8)
	v_mul_f64 v[82:83], v[112:113], v[116:117]
	v_add_f64 v[6:7], v[6:7], v[42:43]
	v_add_f64 v[8:9], v[44:45], v[8:9]
	v_fma_f64 v[46:47], v[46:47], v[54:55], -v[26:27]
	v_fma_f64 v[48:49], v[48:49], v[54:55], v[28:29]
	v_mul_f64 v[26:27], v[60:61], v[68:69]
	v_mul_f64 v[28:29], v[58:59], v[68:69]
	v_fma_f64 v[50:51], v[58:59], v[70:71], -v[50:51]
	v_mul_f64 v[42:43], v[108:109], v[96:97]
	v_mul_f64 v[44:45], v[106:107], v[96:97]
	v_add_f64 v[12:13], v[52:53], v[12:13]
	s_waitcnt lgkmcnt(7)
	v_mul_f64 v[52:53], v[110:111], v[120:121]
	v_fma_f64 v[38:39], v[106:107], v[90:91], -v[38:39]
	v_fma_f64 v[40:41], v[108:109], v[90:91], v[40:41]
	v_add_f64 v[2:3], v[2:3], v[46:47]
	v_add_f64 v[4:5], v[48:49], v[4:5]
	v_fma_f64 v[54:55], v[58:59], v[66:67], -v[26:27]
	v_fma_f64 v[56:57], v[60:61], v[66:67], v[28:29]
	v_mul_f64 v[26:27], v[76:77], v[68:69]
	v_mul_f64 v[28:29], v[74:75], v[68:69]
	;; [unrolled: 1-line block ×3, first 2 shown]
	v_add_f64 v[10:11], v[10:11], v[50:51]
	v_mul_f64 v[46:47], v[104:105], v[116:117]
	v_mul_f64 v[48:49], v[102:103], v[116:117]
	;; [unrolled: 1-line block ×3, first 2 shown]
	v_fma_f64 v[42:43], v[106:107], v[94:95], -v[42:43]
	v_fma_f64 v[44:45], v[108:109], v[94:95], v[44:45]
	v_fma_f64 v[52:53], v[112:113], v[118:119], v[52:53]
	v_add_f64 v[14:15], v[14:15], v[54:55]
	v_add_f64 v[16:17], v[56:57], v[16:17]
	v_fma_f64 v[58:59], v[74:75], v[66:67], -v[26:27]
	v_fma_f64 v[60:61], v[76:77], v[66:67], v[28:29]
	v_mul_f64 v[66:67], v[76:77], v[72:73]
	v_mul_f64 v[72:73], v[64:65], v[88:89]
	v_fma_f64 v[68:69], v[76:77], v[70:71], v[68:69]
	v_mul_f64 v[76:77], v[100:101], v[92:93]
	v_fma_f64 v[64:65], v[64:65], v[86:87], v[150:151]
	v_mul_f64 v[92:93], v[102:103], v[120:121]
	s_waitcnt lgkmcnt(4)
	v_mul_f64 v[54:55], v[132:133], v[124:125]
	v_mul_f64 v[56:57], v[130:131], v[124:125]
	v_fma_f64 v[46:47], v[102:103], v[114:115], -v[46:47]
	v_fma_f64 v[48:49], v[104:105], v[114:115], v[48:49]
	v_fma_f64 v[50:51], v[110:111], v[118:119], -v[50:51]
	ds_read_b128 v[26:29], v24 offset:3840
	s_waitcnt lgkmcnt(0)
	s_barrier
	buffer_gl0_inv
	v_add_f64 v[14:15], v[14:15], v[34:35]
	v_add_f64 v[16:17], v[36:37], v[16:17]
	;; [unrolled: 1-line block ×4, first 2 shown]
	v_fma_f64 v[66:67], v[74:75], v[70:71], -v[66:67]
	v_mul_f64 v[70:71], v[80:81], v[88:89]
	v_mul_f64 v[74:75], v[78:79], v[88:89]
	v_mul_f64 v[88:89], v[100:101], v[96:97]
	v_fma_f64 v[62:63], v[62:63], v[86:87], -v[72:73]
	v_add_f64 v[4:5], v[68:69], v[4:5]
	v_mul_f64 v[72:73], v[104:105], v[120:121]
	v_mul_f64 v[96:97], v[110:111], v[116:117]
	v_fma_f64 v[68:69], v[100:101], v[90:91], v[84:85]
	v_add_f64 v[12:13], v[64:65], v[12:13]
	v_mul_f64 v[58:59], v[132:133], v[128:129]
	v_mul_f64 v[60:61], v[130:131], v[128:129]
	;; [unrolled: 1-line block ×5, first 2 shown]
	v_fma_f64 v[54:55], v[130:131], v[122:123], -v[54:55]
	v_fma_f64 v[56:57], v[132:133], v[122:123], v[56:57]
	v_add_f64 v[6:7], v[6:7], v[30:31]
	v_add_f64 v[8:9], v[32:33], v[8:9]
	;; [unrolled: 1-line block ×3, first 2 shown]
	v_fma_f64 v[70:71], v[78:79], v[86:87], -v[70:71]
	v_fma_f64 v[74:75], v[80:81], v[86:87], v[74:75]
	v_fma_f64 v[66:67], v[98:99], v[90:91], -v[76:77]
	v_fma_f64 v[76:77], v[98:99], v[94:95], -v[88:89]
	v_fma_f64 v[78:79], v[100:101], v[94:95], v[152:153]
	v_add_f64 v[10:11], v[10:11], v[62:63]
	v_mul_f64 v[30:31], v[140:141], v[124:125]
	v_mul_f64 v[32:33], v[138:139], v[124:125]
	v_fma_f64 v[80:81], v[112:113], v[114:115], v[96:97]
	v_add_f64 v[16:17], v[68:69], v[16:17]
	v_mul_f64 v[62:63], v[136:137], v[148:149]
	v_fma_f64 v[58:59], v[130:131], v[126:127], -v[58:59]
	v_fma_f64 v[60:61], v[132:133], v[126:127], v[60:61]
	v_fma_f64 v[34:35], v[138:139], v[126:127], -v[34:35]
	v_fma_f64 v[36:37], v[140:141], v[126:127], v[36:37]
	v_add_f64 v[6:7], v[6:7], v[38:39]
	v_add_f64 v[8:9], v[40:41], v[8:9]
	v_mul_f64 v[38:39], v[136:137], v[28:29]
	v_add_f64 v[2:3], v[2:3], v[70:71]
	v_add_f64 v[4:5], v[74:75], v[4:5]
	v_fma_f64 v[70:71], v[102:103], v[118:119], -v[72:73]
	v_fma_f64 v[72:73], v[104:105], v[118:119], v[92:93]
	v_fma_f64 v[74:75], v[110:111], v[114:115], -v[82:83]
	v_add_f64 v[14:15], v[14:15], v[66:67]
	v_add_f64 v[10:11], v[10:11], v[76:77]
	;; [unrolled: 1-line block ×3, first 2 shown]
	v_mul_f64 v[40:41], v[134:135], v[28:29]
	v_mul_f64 v[66:67], v[144:145], v[28:29]
	v_mul_f64 v[28:29], v[142:143], v[28:29]
	v_fma_f64 v[30:31], v[138:139], v[122:123], -v[30:31]
	v_fma_f64 v[32:33], v[140:141], v[122:123], v[32:33]
	v_add_f64 v[16:17], v[48:49], v[16:17]
	v_fma_f64 v[48:49], v[136:137], v[146:147], v[64:65]
	v_add_f64 v[8:9], v[80:81], v[8:9]
	v_fma_f64 v[38:39], v[134:135], v[26:27], -v[38:39]
	v_add_f64 v[2:3], v[2:3], v[42:43]
	v_add_f64 v[4:5], v[44:45], v[4:5]
	v_mul_f64 v[42:43], v[144:145], v[148:149]
	v_mul_f64 v[44:45], v[142:143], v[148:149]
	v_add_f64 v[6:7], v[6:7], v[74:75]
	v_add_f64 v[14:15], v[14:15], v[46:47]
	;; [unrolled: 1-line block ×4, first 2 shown]
	v_fma_f64 v[46:47], v[134:135], v[146:147], -v[62:63]
	v_fma_f64 v[40:41], v[136:137], v[26:27], v[40:41]
	v_add_f64 v[16:17], v[56:57], v[16:17]
	v_add_f64 v[8:9], v[32:33], v[8:9]
	;; [unrolled: 1-line block ×4, first 2 shown]
	v_fma_f64 v[42:43], v[142:143], v[146:147], -v[42:43]
	v_fma_f64 v[44:45], v[144:145], v[146:147], v[44:45]
	v_fma_f64 v[50:51], v[142:143], v[26:27], -v[66:67]
	v_fma_f64 v[26:27], v[144:145], v[26:27], v[28:29]
	v_add_f64 v[14:15], v[14:15], v[54:55]
	v_add_f64 v[10:11], v[10:11], v[58:59]
	;; [unrolled: 1-line block ×14, first 2 shown]
	s_cbranch_vccnz .LBB266_2
	s_branch .LBB266_4
.LBB266_3:
	v_mov_b32_e32 v14, 0
	v_mov_b32_e32 v16, 0
	;; [unrolled: 1-line block ×16, first 2 shown]
.LBB266_4:
	s_load_dwordx2 s[4:5], s[4:5], 0x90
	v_cmp_neq_f64_e64 s10, s[14:15], 0
	v_cmp_neq_f64_e64 s11, s[16:17], 0
	v_add_co_u32 v22, s8, s8, v1
	v_add_co_ci_u32_e64 v23, null, s9, 0, s8
	s_waitcnt lgkmcnt(0)
	s_lshl_b64 s[4:5], s[4:5], 4
	s_add_u32 s2, s2, s4
	s_addc_u32 s3, s3, s5
	v_add_co_u32 v0, s5, s6, v0
	v_add_co_ci_u32_e64 v1, null, s7, 0, s5
	s_or_b32 s4, s10, s11
	s_and_b32 vcc_lo, exec_lo, s4
	s_cbranch_vccnz .LBB266_6
; %bb.5:
	v_mul_f64 v[20:21], s[40:41], v[16:17]
	v_mul_f64 v[26:27], s[38:39], v[16:17]
	;; [unrolled: 1-line block ×4, first 2 shown]
	v_mul_lo_u32 v24, v23, s26
	v_mul_lo_u32 v25, v22, s27
	v_mad_u64_u32 v[18:19], null, v22, s26, 0
	v_mul_f64 v[28:29], s[40:41], v[12:13]
	v_mul_f64 v[30:31], s[38:39], v[12:13]
	;; [unrolled: 1-line block ×4, first 2 shown]
	s_lshl_b64 s[4:5], s[26:27], 8
	v_lshlrev_b64 v[40:41], 4, v[0:1]
	v_add3_u32 v19, v19, v25, v24
	v_lshlrev_b64 v[18:19], 4, v[18:19]
	v_fma_f64 v[24:25], s[38:39], v[14:15], -v[20:21]
	v_fma_f64 v[26:27], s[40:41], v[14:15], v[26:27]
	v_fma_f64 v[36:37], s[38:39], v[2:3], -v[36:37]
	v_add_co_u32 v42, vcc_lo, s2, v18
	v_add_co_ci_u32_e64 v43, null, s3, v19, vcc_lo
	v_fma_f64 v[18:19], s[40:41], v[2:3], v[38:39]
	v_fma_f64 v[28:29], s[38:39], v[10:11], -v[28:29]
	v_fma_f64 v[30:31], s[40:41], v[10:11], v[30:31]
	v_fma_f64 v[32:33], s[38:39], v[6:7], -v[32:33]
	v_fma_f64 v[34:35], s[40:41], v[6:7], v[34:35]
	v_add_co_u32 v20, vcc_lo, v42, s4
	v_add_co_ci_u32_e64 v21, null, s5, v43, vcc_lo
	v_add_co_u32 v38, vcc_lo, v20, v40
	v_add_co_ci_u32_e64 v39, null, v21, v41, vcc_lo
	;; [unrolled: 2-line block ×4, first 2 shown]
	flat_store_dwordx4 v[40:41], v[24:27]
	flat_store_dwordx4 v[40:41], v[28:31] offset:256
	flat_store_dwordx4 v[38:39], v[32:35]
	flat_store_dwordx2 v[38:39], v[36:37] offset:256
	s_cbranch_execz .LBB266_7
	s_branch .LBB266_8
.LBB266_6:
                                        ; implicit-def: $vgpr18_vgpr19
                                        ; implicit-def: $vgpr20_vgpr21
.LBB266_7:
	v_mul_lo_u32 v20, v23, s20
	v_mul_lo_u32 v21, v22, s21
	v_mad_u64_u32 v[18:19], null, v22, s20, 0
	s_lshl_b64 s[4:5], s[22:23], 4
	v_lshlrev_b64 v[0:1], 4, v[0:1]
	s_add_u32 s0, s0, s4
	s_addc_u32 s1, s1, s5
	v_mul_f64 v[26:27], s[40:41], v[16:17]
	v_mul_f64 v[16:17], s[38:39], v[16:17]
	v_add3_u32 v19, v19, v21, v20
	v_mul_lo_u32 v23, v23, s26
	v_lshlrev_b64 v[18:19], 4, v[18:19]
	v_add_co_u32 v30, vcc_lo, s0, v18
	v_add_co_ci_u32_e64 v31, null, s1, v19, vcc_lo
	s_lshl_b64 s[0:1], s[20:21], 8
	v_add_co_u32 v24, vcc_lo, v30, v0
	v_add_co_ci_u32_e64 v25, null, v31, v1, vcc_lo
	v_fma_f64 v[26:27], s[38:39], v[14:15], -v[26:27]
	v_fma_f64 v[16:17], s[40:41], v[14:15], v[16:17]
	flat_load_dwordx4 v[18:21], v[24:25]
	s_waitcnt vmcnt(0) lgkmcnt(0)
	v_mul_f64 v[28:29], s[16:17], v[20:21]
	v_mul_f64 v[20:21], s[14:15], v[20:21]
	v_fma_f64 v[14:15], s[14:15], v[18:19], -v[28:29]
	v_fma_f64 v[18:19], s[16:17], v[18:19], v[20:21]
	v_mul_lo_u32 v28, v22, s27
	v_mad_u64_u32 v[20:21], null, v22, s26, 0
	v_add3_u32 v21, v21, v28, v23
	v_add_f64 v[14:15], v[26:27], v[14:15]
	v_add_f64 v[16:17], v[16:17], v[18:19]
	v_lshlrev_b64 v[18:19], 4, v[20:21]
	v_mul_f64 v[20:21], s[40:41], v[12:13]
	v_mul_f64 v[12:13], s[38:39], v[12:13]
	v_add_co_u32 v26, vcc_lo, s2, v18
	v_add_co_ci_u32_e64 v27, null, s3, v19, vcc_lo
	v_add_co_u32 v18, vcc_lo, v26, v0
	v_add_co_ci_u32_e64 v19, null, v27, v1, vcc_lo
	flat_store_dwordx4 v[18:19], v[14:17]
	flat_load_dwordx4 v[14:17], v[24:25] offset:256
	v_fma_f64 v[20:21], s[38:39], v[10:11], -v[20:21]
	v_fma_f64 v[12:13], s[40:41], v[10:11], v[12:13]
	s_waitcnt vmcnt(0) lgkmcnt(0)
	v_mul_f64 v[22:23], s[16:17], v[16:17]
	v_mul_f64 v[16:17], s[14:15], v[16:17]
	v_fma_f64 v[10:11], s[14:15], v[14:15], -v[22:23]
	v_fma_f64 v[14:15], s[16:17], v[14:15], v[16:17]
	v_mul_f64 v[16:17], s[40:41], v[8:9]
	v_mul_f64 v[8:9], s[38:39], v[8:9]
	v_add_f64 v[10:11], v[20:21], v[10:11]
	v_add_f64 v[12:13], v[12:13], v[14:15]
	v_add_co_u32 v14, vcc_lo, v30, s0
	v_add_co_ci_u32_e64 v15, null, s1, v31, vcc_lo
	v_fma_f64 v[16:17], s[38:39], v[6:7], -v[16:17]
	v_add_co_u32 v14, vcc_lo, v14, v0
	v_add_co_ci_u32_e64 v15, null, v15, v1, vcc_lo
	v_fma_f64 v[8:9], s[40:41], v[6:7], v[8:9]
	s_lshl_b64 s[0:1], s[26:27], 8
	flat_store_dwordx4 v[18:19], v[10:13] offset:256
	flat_load_dwordx4 v[10:13], v[14:15]
	s_waitcnt vmcnt(0) lgkmcnt(0)
	v_mul_f64 v[18:19], s[16:17], v[12:13]
	v_mul_f64 v[12:13], s[14:15], v[12:13]
	v_fma_f64 v[6:7], s[14:15], v[10:11], -v[18:19]
	v_fma_f64 v[10:11], s[16:17], v[10:11], v[12:13]
	v_add_f64 v[6:7], v[16:17], v[6:7]
	v_add_f64 v[8:9], v[8:9], v[10:11]
	v_add_co_u32 v10, vcc_lo, v26, s0
	v_add_co_ci_u32_e64 v11, null, s1, v27, vcc_lo
	v_add_co_u32 v0, vcc_lo, v10, v0
	v_add_co_ci_u32_e64 v1, null, v11, v1, vcc_lo
	v_mul_f64 v[10:11], s[40:41], v[4:5]
	v_mul_f64 v[4:5], s[38:39], v[4:5]
	v_add_co_u32 v20, vcc_lo, 0x100, v0
	v_add_co_ci_u32_e64 v21, null, 0, v1, vcc_lo
	flat_store_dwordx4 v[0:1], v[6:9]
	flat_load_dwordx4 v[6:9], v[14:15] offset:256
	v_fma_f64 v[10:11], s[38:39], v[2:3], -v[10:11]
	v_fma_f64 v[2:3], s[40:41], v[2:3], v[4:5]
	s_waitcnt vmcnt(0) lgkmcnt(0)
	v_mul_f64 v[12:13], s[16:17], v[8:9]
	v_mul_f64 v[8:9], s[14:15], v[8:9]
	v_fma_f64 v[4:5], s[14:15], v[6:7], -v[12:13]
	v_fma_f64 v[6:7], s[16:17], v[6:7], v[8:9]
	v_add_f64 v[4:5], v[10:11], v[4:5]
	v_add_f64 v[18:19], v[2:3], v[6:7]
	flat_store_dwordx2 v[0:1], v[4:5] offset:256
.LBB266_8:
	flat_store_dwordx2 v[20:21], v[18:19] offset:8
	s_endpgm
	.section	.rodata,"a",@progbits
	.p2align	6, 0x0
	.amdhsa_kernel _ZN12_GLOBAL__N_127rocblas_gemm_batched_kernelI19rocblas_complex_numIdELi16ELi16ELi32ELi32ELi8ELi32ELi8ELi8ELi32ELc67ELc84EKPKS2_S5_KPS2_EEvlllT_PT11_llSA_llS8_PT12_llPT13_lli
		.amdhsa_group_segment_fixed_size 8192
		.amdhsa_private_segment_fixed_size 0
		.amdhsa_kernarg_size 156
		.amdhsa_user_sgpr_count 6
		.amdhsa_user_sgpr_private_segment_buffer 1
		.amdhsa_user_sgpr_dispatch_ptr 0
		.amdhsa_user_sgpr_queue_ptr 0
		.amdhsa_user_sgpr_kernarg_segment_ptr 1
		.amdhsa_user_sgpr_dispatch_id 0
		.amdhsa_user_sgpr_flat_scratch_init 0
		.amdhsa_user_sgpr_private_segment_size 0
		.amdhsa_wavefront_size32 1
		.amdhsa_uses_dynamic_stack 0
		.amdhsa_system_sgpr_private_segment_wavefront_offset 0
		.amdhsa_system_sgpr_workgroup_id_x 1
		.amdhsa_system_sgpr_workgroup_id_y 1
		.amdhsa_system_sgpr_workgroup_id_z 1
		.amdhsa_system_sgpr_workgroup_info 0
		.amdhsa_system_vgpr_workitem_id 1
		.amdhsa_next_free_vgpr 162
		.amdhsa_next_free_sgpr 52
		.amdhsa_reserve_vcc 1
		.amdhsa_reserve_flat_scratch 0
		.amdhsa_float_round_mode_32 0
		.amdhsa_float_round_mode_16_64 0
		.amdhsa_float_denorm_mode_32 3
		.amdhsa_float_denorm_mode_16_64 3
		.amdhsa_dx10_clamp 1
		.amdhsa_ieee_mode 1
		.amdhsa_fp16_overflow 0
		.amdhsa_workgroup_processor_mode 1
		.amdhsa_memory_ordered 1
		.amdhsa_forward_progress 1
		.amdhsa_shared_vgpr_count 0
		.amdhsa_exception_fp_ieee_invalid_op 0
		.amdhsa_exception_fp_denorm_src 0
		.amdhsa_exception_fp_ieee_div_zero 0
		.amdhsa_exception_fp_ieee_overflow 0
		.amdhsa_exception_fp_ieee_underflow 0
		.amdhsa_exception_fp_ieee_inexact 0
		.amdhsa_exception_int_div_zero 0
	.end_amdhsa_kernel
	.section	.text._ZN12_GLOBAL__N_127rocblas_gemm_batched_kernelI19rocblas_complex_numIdELi16ELi16ELi32ELi32ELi8ELi32ELi8ELi8ELi32ELc67ELc84EKPKS2_S5_KPS2_EEvlllT_PT11_llSA_llS8_PT12_llPT13_lli,"axG",@progbits,_ZN12_GLOBAL__N_127rocblas_gemm_batched_kernelI19rocblas_complex_numIdELi16ELi16ELi32ELi32ELi8ELi32ELi8ELi8ELi32ELc67ELc84EKPKS2_S5_KPS2_EEvlllT_PT11_llSA_llS8_PT12_llPT13_lli,comdat
.Lfunc_end266:
	.size	_ZN12_GLOBAL__N_127rocblas_gemm_batched_kernelI19rocblas_complex_numIdELi16ELi16ELi32ELi32ELi8ELi32ELi8ELi8ELi32ELc67ELc84EKPKS2_S5_KPS2_EEvlllT_PT11_llSA_llS8_PT12_llPT13_lli, .Lfunc_end266-_ZN12_GLOBAL__N_127rocblas_gemm_batched_kernelI19rocblas_complex_numIdELi16ELi16ELi32ELi32ELi8ELi32ELi8ELi8ELi32ELc67ELc84EKPKS2_S5_KPS2_EEvlllT_PT11_llSA_llS8_PT12_llPT13_lli
                                        ; -- End function
	.set _ZN12_GLOBAL__N_127rocblas_gemm_batched_kernelI19rocblas_complex_numIdELi16ELi16ELi32ELi32ELi8ELi32ELi8ELi8ELi32ELc67ELc84EKPKS2_S5_KPS2_EEvlllT_PT11_llSA_llS8_PT12_llPT13_lli.num_vgpr, 162
	.set _ZN12_GLOBAL__N_127rocblas_gemm_batched_kernelI19rocblas_complex_numIdELi16ELi16ELi32ELi32ELi8ELi32ELi8ELi8ELi32ELc67ELc84EKPKS2_S5_KPS2_EEvlllT_PT11_llSA_llS8_PT12_llPT13_lli.num_agpr, 0
	.set _ZN12_GLOBAL__N_127rocblas_gemm_batched_kernelI19rocblas_complex_numIdELi16ELi16ELi32ELi32ELi8ELi32ELi8ELi8ELi32ELc67ELc84EKPKS2_S5_KPS2_EEvlllT_PT11_llSA_llS8_PT12_llPT13_lli.numbered_sgpr, 52
	.set _ZN12_GLOBAL__N_127rocblas_gemm_batched_kernelI19rocblas_complex_numIdELi16ELi16ELi32ELi32ELi8ELi32ELi8ELi8ELi32ELc67ELc84EKPKS2_S5_KPS2_EEvlllT_PT11_llSA_llS8_PT12_llPT13_lli.num_named_barrier, 0
	.set _ZN12_GLOBAL__N_127rocblas_gemm_batched_kernelI19rocblas_complex_numIdELi16ELi16ELi32ELi32ELi8ELi32ELi8ELi8ELi32ELc67ELc84EKPKS2_S5_KPS2_EEvlllT_PT11_llSA_llS8_PT12_llPT13_lli.private_seg_size, 0
	.set _ZN12_GLOBAL__N_127rocblas_gemm_batched_kernelI19rocblas_complex_numIdELi16ELi16ELi32ELi32ELi8ELi32ELi8ELi8ELi32ELc67ELc84EKPKS2_S5_KPS2_EEvlllT_PT11_llSA_llS8_PT12_llPT13_lli.uses_vcc, 1
	.set _ZN12_GLOBAL__N_127rocblas_gemm_batched_kernelI19rocblas_complex_numIdELi16ELi16ELi32ELi32ELi8ELi32ELi8ELi8ELi32ELc67ELc84EKPKS2_S5_KPS2_EEvlllT_PT11_llSA_llS8_PT12_llPT13_lli.uses_flat_scratch, 0
	.set _ZN12_GLOBAL__N_127rocblas_gemm_batched_kernelI19rocblas_complex_numIdELi16ELi16ELi32ELi32ELi8ELi32ELi8ELi8ELi32ELc67ELc84EKPKS2_S5_KPS2_EEvlllT_PT11_llSA_llS8_PT12_llPT13_lli.has_dyn_sized_stack, 0
	.set _ZN12_GLOBAL__N_127rocblas_gemm_batched_kernelI19rocblas_complex_numIdELi16ELi16ELi32ELi32ELi8ELi32ELi8ELi8ELi32ELc67ELc84EKPKS2_S5_KPS2_EEvlllT_PT11_llSA_llS8_PT12_llPT13_lli.has_recursion, 0
	.set _ZN12_GLOBAL__N_127rocblas_gemm_batched_kernelI19rocblas_complex_numIdELi16ELi16ELi32ELi32ELi8ELi32ELi8ELi8ELi32ELc67ELc84EKPKS2_S5_KPS2_EEvlllT_PT11_llSA_llS8_PT12_llPT13_lli.has_indirect_call, 0
	.section	.AMDGPU.csdata,"",@progbits
; Kernel info:
; codeLenInByte = 3556
; TotalNumSgprs: 54
; NumVgprs: 162
; ScratchSize: 0
; MemoryBound: 0
; FloatMode: 240
; IeeeMode: 1
; LDSByteSize: 8192 bytes/workgroup (compile time only)
; SGPRBlocks: 0
; VGPRBlocks: 20
; NumSGPRsForWavesPerEU: 54
; NumVGPRsForWavesPerEU: 162
; Occupancy: 5
; WaveLimiterHint : 1
; COMPUTE_PGM_RSRC2:SCRATCH_EN: 0
; COMPUTE_PGM_RSRC2:USER_SGPR: 6
; COMPUTE_PGM_RSRC2:TRAP_HANDLER: 0
; COMPUTE_PGM_RSRC2:TGID_X_EN: 1
; COMPUTE_PGM_RSRC2:TGID_Y_EN: 1
; COMPUTE_PGM_RSRC2:TGID_Z_EN: 1
; COMPUTE_PGM_RSRC2:TIDIG_COMP_CNT: 1
	.section	.text._ZN12_GLOBAL__N_127rocblas_gemm_batched_kernelI19rocblas_complex_numIdELi16ELi16ELi32ELi32ELi8ELi32ELi8ELi8ELi32ELc78ELc67EKPKS2_S5_KPS2_EEvlllT_PT11_llSA_llS8_PT12_llPT13_lli,"axG",@progbits,_ZN12_GLOBAL__N_127rocblas_gemm_batched_kernelI19rocblas_complex_numIdELi16ELi16ELi32ELi32ELi8ELi32ELi8ELi8ELi32ELc78ELc67EKPKS2_S5_KPS2_EEvlllT_PT11_llSA_llS8_PT12_llPT13_lli,comdat
	.globl	_ZN12_GLOBAL__N_127rocblas_gemm_batched_kernelI19rocblas_complex_numIdELi16ELi16ELi32ELi32ELi8ELi32ELi8ELi8ELi32ELc78ELc67EKPKS2_S5_KPS2_EEvlllT_PT11_llSA_llS8_PT12_llPT13_lli ; -- Begin function _ZN12_GLOBAL__N_127rocblas_gemm_batched_kernelI19rocblas_complex_numIdELi16ELi16ELi32ELi32ELi8ELi32ELi8ELi8ELi32ELc78ELc67EKPKS2_S5_KPS2_EEvlllT_PT11_llSA_llS8_PT12_llPT13_lli
	.p2align	8
	.type	_ZN12_GLOBAL__N_127rocblas_gemm_batched_kernelI19rocblas_complex_numIdELi16ELi16ELi32ELi32ELi8ELi32ELi8ELi8ELi32ELc78ELc67EKPKS2_S5_KPS2_EEvlllT_PT11_llSA_llS8_PT12_llPT13_lli,@function
_ZN12_GLOBAL__N_127rocblas_gemm_batched_kernelI19rocblas_complex_numIdELi16ELi16ELi32ELi32ELi8ELi32ELi8ELi8ELi32ELc78ELc67EKPKS2_S5_KPS2_EEvlllT_PT11_llSA_llS8_PT12_llPT13_lli: ; @_ZN12_GLOBAL__N_127rocblas_gemm_batched_kernelI19rocblas_complex_numIdELi16ELi16ELi32ELi32ELi8ELi32ELi8ELi8ELi32ELc78ELc67EKPKS2_S5_KPS2_EEvlllT_PT11_llSA_llS8_PT12_llPT13_lli
; %bb.0:
	s_clause 0x1
	s_load_dwordx16 s[12:27], s[4:5], 0x50
	s_load_dwordx16 s[36:51], s[4:5], 0x10
	s_mov_b32 s9, 0
	s_mov_b32 s10, s7
	s_lshl_b64 s[0:1], s[8:9], 3
	s_waitcnt lgkmcnt(0)
	s_add_u32 s2, s18, s0
	s_addc_u32 s3, s19, s1
	s_add_u32 s8, s24, s0
	s_addc_u32 s9, s25, s1
	s_load_dwordx2 s[2:3], s[2:3], 0x0
	s_load_dwordx2 s[8:9], s[8:9], 0x0
	v_cmp_lt_i64_e64 s18, s[36:37], 1
	s_ashr_i32 s7, s6, 31
	s_ashr_i32 s11, s10, 31
	s_lshl_b64 s[6:7], s[6:7], 5
	s_lshl_b64 s[10:11], s[10:11], 5
	s_and_b32 vcc_lo, exec_lo, s18
	s_cbranch_vccnz .LBB267_3
; %bb.1:
	v_lshl_add_u32 v6, v1, 4, v0
	v_and_b32_e32 v8, 7, v0
	s_add_u32 s18, s42, s0
	s_addc_u32 s19, s43, s1
	s_add_u32 s0, s48, s0
	v_lshrrev_b32_e32 v10, 3, v6
	v_lshrrev_b32_e32 v9, 5, v6
	s_load_dwordx2 s[18:19], s[18:19], 0x0
	s_addc_u32 s1, s49, s1
	v_and_b32_e32 v11, 31, v6
	v_add_co_u32 v4, s24, v10, s10
	v_add_co_ci_u32_e64 v5, null, 0, s11, s24
	v_mad_u64_u32 v[2:3], null, s44, v9, s[6:7]
	s_load_dwordx2 s[0:1], s[0:1], 0x0
	v_mad_u64_u32 v[4:5], null, s50, v8, v[4:5]
	v_lshlrev_b32_e32 v12, 4, v8
	s_lshl_b64 s[24:25], s[46:47], 4
	v_mov_b32_e32 v18, 0
	v_mov_b32_e32 v14, 0
	v_lshlrev_b32_e32 v22, 4, v0
	v_lshl_or_b32 v10, v10, 7, v12
	v_mad_u64_u32 v[6:7], null, s45, v9, v[3:4]
	v_mov_b32_e32 v3, v5
	v_add_co_u32 v5, vcc_lo, v2, v11
	v_lshlrev_b32_e32 v7, 4, v11
	s_waitcnt lgkmcnt(0)
	s_add_u32 s18, s18, s24
	v_mad_u64_u32 v[2:3], null, s51, v8, v[3:4]
	v_add_co_ci_u32_e64 v6, null, 0, v6, vcc_lo
	v_lshl_or_b32 v24, v9, 9, v7
	s_addc_u32 s19, s19, s25
	s_lshl_b64 s[12:13], s[12:13], 4
	v_lshlrev_b64 v[6:7], 4, v[5:6]
	v_mov_b32_e32 v5, v2
	v_add_nc_u32_e32 v25, 0x1000, v10
	v_mov_b32_e32 v2, 0
	v_mov_b32_e32 v8, 0
	;; [unrolled: 1-line block ×3, first 2 shown]
	v_lshlrev_b64 v[20:21], 4, v[4:5]
	v_add_co_u32 v16, vcc_lo, s18, v6
	v_add_co_ci_u32_e64 v17, null, s19, v7, vcc_lo
	s_lshl_b64 s[18:19], s[44:45], 7
	s_add_u32 s0, s0, s12
	s_addc_u32 s1, s1, s13
	v_add_co_u32 v20, vcc_lo, s0, v20
	v_mov_b32_e32 v4, 0
	v_mov_b32_e32 v6, 0
	;; [unrolled: 1-line block ×3, first 2 shown]
	v_lshl_add_u32 v23, v1, 7, 0x1000
	v_mov_b32_e32 v5, 0
	v_mov_b32_e32 v3, 0
	;; [unrolled: 1-line block ×8, first 2 shown]
	v_add_co_ci_u32_e64 v21, null, s1, v21, vcc_lo
	s_lshl_b64 s[12:13], s[50:51], 7
	s_mov_b64 s[24:25], 0
.LBB267_2:                              ; =>This Inner Loop Header: Depth=1
	flat_load_dwordx4 v[26:29], v[16:17]
	s_add_u32 s24, s24, 8
	s_addc_u32 s25, s25, 0
	v_add_co_u32 v16, vcc_lo, v16, s18
	v_cmp_lt_i64_e64 s0, s[24:25], s[36:37]
	v_add_co_ci_u32_e64 v17, null, s19, v17, vcc_lo
	s_and_b32 vcc_lo, exec_lo, s0
	s_waitcnt vmcnt(0) lgkmcnt(0)
	ds_write2_b64 v24, v[26:27], v[28:29] offset1:1
	flat_load_dwordx4 v[26:29], v[20:21]
	v_add_co_u32 v20, s0, v20, s12
	v_add_co_ci_u32_e64 v21, null, s13, v21, s0
	s_waitcnt vmcnt(0) lgkmcnt(0)
	v_xor_b32_e32 v29, 0x80000000, v29
	ds_write_b128 v25, v[26:29]
	s_waitcnt lgkmcnt(0)
	s_barrier
	buffer_gl0_inv
	ds_read_b128 v[26:29], v22
	ds_read_b128 v[30:33], v22 offset:256
	ds_read_b128 v[34:37], v23
	ds_read_b128 v[38:41], v23 offset:16
	ds_read_b128 v[42:45], v23 offset:2048
	;; [unrolled: 1-line block ×28, first 2 shown]
	s_waitcnt lgkmcnt(28)
	v_mul_f64 v[150:151], v[36:37], v[28:29]
	v_mul_f64 v[154:155], v[36:37], v[32:33]
	;; [unrolled: 1-line block ×4, first 2 shown]
	v_fma_f64 v[150:151], v[34:35], v[26:27], -v[150:151]
	v_fma_f64 v[34:35], v[34:35], v[30:31], -v[154:155]
	s_waitcnt lgkmcnt(26)
	v_mul_f64 v[154:155], v[44:45], v[28:29]
	v_mul_f64 v[28:29], v[42:43], v[28:29]
	v_fma_f64 v[152:153], v[36:37], v[26:27], v[152:153]
	v_fma_f64 v[36:37], v[36:37], v[30:31], v[156:157]
	v_add_f64 v[14:15], v[14:15], v[150:151]
	v_add_f64 v[10:11], v[10:11], v[34:35]
	v_fma_f64 v[154:155], v[42:43], v[26:27], -v[154:155]
	v_fma_f64 v[156:157], v[44:45], v[26:27], v[28:29]
	v_mul_f64 v[26:27], v[44:45], v[32:33]
	v_mul_f64 v[28:29], v[42:43], v[32:33]
	v_add_f64 v[18:19], v[152:153], v[18:19]
	v_add_f64 v[12:13], v[36:37], v[12:13]
	s_waitcnt lgkmcnt(16)
	v_mul_f64 v[34:35], v[64:65], v[84:85]
	v_mul_f64 v[36:37], v[62:63], v[84:85]
	s_waitcnt lgkmcnt(15)
	v_mul_f64 v[150:151], v[62:63], v[88:89]
	s_waitcnt lgkmcnt(12)
	v_mul_f64 v[152:153], v[98:99], v[96:97]
	v_add_f64 v[6:7], v[6:7], v[154:155]
	v_add_f64 v[8:9], v[156:157], v[8:9]
	v_fma_f64 v[32:33], v[42:43], v[30:31], -v[26:27]
	v_fma_f64 v[30:31], v[44:45], v[30:31], v[28:29]
	v_mul_f64 v[26:27], v[40:41], v[52:53]
	v_mul_f64 v[28:29], v[38:39], v[52:53]
	;; [unrolled: 1-line block ×4, first 2 shown]
	v_fma_f64 v[34:35], v[62:63], v[82:83], -v[34:35]
	v_fma_f64 v[36:37], v[64:65], v[82:83], v[36:37]
	v_add_f64 v[2:3], v[2:3], v[32:33]
	v_add_f64 v[4:5], v[30:31], v[4:5]
	v_fma_f64 v[158:159], v[38:39], v[50:51], -v[26:27]
	v_fma_f64 v[160:161], v[40:41], v[50:51], v[28:29]
	v_mul_f64 v[26:27], v[48:49], v[52:53]
	v_mul_f64 v[28:29], v[46:47], v[52:53]
	v_fma_f64 v[38:39], v[38:39], v[54:55], -v[42:43]
	v_fma_f64 v[40:41], v[40:41], v[54:55], v[44:45]
	v_mul_f64 v[52:53], v[58:59], v[72:73]
	v_mul_f64 v[30:31], v[80:81], v[84:85]
	;; [unrolled: 1-line block ×4, first 2 shown]
	v_add_f64 v[14:15], v[14:15], v[158:159]
	v_add_f64 v[18:19], v[160:161], v[18:19]
	v_fma_f64 v[42:43], v[46:47], v[50:51], -v[26:27]
	v_fma_f64 v[44:45], v[48:49], v[50:51], v[28:29]
	v_mul_f64 v[26:27], v[48:49], v[56:57]
	v_mul_f64 v[28:29], v[46:47], v[56:57]
	;; [unrolled: 1-line block ×3, first 2 shown]
	v_fma_f64 v[52:53], v[60:61], v[70:71], v[52:53]
	v_add_f64 v[10:11], v[10:11], v[38:39]
	v_add_f64 v[12:13], v[40:41], v[12:13]
	s_waitcnt lgkmcnt(10)
	v_mul_f64 v[38:39], v[108:109], v[92:93]
	v_mul_f64 v[40:41], v[106:107], v[92:93]
	v_fma_f64 v[30:31], v[78:79], v[82:83], -v[30:31]
	v_fma_f64 v[32:33], v[80:81], v[82:83], v[32:33]
	s_waitcnt lgkmcnt(8)
	v_mul_f64 v[82:83], v[112:113], v[116:117]
	v_add_f64 v[6:7], v[6:7], v[42:43]
	v_add_f64 v[8:9], v[44:45], v[8:9]
	v_fma_f64 v[46:47], v[46:47], v[54:55], -v[26:27]
	v_fma_f64 v[48:49], v[48:49], v[54:55], v[28:29]
	v_mul_f64 v[26:27], v[60:61], v[68:69]
	v_mul_f64 v[28:29], v[58:59], v[68:69]
	v_fma_f64 v[50:51], v[58:59], v[70:71], -v[50:51]
	v_mul_f64 v[42:43], v[108:109], v[96:97]
	v_mul_f64 v[44:45], v[106:107], v[96:97]
	v_add_f64 v[12:13], v[52:53], v[12:13]
	s_waitcnt lgkmcnt(7)
	v_mul_f64 v[52:53], v[110:111], v[120:121]
	v_fma_f64 v[38:39], v[106:107], v[90:91], -v[38:39]
	v_fma_f64 v[40:41], v[108:109], v[90:91], v[40:41]
	v_add_f64 v[2:3], v[2:3], v[46:47]
	v_add_f64 v[4:5], v[48:49], v[4:5]
	v_fma_f64 v[54:55], v[58:59], v[66:67], -v[26:27]
	v_fma_f64 v[56:57], v[60:61], v[66:67], v[28:29]
	v_mul_f64 v[26:27], v[76:77], v[68:69]
	v_mul_f64 v[28:29], v[74:75], v[68:69]
	;; [unrolled: 1-line block ×3, first 2 shown]
	v_add_f64 v[10:11], v[10:11], v[50:51]
	v_mul_f64 v[46:47], v[104:105], v[116:117]
	v_mul_f64 v[48:49], v[102:103], v[116:117]
	;; [unrolled: 1-line block ×3, first 2 shown]
	v_fma_f64 v[42:43], v[106:107], v[94:95], -v[42:43]
	v_fma_f64 v[44:45], v[108:109], v[94:95], v[44:45]
	v_fma_f64 v[52:53], v[112:113], v[118:119], v[52:53]
	v_add_f64 v[14:15], v[14:15], v[54:55]
	v_add_f64 v[18:19], v[56:57], v[18:19]
	v_fma_f64 v[58:59], v[74:75], v[66:67], -v[26:27]
	v_fma_f64 v[60:61], v[76:77], v[66:67], v[28:29]
	v_mul_f64 v[66:67], v[76:77], v[72:73]
	v_mul_f64 v[72:73], v[64:65], v[88:89]
	v_fma_f64 v[68:69], v[76:77], v[70:71], v[68:69]
	v_mul_f64 v[76:77], v[100:101], v[92:93]
	v_fma_f64 v[64:65], v[64:65], v[86:87], v[150:151]
	v_mul_f64 v[92:93], v[102:103], v[120:121]
	s_waitcnt lgkmcnt(4)
	v_mul_f64 v[54:55], v[132:133], v[124:125]
	v_mul_f64 v[56:57], v[130:131], v[124:125]
	v_fma_f64 v[46:47], v[102:103], v[114:115], -v[46:47]
	v_fma_f64 v[48:49], v[104:105], v[114:115], v[48:49]
	v_fma_f64 v[50:51], v[110:111], v[118:119], -v[50:51]
	ds_read_b128 v[26:29], v22 offset:3840
	s_waitcnt lgkmcnt(0)
	s_barrier
	buffer_gl0_inv
	v_add_f64 v[14:15], v[14:15], v[34:35]
	v_add_f64 v[18:19], v[36:37], v[18:19]
	;; [unrolled: 1-line block ×4, first 2 shown]
	v_fma_f64 v[66:67], v[74:75], v[70:71], -v[66:67]
	v_mul_f64 v[70:71], v[80:81], v[88:89]
	v_mul_f64 v[74:75], v[78:79], v[88:89]
	;; [unrolled: 1-line block ×3, first 2 shown]
	v_fma_f64 v[62:63], v[62:63], v[86:87], -v[72:73]
	v_add_f64 v[4:5], v[68:69], v[4:5]
	v_mul_f64 v[72:73], v[104:105], v[120:121]
	v_mul_f64 v[96:97], v[110:111], v[116:117]
	v_fma_f64 v[68:69], v[100:101], v[90:91], v[84:85]
	v_add_f64 v[12:13], v[64:65], v[12:13]
	v_mul_f64 v[58:59], v[132:133], v[128:129]
	v_mul_f64 v[60:61], v[130:131], v[128:129]
	;; [unrolled: 1-line block ×5, first 2 shown]
	v_fma_f64 v[54:55], v[130:131], v[122:123], -v[54:55]
	v_fma_f64 v[56:57], v[132:133], v[122:123], v[56:57]
	v_add_f64 v[6:7], v[6:7], v[30:31]
	v_add_f64 v[8:9], v[32:33], v[8:9]
	;; [unrolled: 1-line block ×3, first 2 shown]
	v_fma_f64 v[70:71], v[78:79], v[86:87], -v[70:71]
	v_fma_f64 v[74:75], v[80:81], v[86:87], v[74:75]
	v_fma_f64 v[66:67], v[98:99], v[90:91], -v[76:77]
	v_fma_f64 v[76:77], v[98:99], v[94:95], -v[88:89]
	v_fma_f64 v[78:79], v[100:101], v[94:95], v[152:153]
	v_add_f64 v[10:11], v[10:11], v[62:63]
	v_mul_f64 v[30:31], v[140:141], v[124:125]
	v_mul_f64 v[32:33], v[138:139], v[124:125]
	v_fma_f64 v[80:81], v[112:113], v[114:115], v[96:97]
	v_add_f64 v[18:19], v[68:69], v[18:19]
	v_mul_f64 v[62:63], v[136:137], v[148:149]
	v_fma_f64 v[58:59], v[130:131], v[126:127], -v[58:59]
	v_fma_f64 v[60:61], v[132:133], v[126:127], v[60:61]
	v_fma_f64 v[34:35], v[138:139], v[126:127], -v[34:35]
	v_fma_f64 v[36:37], v[140:141], v[126:127], v[36:37]
	v_add_f64 v[6:7], v[6:7], v[38:39]
	v_add_f64 v[8:9], v[40:41], v[8:9]
	v_mul_f64 v[38:39], v[136:137], v[28:29]
	v_add_f64 v[2:3], v[2:3], v[70:71]
	v_add_f64 v[4:5], v[74:75], v[4:5]
	v_fma_f64 v[70:71], v[102:103], v[118:119], -v[72:73]
	v_fma_f64 v[72:73], v[104:105], v[118:119], v[92:93]
	v_fma_f64 v[74:75], v[110:111], v[114:115], -v[82:83]
	v_add_f64 v[14:15], v[14:15], v[66:67]
	v_add_f64 v[10:11], v[10:11], v[76:77]
	;; [unrolled: 1-line block ×3, first 2 shown]
	v_mul_f64 v[40:41], v[134:135], v[28:29]
	v_mul_f64 v[66:67], v[144:145], v[28:29]
	;; [unrolled: 1-line block ×3, first 2 shown]
	v_fma_f64 v[30:31], v[138:139], v[122:123], -v[30:31]
	v_fma_f64 v[32:33], v[140:141], v[122:123], v[32:33]
	v_add_f64 v[18:19], v[48:49], v[18:19]
	v_fma_f64 v[48:49], v[136:137], v[146:147], v[64:65]
	v_add_f64 v[8:9], v[80:81], v[8:9]
	v_fma_f64 v[38:39], v[134:135], v[26:27], -v[38:39]
	v_add_f64 v[2:3], v[2:3], v[42:43]
	v_add_f64 v[4:5], v[44:45], v[4:5]
	v_mul_f64 v[42:43], v[144:145], v[148:149]
	v_mul_f64 v[44:45], v[142:143], v[148:149]
	v_add_f64 v[6:7], v[6:7], v[74:75]
	v_add_f64 v[14:15], v[14:15], v[46:47]
	;; [unrolled: 1-line block ×4, first 2 shown]
	v_fma_f64 v[46:47], v[134:135], v[146:147], -v[62:63]
	v_fma_f64 v[40:41], v[136:137], v[26:27], v[40:41]
	v_add_f64 v[18:19], v[56:57], v[18:19]
	v_add_f64 v[8:9], v[32:33], v[8:9]
	;; [unrolled: 1-line block ×4, first 2 shown]
	v_fma_f64 v[42:43], v[142:143], v[146:147], -v[42:43]
	v_fma_f64 v[44:45], v[144:145], v[146:147], v[44:45]
	v_fma_f64 v[50:51], v[142:143], v[26:27], -v[66:67]
	v_fma_f64 v[26:27], v[144:145], v[26:27], v[28:29]
	v_add_f64 v[14:15], v[14:15], v[54:55]
	v_add_f64 v[10:11], v[10:11], v[58:59]
	;; [unrolled: 1-line block ×14, first 2 shown]
	s_cbranch_vccnz .LBB267_2
	s_branch .LBB267_4
.LBB267_3:
	v_mov_b32_e32 v14, 0
	v_mov_b32_e32 v18, 0
	;; [unrolled: 1-line block ×16, first 2 shown]
.LBB267_4:
	s_load_dwordx2 s[0:1], s[4:5], 0x90
	v_cmp_neq_f64_e64 s4, s[14:15], 0
	v_cmp_neq_f64_e64 s5, s[16:17], 0
	v_add_co_u32 v22, s10, s10, v1
	v_add_co_ci_u32_e64 v23, null, s11, 0, s10
	s_waitcnt lgkmcnt(0)
	s_lshl_b64 s[0:1], s[0:1], 4
	s_add_u32 s0, s8, s0
	s_addc_u32 s1, s9, s1
	s_or_b32 s4, s4, s5
	v_add_co_u32 v0, s5, s6, v0
	v_add_co_ci_u32_e64 v1, null, s7, 0, s5
	s_and_b32 vcc_lo, exec_lo, s4
	s_cbranch_vccnz .LBB267_6
; %bb.5:
	v_mul_f64 v[20:21], s[40:41], v[18:19]
	v_mul_f64 v[26:27], s[38:39], v[18:19]
	;; [unrolled: 1-line block ×4, first 2 shown]
	v_mul_lo_u32 v24, v23, s26
	v_mul_lo_u32 v25, v22, s27
	v_mad_u64_u32 v[16:17], null, v22, s26, 0
	v_mul_f64 v[28:29], s[40:41], v[12:13]
	v_mul_f64 v[30:31], s[38:39], v[12:13]
	;; [unrolled: 1-line block ×4, first 2 shown]
	s_lshl_b64 s[4:5], s[26:27], 8
	v_lshlrev_b64 v[40:41], 4, v[0:1]
	v_add3_u32 v17, v17, v25, v24
	v_lshlrev_b64 v[16:17], 4, v[16:17]
	v_fma_f64 v[24:25], s[38:39], v[14:15], -v[20:21]
	v_fma_f64 v[26:27], s[40:41], v[14:15], v[26:27]
	v_fma_f64 v[36:37], s[38:39], v[2:3], -v[36:37]
	v_add_co_u32 v42, vcc_lo, s0, v16
	v_add_co_ci_u32_e64 v43, null, s1, v17, vcc_lo
	v_fma_f64 v[16:17], s[40:41], v[2:3], v[38:39]
	v_fma_f64 v[28:29], s[38:39], v[10:11], -v[28:29]
	v_fma_f64 v[30:31], s[40:41], v[10:11], v[30:31]
	v_fma_f64 v[32:33], s[38:39], v[6:7], -v[32:33]
	v_fma_f64 v[34:35], s[40:41], v[6:7], v[34:35]
	v_add_co_u32 v20, vcc_lo, v42, s4
	v_add_co_ci_u32_e64 v21, null, s5, v43, vcc_lo
	v_add_co_u32 v38, vcc_lo, v20, v40
	v_add_co_ci_u32_e64 v39, null, v21, v41, vcc_lo
	v_add_co_u32 v40, vcc_lo, v42, v40
	v_add_co_ci_u32_e64 v41, null, v43, v41, vcc_lo
	v_add_co_u32 v20, vcc_lo, 0x100, v38
	v_add_co_ci_u32_e64 v21, null, 0, v39, vcc_lo
	flat_store_dwordx4 v[40:41], v[24:27]
	flat_store_dwordx4 v[40:41], v[28:31] offset:256
	flat_store_dwordx4 v[38:39], v[32:35]
	flat_store_dwordx2 v[38:39], v[36:37] offset:256
	s_cbranch_execz .LBB267_7
	s_branch .LBB267_8
.LBB267_6:
                                        ; implicit-def: $vgpr16_vgpr17
                                        ; implicit-def: $vgpr20_vgpr21
.LBB267_7:
	v_mul_lo_u32 v20, v23, s20
	v_mul_lo_u32 v21, v22, s21
	v_mad_u64_u32 v[16:17], null, v22, s20, 0
	s_lshl_b64 s[4:5], s[22:23], 4
	v_lshlrev_b64 v[0:1], 4, v[0:1]
	s_add_u32 s2, s2, s4
	s_addc_u32 s3, s3, s5
	v_add3_u32 v17, v17, v21, v20
	v_lshlrev_b64 v[16:17], 4, v[16:17]
	v_add_co_u32 v30, vcc_lo, s2, v16
	v_add_co_ci_u32_e64 v31, null, s3, v17, vcc_lo
	v_mul_f64 v[16:17], s[40:41], v[18:19]
	v_add_co_u32 v20, vcc_lo, v30, v0
	v_add_co_ci_u32_e64 v21, null, v31, v1, vcc_lo
	v_mul_f64 v[18:19], s[38:39], v[18:19]
	flat_load_dwordx4 v[24:27], v[20:21]
	v_fma_f64 v[16:17], s[38:39], v[14:15], -v[16:17]
	v_fma_f64 v[18:19], s[40:41], v[14:15], v[18:19]
	s_waitcnt vmcnt(0) lgkmcnt(0)
	v_mul_f64 v[28:29], s[16:17], v[26:27]
	v_mul_f64 v[26:27], s[14:15], v[26:27]
	v_fma_f64 v[14:15], s[14:15], v[24:25], -v[28:29]
	v_fma_f64 v[24:25], s[16:17], v[24:25], v[26:27]
	v_mul_lo_u32 v26, v23, s26
	v_mul_lo_u32 v27, v22, s27
	v_mad_u64_u32 v[22:23], null, v22, s26, 0
	v_add3_u32 v23, v23, v27, v26
	v_add_f64 v[14:15], v[16:17], v[14:15]
	v_add_f64 v[16:17], v[18:19], v[24:25]
	v_lshlrev_b64 v[18:19], 4, v[22:23]
	v_add_co_u32 v24, vcc_lo, s0, v18
	v_add_co_ci_u32_e64 v25, null, s1, v19, vcc_lo
	s_lshl_b64 s[0:1], s[20:21], 8
	v_add_co_u32 v18, vcc_lo, v24, v0
	v_add_co_ci_u32_e64 v19, null, v25, v1, vcc_lo
	flat_store_dwordx4 v[18:19], v[14:17]
	flat_load_dwordx4 v[14:17], v[20:21] offset:256
	v_mul_f64 v[20:21], s[40:41], v[12:13]
	v_mul_f64 v[12:13], s[38:39], v[12:13]
	v_fma_f64 v[20:21], s[38:39], v[10:11], -v[20:21]
	v_fma_f64 v[12:13], s[40:41], v[10:11], v[12:13]
	s_waitcnt vmcnt(0) lgkmcnt(0)
	v_mul_f64 v[22:23], s[16:17], v[16:17]
	v_mul_f64 v[16:17], s[14:15], v[16:17]
	v_fma_f64 v[10:11], s[14:15], v[14:15], -v[22:23]
	v_fma_f64 v[14:15], s[16:17], v[14:15], v[16:17]
	v_mul_f64 v[16:17], s[40:41], v[8:9]
	v_mul_f64 v[8:9], s[38:39], v[8:9]
	v_add_f64 v[10:11], v[20:21], v[10:11]
	v_add_f64 v[12:13], v[12:13], v[14:15]
	v_add_co_u32 v14, vcc_lo, v30, s0
	v_add_co_ci_u32_e64 v15, null, s1, v31, vcc_lo
	v_fma_f64 v[16:17], s[38:39], v[6:7], -v[16:17]
	v_add_co_u32 v14, vcc_lo, v14, v0
	v_add_co_ci_u32_e64 v15, null, v15, v1, vcc_lo
	v_fma_f64 v[8:9], s[40:41], v[6:7], v[8:9]
	s_lshl_b64 s[0:1], s[26:27], 8
	flat_store_dwordx4 v[18:19], v[10:13] offset:256
	flat_load_dwordx4 v[10:13], v[14:15]
	s_waitcnt vmcnt(0) lgkmcnt(0)
	v_mul_f64 v[18:19], s[16:17], v[12:13]
	v_mul_f64 v[12:13], s[14:15], v[12:13]
	v_fma_f64 v[6:7], s[14:15], v[10:11], -v[18:19]
	v_fma_f64 v[10:11], s[16:17], v[10:11], v[12:13]
	v_add_f64 v[6:7], v[16:17], v[6:7]
	v_add_f64 v[8:9], v[8:9], v[10:11]
	v_add_co_u32 v10, vcc_lo, v24, s0
	v_add_co_ci_u32_e64 v11, null, s1, v25, vcc_lo
	v_add_co_u32 v0, vcc_lo, v10, v0
	v_add_co_ci_u32_e64 v1, null, v11, v1, vcc_lo
	v_mul_f64 v[10:11], s[40:41], v[4:5]
	v_mul_f64 v[4:5], s[38:39], v[4:5]
	v_add_co_u32 v20, vcc_lo, 0x100, v0
	v_add_co_ci_u32_e64 v21, null, 0, v1, vcc_lo
	flat_store_dwordx4 v[0:1], v[6:9]
	flat_load_dwordx4 v[6:9], v[14:15] offset:256
	v_fma_f64 v[10:11], s[38:39], v[2:3], -v[10:11]
	v_fma_f64 v[2:3], s[40:41], v[2:3], v[4:5]
	s_waitcnt vmcnt(0) lgkmcnt(0)
	v_mul_f64 v[12:13], s[16:17], v[8:9]
	v_mul_f64 v[8:9], s[14:15], v[8:9]
	v_fma_f64 v[4:5], s[14:15], v[6:7], -v[12:13]
	v_fma_f64 v[6:7], s[16:17], v[6:7], v[8:9]
	v_add_f64 v[4:5], v[10:11], v[4:5]
	v_add_f64 v[16:17], v[2:3], v[6:7]
	flat_store_dwordx2 v[0:1], v[4:5] offset:256
.LBB267_8:
	flat_store_dwordx2 v[20:21], v[16:17] offset:8
	s_endpgm
	.section	.rodata,"a",@progbits
	.p2align	6, 0x0
	.amdhsa_kernel _ZN12_GLOBAL__N_127rocblas_gemm_batched_kernelI19rocblas_complex_numIdELi16ELi16ELi32ELi32ELi8ELi32ELi8ELi8ELi32ELc78ELc67EKPKS2_S5_KPS2_EEvlllT_PT11_llSA_llS8_PT12_llPT13_lli
		.amdhsa_group_segment_fixed_size 8192
		.amdhsa_private_segment_fixed_size 0
		.amdhsa_kernarg_size 156
		.amdhsa_user_sgpr_count 6
		.amdhsa_user_sgpr_private_segment_buffer 1
		.amdhsa_user_sgpr_dispatch_ptr 0
		.amdhsa_user_sgpr_queue_ptr 0
		.amdhsa_user_sgpr_kernarg_segment_ptr 1
		.amdhsa_user_sgpr_dispatch_id 0
		.amdhsa_user_sgpr_flat_scratch_init 0
		.amdhsa_user_sgpr_private_segment_size 0
		.amdhsa_wavefront_size32 1
		.amdhsa_uses_dynamic_stack 0
		.amdhsa_system_sgpr_private_segment_wavefront_offset 0
		.amdhsa_system_sgpr_workgroup_id_x 1
		.amdhsa_system_sgpr_workgroup_id_y 1
		.amdhsa_system_sgpr_workgroup_id_z 1
		.amdhsa_system_sgpr_workgroup_info 0
		.amdhsa_system_vgpr_workitem_id 1
		.amdhsa_next_free_vgpr 162
		.amdhsa_next_free_sgpr 52
		.amdhsa_reserve_vcc 1
		.amdhsa_reserve_flat_scratch 0
		.amdhsa_float_round_mode_32 0
		.amdhsa_float_round_mode_16_64 0
		.amdhsa_float_denorm_mode_32 3
		.amdhsa_float_denorm_mode_16_64 3
		.amdhsa_dx10_clamp 1
		.amdhsa_ieee_mode 1
		.amdhsa_fp16_overflow 0
		.amdhsa_workgroup_processor_mode 1
		.amdhsa_memory_ordered 1
		.amdhsa_forward_progress 1
		.amdhsa_shared_vgpr_count 0
		.amdhsa_exception_fp_ieee_invalid_op 0
		.amdhsa_exception_fp_denorm_src 0
		.amdhsa_exception_fp_ieee_div_zero 0
		.amdhsa_exception_fp_ieee_overflow 0
		.amdhsa_exception_fp_ieee_underflow 0
		.amdhsa_exception_fp_ieee_inexact 0
		.amdhsa_exception_int_div_zero 0
	.end_amdhsa_kernel
	.section	.text._ZN12_GLOBAL__N_127rocblas_gemm_batched_kernelI19rocblas_complex_numIdELi16ELi16ELi32ELi32ELi8ELi32ELi8ELi8ELi32ELc78ELc67EKPKS2_S5_KPS2_EEvlllT_PT11_llSA_llS8_PT12_llPT13_lli,"axG",@progbits,_ZN12_GLOBAL__N_127rocblas_gemm_batched_kernelI19rocblas_complex_numIdELi16ELi16ELi32ELi32ELi8ELi32ELi8ELi8ELi32ELc78ELc67EKPKS2_S5_KPS2_EEvlllT_PT11_llSA_llS8_PT12_llPT13_lli,comdat
.Lfunc_end267:
	.size	_ZN12_GLOBAL__N_127rocblas_gemm_batched_kernelI19rocblas_complex_numIdELi16ELi16ELi32ELi32ELi8ELi32ELi8ELi8ELi32ELc78ELc67EKPKS2_S5_KPS2_EEvlllT_PT11_llSA_llS8_PT12_llPT13_lli, .Lfunc_end267-_ZN12_GLOBAL__N_127rocblas_gemm_batched_kernelI19rocblas_complex_numIdELi16ELi16ELi32ELi32ELi8ELi32ELi8ELi8ELi32ELc78ELc67EKPKS2_S5_KPS2_EEvlllT_PT11_llSA_llS8_PT12_llPT13_lli
                                        ; -- End function
	.set _ZN12_GLOBAL__N_127rocblas_gemm_batched_kernelI19rocblas_complex_numIdELi16ELi16ELi32ELi32ELi8ELi32ELi8ELi8ELi32ELc78ELc67EKPKS2_S5_KPS2_EEvlllT_PT11_llSA_llS8_PT12_llPT13_lli.num_vgpr, 162
	.set _ZN12_GLOBAL__N_127rocblas_gemm_batched_kernelI19rocblas_complex_numIdELi16ELi16ELi32ELi32ELi8ELi32ELi8ELi8ELi32ELc78ELc67EKPKS2_S5_KPS2_EEvlllT_PT11_llSA_llS8_PT12_llPT13_lli.num_agpr, 0
	.set _ZN12_GLOBAL__N_127rocblas_gemm_batched_kernelI19rocblas_complex_numIdELi16ELi16ELi32ELi32ELi8ELi32ELi8ELi8ELi32ELc78ELc67EKPKS2_S5_KPS2_EEvlllT_PT11_llSA_llS8_PT12_llPT13_lli.numbered_sgpr, 52
	.set _ZN12_GLOBAL__N_127rocblas_gemm_batched_kernelI19rocblas_complex_numIdELi16ELi16ELi32ELi32ELi8ELi32ELi8ELi8ELi32ELc78ELc67EKPKS2_S5_KPS2_EEvlllT_PT11_llSA_llS8_PT12_llPT13_lli.num_named_barrier, 0
	.set _ZN12_GLOBAL__N_127rocblas_gemm_batched_kernelI19rocblas_complex_numIdELi16ELi16ELi32ELi32ELi8ELi32ELi8ELi8ELi32ELc78ELc67EKPKS2_S5_KPS2_EEvlllT_PT11_llSA_llS8_PT12_llPT13_lli.private_seg_size, 0
	.set _ZN12_GLOBAL__N_127rocblas_gemm_batched_kernelI19rocblas_complex_numIdELi16ELi16ELi32ELi32ELi8ELi32ELi8ELi8ELi32ELc78ELc67EKPKS2_S5_KPS2_EEvlllT_PT11_llSA_llS8_PT12_llPT13_lli.uses_vcc, 1
	.set _ZN12_GLOBAL__N_127rocblas_gemm_batched_kernelI19rocblas_complex_numIdELi16ELi16ELi32ELi32ELi8ELi32ELi8ELi8ELi32ELc78ELc67EKPKS2_S5_KPS2_EEvlllT_PT11_llSA_llS8_PT12_llPT13_lli.uses_flat_scratch, 0
	.set _ZN12_GLOBAL__N_127rocblas_gemm_batched_kernelI19rocblas_complex_numIdELi16ELi16ELi32ELi32ELi8ELi32ELi8ELi8ELi32ELc78ELc67EKPKS2_S5_KPS2_EEvlllT_PT11_llSA_llS8_PT12_llPT13_lli.has_dyn_sized_stack, 0
	.set _ZN12_GLOBAL__N_127rocblas_gemm_batched_kernelI19rocblas_complex_numIdELi16ELi16ELi32ELi32ELi8ELi32ELi8ELi8ELi32ELc78ELc67EKPKS2_S5_KPS2_EEvlllT_PT11_llSA_llS8_PT12_llPT13_lli.has_recursion, 0
	.set _ZN12_GLOBAL__N_127rocblas_gemm_batched_kernelI19rocblas_complex_numIdELi16ELi16ELi32ELi32ELi8ELi32ELi8ELi8ELi32ELc78ELc67EKPKS2_S5_KPS2_EEvlllT_PT11_llSA_llS8_PT12_llPT13_lli.has_indirect_call, 0
	.section	.AMDGPU.csdata,"",@progbits
; Kernel info:
; codeLenInByte = 3516
; TotalNumSgprs: 54
; NumVgprs: 162
; ScratchSize: 0
; MemoryBound: 0
; FloatMode: 240
; IeeeMode: 1
; LDSByteSize: 8192 bytes/workgroup (compile time only)
; SGPRBlocks: 0
; VGPRBlocks: 20
; NumSGPRsForWavesPerEU: 54
; NumVGPRsForWavesPerEU: 162
; Occupancy: 5
; WaveLimiterHint : 1
; COMPUTE_PGM_RSRC2:SCRATCH_EN: 0
; COMPUTE_PGM_RSRC2:USER_SGPR: 6
; COMPUTE_PGM_RSRC2:TRAP_HANDLER: 0
; COMPUTE_PGM_RSRC2:TGID_X_EN: 1
; COMPUTE_PGM_RSRC2:TGID_Y_EN: 1
; COMPUTE_PGM_RSRC2:TGID_Z_EN: 1
; COMPUTE_PGM_RSRC2:TIDIG_COMP_CNT: 1
	.section	.text._ZN12_GLOBAL__N_127rocblas_gemm_batched_kernelI19rocblas_complex_numIdELi16ELi16ELi32ELi32ELi8ELi32ELi8ELi8ELi32ELc84ELc67EKPKS2_S5_KPS2_EEvlllT_PT11_llSA_llS8_PT12_llPT13_lli,"axG",@progbits,_ZN12_GLOBAL__N_127rocblas_gemm_batched_kernelI19rocblas_complex_numIdELi16ELi16ELi32ELi32ELi8ELi32ELi8ELi8ELi32ELc84ELc67EKPKS2_S5_KPS2_EEvlllT_PT11_llSA_llS8_PT12_llPT13_lli,comdat
	.globl	_ZN12_GLOBAL__N_127rocblas_gemm_batched_kernelI19rocblas_complex_numIdELi16ELi16ELi32ELi32ELi8ELi32ELi8ELi8ELi32ELc84ELc67EKPKS2_S5_KPS2_EEvlllT_PT11_llSA_llS8_PT12_llPT13_lli ; -- Begin function _ZN12_GLOBAL__N_127rocblas_gemm_batched_kernelI19rocblas_complex_numIdELi16ELi16ELi32ELi32ELi8ELi32ELi8ELi8ELi32ELc84ELc67EKPKS2_S5_KPS2_EEvlllT_PT11_llSA_llS8_PT12_llPT13_lli
	.p2align	8
	.type	_ZN12_GLOBAL__N_127rocblas_gemm_batched_kernelI19rocblas_complex_numIdELi16ELi16ELi32ELi32ELi8ELi32ELi8ELi8ELi32ELc84ELc67EKPKS2_S5_KPS2_EEvlllT_PT11_llSA_llS8_PT12_llPT13_lli,@function
_ZN12_GLOBAL__N_127rocblas_gemm_batched_kernelI19rocblas_complex_numIdELi16ELi16ELi32ELi32ELi8ELi32ELi8ELi8ELi32ELc84ELc67EKPKS2_S5_KPS2_EEvlllT_PT11_llSA_llS8_PT12_llPT13_lli: ; @_ZN12_GLOBAL__N_127rocblas_gemm_batched_kernelI19rocblas_complex_numIdELi16ELi16ELi32ELi32ELi8ELi32ELi8ELi8ELi32ELc84ELc67EKPKS2_S5_KPS2_EEvlllT_PT11_llSA_llS8_PT12_llPT13_lli
; %bb.0:
	s_clause 0x1
	s_load_dwordx16 s[12:27], s[4:5], 0x50
	s_load_dwordx16 s[36:51], s[4:5], 0x10
	s_mov_b32 s9, 0
	s_mov_b32 s10, s7
	s_lshl_b64 s[0:1], s[8:9], 3
	s_waitcnt lgkmcnt(0)
	s_add_u32 s2, s18, s0
	s_addc_u32 s3, s19, s1
	s_add_u32 s8, s24, s0
	s_addc_u32 s9, s25, s1
	s_load_dwordx2 s[2:3], s[2:3], 0x0
	s_load_dwordx2 s[8:9], s[8:9], 0x0
	v_cmp_lt_i64_e64 s18, s[36:37], 1
	s_ashr_i32 s7, s6, 31
	s_ashr_i32 s11, s10, 31
	s_lshl_b64 s[6:7], s[6:7], 5
	s_lshl_b64 s[10:11], s[10:11], 5
	s_and_b32 vcc_lo, exec_lo, s18
	s_cbranch_vccnz .LBB268_3
; %bb.1:
	v_lshl_add_u32 v6, v1, 4, v0
	v_and_b32_e32 v7, 7, v0
	v_mov_b32_e32 v18, 0
	v_mov_b32_e32 v14, 0
	v_lshlrev_b32_e32 v24, 4, v0
	v_lshrrev_b32_e32 v8, 3, v6
	v_and_b32_e32 v9, 31, v6
	v_lshrrev_b32_e32 v12, 5, v6
	v_lshlrev_b32_e32 v13, 4, v7
	v_lshl_add_u32 v25, v1, 7, 0x1000
	v_add_co_u32 v2, s18, v8, s10
	v_add_co_ci_u32_e64 v3, null, 0, s11, s18
	v_add_co_u32 v4, s18, s6, v9
	v_add_co_ci_u32_e64 v5, null, s7, 0, s18
	v_mad_u64_u32 v[2:3], null, s50, v7, v[2:3]
	v_mul_lo_u32 v10, s45, v4
	v_mul_lo_u32 v11, s44, v5
	v_mad_u64_u32 v[4:5], null, s44, v4, 0
	s_add_u32 s18, s42, s0
	s_addc_u32 s19, s43, s1
	s_add_u32 s0, s48, s0
	s_addc_u32 s1, s49, s1
	s_load_dwordx2 s[18:19], s[18:19], 0x0
	s_load_dwordx2 s[0:1], s[0:1], 0x0
	v_add3_u32 v5, v5, v11, v10
	v_mad_u64_u32 v[6:7], null, s51, v7, v[3:4]
	v_lshlrev_b32_e32 v3, 4, v9
	s_lshl_b64 s[24:25], s[46:47], 4
	v_lshlrev_b64 v[4:5], 4, v[4:5]
	v_lshl_or_b32 v7, v8, 7, v13
	s_lshl_b64 s[12:13], s[12:13], 4
	v_lshl_or_b32 v22, v12, 9, v3
	v_mov_b32_e32 v3, v6
	v_lshlrev_b32_e32 v6, 4, v12
	v_add_co_u32 v4, vcc_lo, v4, s24
	v_add_co_ci_u32_e64 v5, null, s25, v5, vcc_lo
	v_lshlrev_b64 v[20:21], 4, v[2:3]
	v_add_co_u32 v4, vcc_lo, v4, v6
	v_add_co_ci_u32_e64 v5, null, 0, v5, vcc_lo
	s_waitcnt lgkmcnt(0)
	s_add_u32 s0, s0, s12
	v_add_co_u32 v16, vcc_lo, s18, v4
	v_add_co_ci_u32_e64 v17, null, s19, v5, vcc_lo
	s_addc_u32 s1, s1, s13
	v_add_co_u32 v20, vcc_lo, s0, v20
	v_add_nc_u32_e32 v23, 0x1000, v7
	v_mov_b32_e32 v4, 0
	v_mov_b32_e32 v2, 0
	;; [unrolled: 1-line block ×14, first 2 shown]
	v_add_co_ci_u32_e64 v21, null, s1, v21, vcc_lo
	s_lshl_b64 s[12:13], s[50:51], 7
	s_mov_b64 s[18:19], 0
.LBB268_2:                              ; =>This Inner Loop Header: Depth=1
	flat_load_dwordx4 v[26:29], v[16:17]
	s_add_u32 s18, s18, 8
	s_addc_u32 s19, s19, 0
	v_add_co_u32 v16, vcc_lo, 0x80, v16
	v_cmp_lt_i64_e64 s0, s[18:19], s[36:37]
	v_add_co_ci_u32_e64 v17, null, 0, v17, vcc_lo
	s_and_b32 vcc_lo, exec_lo, s0
	s_waitcnt vmcnt(0) lgkmcnt(0)
	ds_write2_b64 v22, v[26:27], v[28:29] offset1:1
	flat_load_dwordx4 v[26:29], v[20:21]
	v_add_co_u32 v20, s0, v20, s12
	v_add_co_ci_u32_e64 v21, null, s13, v21, s0
	s_waitcnt vmcnt(0) lgkmcnt(0)
	v_xor_b32_e32 v29, 0x80000000, v29
	ds_write_b128 v23, v[26:29]
	s_waitcnt lgkmcnt(0)
	s_barrier
	buffer_gl0_inv
	ds_read_b128 v[26:29], v24
	ds_read_b128 v[30:33], v24 offset:256
	ds_read_b128 v[34:37], v25
	ds_read_b128 v[38:41], v25 offset:16
	ds_read_b128 v[42:45], v25 offset:2048
	;; [unrolled: 1-line block ×28, first 2 shown]
	s_waitcnt lgkmcnt(28)
	v_mul_f64 v[150:151], v[36:37], v[28:29]
	v_mul_f64 v[154:155], v[36:37], v[32:33]
	;; [unrolled: 1-line block ×4, first 2 shown]
	v_fma_f64 v[150:151], v[34:35], v[26:27], -v[150:151]
	v_fma_f64 v[34:35], v[34:35], v[30:31], -v[154:155]
	s_waitcnt lgkmcnt(26)
	v_mul_f64 v[154:155], v[44:45], v[28:29]
	v_mul_f64 v[28:29], v[42:43], v[28:29]
	v_fma_f64 v[152:153], v[36:37], v[26:27], v[152:153]
	v_fma_f64 v[36:37], v[36:37], v[30:31], v[156:157]
	v_add_f64 v[14:15], v[14:15], v[150:151]
	v_add_f64 v[10:11], v[10:11], v[34:35]
	v_fma_f64 v[154:155], v[42:43], v[26:27], -v[154:155]
	v_fma_f64 v[156:157], v[44:45], v[26:27], v[28:29]
	v_mul_f64 v[26:27], v[44:45], v[32:33]
	v_mul_f64 v[28:29], v[42:43], v[32:33]
	v_add_f64 v[18:19], v[152:153], v[18:19]
	v_add_f64 v[12:13], v[36:37], v[12:13]
	s_waitcnt lgkmcnt(16)
	v_mul_f64 v[34:35], v[64:65], v[84:85]
	v_mul_f64 v[36:37], v[62:63], v[84:85]
	s_waitcnt lgkmcnt(15)
	v_mul_f64 v[150:151], v[62:63], v[88:89]
	s_waitcnt lgkmcnt(12)
	v_mul_f64 v[152:153], v[98:99], v[96:97]
	v_add_f64 v[6:7], v[6:7], v[154:155]
	v_add_f64 v[8:9], v[156:157], v[8:9]
	v_fma_f64 v[32:33], v[42:43], v[30:31], -v[26:27]
	v_fma_f64 v[30:31], v[44:45], v[30:31], v[28:29]
	v_mul_f64 v[26:27], v[40:41], v[52:53]
	v_mul_f64 v[28:29], v[38:39], v[52:53]
	;; [unrolled: 1-line block ×4, first 2 shown]
	v_fma_f64 v[34:35], v[62:63], v[82:83], -v[34:35]
	v_fma_f64 v[36:37], v[64:65], v[82:83], v[36:37]
	v_add_f64 v[2:3], v[2:3], v[32:33]
	v_add_f64 v[4:5], v[30:31], v[4:5]
	v_fma_f64 v[158:159], v[38:39], v[50:51], -v[26:27]
	v_fma_f64 v[160:161], v[40:41], v[50:51], v[28:29]
	v_mul_f64 v[26:27], v[48:49], v[52:53]
	v_mul_f64 v[28:29], v[46:47], v[52:53]
	v_fma_f64 v[38:39], v[38:39], v[54:55], -v[42:43]
	v_fma_f64 v[40:41], v[40:41], v[54:55], v[44:45]
	v_mul_f64 v[52:53], v[58:59], v[72:73]
	v_mul_f64 v[30:31], v[80:81], v[84:85]
	;; [unrolled: 1-line block ×4, first 2 shown]
	v_add_f64 v[14:15], v[14:15], v[158:159]
	v_add_f64 v[18:19], v[160:161], v[18:19]
	v_fma_f64 v[42:43], v[46:47], v[50:51], -v[26:27]
	v_fma_f64 v[44:45], v[48:49], v[50:51], v[28:29]
	v_mul_f64 v[26:27], v[48:49], v[56:57]
	v_mul_f64 v[28:29], v[46:47], v[56:57]
	;; [unrolled: 1-line block ×3, first 2 shown]
	v_fma_f64 v[52:53], v[60:61], v[70:71], v[52:53]
	v_add_f64 v[10:11], v[10:11], v[38:39]
	v_add_f64 v[12:13], v[40:41], v[12:13]
	s_waitcnt lgkmcnt(10)
	v_mul_f64 v[38:39], v[108:109], v[92:93]
	v_mul_f64 v[40:41], v[106:107], v[92:93]
	v_fma_f64 v[30:31], v[78:79], v[82:83], -v[30:31]
	v_fma_f64 v[32:33], v[80:81], v[82:83], v[32:33]
	s_waitcnt lgkmcnt(8)
	v_mul_f64 v[82:83], v[112:113], v[116:117]
	v_add_f64 v[6:7], v[6:7], v[42:43]
	v_add_f64 v[8:9], v[44:45], v[8:9]
	v_fma_f64 v[46:47], v[46:47], v[54:55], -v[26:27]
	v_fma_f64 v[48:49], v[48:49], v[54:55], v[28:29]
	v_mul_f64 v[26:27], v[60:61], v[68:69]
	v_mul_f64 v[28:29], v[58:59], v[68:69]
	v_fma_f64 v[50:51], v[58:59], v[70:71], -v[50:51]
	v_mul_f64 v[42:43], v[108:109], v[96:97]
	v_mul_f64 v[44:45], v[106:107], v[96:97]
	v_add_f64 v[12:13], v[52:53], v[12:13]
	s_waitcnt lgkmcnt(7)
	v_mul_f64 v[52:53], v[110:111], v[120:121]
	v_fma_f64 v[38:39], v[106:107], v[90:91], -v[38:39]
	v_fma_f64 v[40:41], v[108:109], v[90:91], v[40:41]
	v_add_f64 v[2:3], v[2:3], v[46:47]
	v_add_f64 v[4:5], v[48:49], v[4:5]
	v_fma_f64 v[54:55], v[58:59], v[66:67], -v[26:27]
	v_fma_f64 v[56:57], v[60:61], v[66:67], v[28:29]
	v_mul_f64 v[26:27], v[76:77], v[68:69]
	v_mul_f64 v[28:29], v[74:75], v[68:69]
	;; [unrolled: 1-line block ×3, first 2 shown]
	v_add_f64 v[10:11], v[10:11], v[50:51]
	v_mul_f64 v[46:47], v[104:105], v[116:117]
	v_mul_f64 v[48:49], v[102:103], v[116:117]
	;; [unrolled: 1-line block ×3, first 2 shown]
	v_fma_f64 v[42:43], v[106:107], v[94:95], -v[42:43]
	v_fma_f64 v[44:45], v[108:109], v[94:95], v[44:45]
	v_fma_f64 v[52:53], v[112:113], v[118:119], v[52:53]
	v_add_f64 v[14:15], v[14:15], v[54:55]
	v_add_f64 v[18:19], v[56:57], v[18:19]
	v_fma_f64 v[58:59], v[74:75], v[66:67], -v[26:27]
	v_fma_f64 v[60:61], v[76:77], v[66:67], v[28:29]
	v_mul_f64 v[66:67], v[76:77], v[72:73]
	v_mul_f64 v[72:73], v[64:65], v[88:89]
	v_fma_f64 v[68:69], v[76:77], v[70:71], v[68:69]
	v_mul_f64 v[76:77], v[100:101], v[92:93]
	v_fma_f64 v[64:65], v[64:65], v[86:87], v[150:151]
	v_mul_f64 v[92:93], v[102:103], v[120:121]
	s_waitcnt lgkmcnt(4)
	v_mul_f64 v[54:55], v[132:133], v[124:125]
	v_mul_f64 v[56:57], v[130:131], v[124:125]
	v_fma_f64 v[46:47], v[102:103], v[114:115], -v[46:47]
	v_fma_f64 v[48:49], v[104:105], v[114:115], v[48:49]
	v_fma_f64 v[50:51], v[110:111], v[118:119], -v[50:51]
	ds_read_b128 v[26:29], v24 offset:3840
	s_waitcnt lgkmcnt(0)
	s_barrier
	buffer_gl0_inv
	v_add_f64 v[14:15], v[14:15], v[34:35]
	v_add_f64 v[18:19], v[36:37], v[18:19]
	;; [unrolled: 1-line block ×4, first 2 shown]
	v_fma_f64 v[66:67], v[74:75], v[70:71], -v[66:67]
	v_mul_f64 v[70:71], v[80:81], v[88:89]
	v_mul_f64 v[74:75], v[78:79], v[88:89]
	;; [unrolled: 1-line block ×3, first 2 shown]
	v_fma_f64 v[62:63], v[62:63], v[86:87], -v[72:73]
	v_add_f64 v[4:5], v[68:69], v[4:5]
	v_mul_f64 v[72:73], v[104:105], v[120:121]
	v_mul_f64 v[96:97], v[110:111], v[116:117]
	v_fma_f64 v[68:69], v[100:101], v[90:91], v[84:85]
	v_add_f64 v[12:13], v[64:65], v[12:13]
	v_mul_f64 v[58:59], v[132:133], v[128:129]
	v_mul_f64 v[60:61], v[130:131], v[128:129]
	;; [unrolled: 1-line block ×5, first 2 shown]
	v_fma_f64 v[54:55], v[130:131], v[122:123], -v[54:55]
	v_fma_f64 v[56:57], v[132:133], v[122:123], v[56:57]
	v_add_f64 v[6:7], v[6:7], v[30:31]
	v_add_f64 v[8:9], v[32:33], v[8:9]
	;; [unrolled: 1-line block ×3, first 2 shown]
	v_fma_f64 v[70:71], v[78:79], v[86:87], -v[70:71]
	v_fma_f64 v[74:75], v[80:81], v[86:87], v[74:75]
	v_fma_f64 v[66:67], v[98:99], v[90:91], -v[76:77]
	v_fma_f64 v[76:77], v[98:99], v[94:95], -v[88:89]
	v_fma_f64 v[78:79], v[100:101], v[94:95], v[152:153]
	v_add_f64 v[10:11], v[10:11], v[62:63]
	v_mul_f64 v[30:31], v[140:141], v[124:125]
	v_mul_f64 v[32:33], v[138:139], v[124:125]
	v_fma_f64 v[80:81], v[112:113], v[114:115], v[96:97]
	v_add_f64 v[18:19], v[68:69], v[18:19]
	v_mul_f64 v[62:63], v[136:137], v[148:149]
	v_fma_f64 v[58:59], v[130:131], v[126:127], -v[58:59]
	v_fma_f64 v[60:61], v[132:133], v[126:127], v[60:61]
	v_fma_f64 v[34:35], v[138:139], v[126:127], -v[34:35]
	v_fma_f64 v[36:37], v[140:141], v[126:127], v[36:37]
	v_add_f64 v[6:7], v[6:7], v[38:39]
	v_add_f64 v[8:9], v[40:41], v[8:9]
	v_mul_f64 v[38:39], v[136:137], v[28:29]
	v_add_f64 v[2:3], v[2:3], v[70:71]
	v_add_f64 v[4:5], v[74:75], v[4:5]
	v_fma_f64 v[70:71], v[102:103], v[118:119], -v[72:73]
	v_fma_f64 v[72:73], v[104:105], v[118:119], v[92:93]
	v_fma_f64 v[74:75], v[110:111], v[114:115], -v[82:83]
	v_add_f64 v[14:15], v[14:15], v[66:67]
	v_add_f64 v[10:11], v[10:11], v[76:77]
	;; [unrolled: 1-line block ×3, first 2 shown]
	v_mul_f64 v[40:41], v[134:135], v[28:29]
	v_mul_f64 v[66:67], v[144:145], v[28:29]
	;; [unrolled: 1-line block ×3, first 2 shown]
	v_fma_f64 v[30:31], v[138:139], v[122:123], -v[30:31]
	v_fma_f64 v[32:33], v[140:141], v[122:123], v[32:33]
	v_add_f64 v[18:19], v[48:49], v[18:19]
	v_fma_f64 v[48:49], v[136:137], v[146:147], v[64:65]
	v_add_f64 v[8:9], v[80:81], v[8:9]
	v_fma_f64 v[38:39], v[134:135], v[26:27], -v[38:39]
	v_add_f64 v[2:3], v[2:3], v[42:43]
	v_add_f64 v[4:5], v[44:45], v[4:5]
	v_mul_f64 v[42:43], v[144:145], v[148:149]
	v_mul_f64 v[44:45], v[142:143], v[148:149]
	v_add_f64 v[6:7], v[6:7], v[74:75]
	v_add_f64 v[14:15], v[14:15], v[46:47]
	;; [unrolled: 1-line block ×4, first 2 shown]
	v_fma_f64 v[46:47], v[134:135], v[146:147], -v[62:63]
	v_fma_f64 v[40:41], v[136:137], v[26:27], v[40:41]
	v_add_f64 v[18:19], v[56:57], v[18:19]
	v_add_f64 v[8:9], v[32:33], v[8:9]
	;; [unrolled: 1-line block ×4, first 2 shown]
	v_fma_f64 v[42:43], v[142:143], v[146:147], -v[42:43]
	v_fma_f64 v[44:45], v[144:145], v[146:147], v[44:45]
	v_fma_f64 v[50:51], v[142:143], v[26:27], -v[66:67]
	v_fma_f64 v[26:27], v[144:145], v[26:27], v[28:29]
	v_add_f64 v[14:15], v[14:15], v[54:55]
	v_add_f64 v[10:11], v[10:11], v[58:59]
	;; [unrolled: 1-line block ×14, first 2 shown]
	s_cbranch_vccnz .LBB268_2
	s_branch .LBB268_4
.LBB268_3:
	v_mov_b32_e32 v14, 0
	v_mov_b32_e32 v18, 0
	;; [unrolled: 1-line block ×16, first 2 shown]
.LBB268_4:
	s_load_dwordx2 s[0:1], s[4:5], 0x90
	v_cmp_neq_f64_e64 s4, s[14:15], 0
	v_cmp_neq_f64_e64 s5, s[16:17], 0
	v_add_co_u32 v22, s10, s10, v1
	v_add_co_ci_u32_e64 v23, null, s11, 0, s10
	s_waitcnt lgkmcnt(0)
	s_lshl_b64 s[0:1], s[0:1], 4
	s_add_u32 s0, s8, s0
	s_addc_u32 s1, s9, s1
	s_or_b32 s4, s4, s5
	v_add_co_u32 v0, s5, s6, v0
	v_add_co_ci_u32_e64 v1, null, s7, 0, s5
	s_and_b32 vcc_lo, exec_lo, s4
	s_cbranch_vccnz .LBB268_6
; %bb.5:
	v_mul_f64 v[20:21], s[40:41], v[18:19]
	v_mul_f64 v[26:27], s[38:39], v[18:19]
	;; [unrolled: 1-line block ×4, first 2 shown]
	v_mul_lo_u32 v24, v23, s26
	v_mul_lo_u32 v25, v22, s27
	v_mad_u64_u32 v[16:17], null, v22, s26, 0
	v_mul_f64 v[28:29], s[40:41], v[12:13]
	v_mul_f64 v[30:31], s[38:39], v[12:13]
	;; [unrolled: 1-line block ×4, first 2 shown]
	s_lshl_b64 s[4:5], s[26:27], 8
	v_lshlrev_b64 v[40:41], 4, v[0:1]
	v_add3_u32 v17, v17, v25, v24
	v_lshlrev_b64 v[16:17], 4, v[16:17]
	v_fma_f64 v[24:25], s[38:39], v[14:15], -v[20:21]
	v_fma_f64 v[26:27], s[40:41], v[14:15], v[26:27]
	v_fma_f64 v[36:37], s[38:39], v[2:3], -v[36:37]
	v_add_co_u32 v42, vcc_lo, s0, v16
	v_add_co_ci_u32_e64 v43, null, s1, v17, vcc_lo
	v_fma_f64 v[16:17], s[40:41], v[2:3], v[38:39]
	v_fma_f64 v[28:29], s[38:39], v[10:11], -v[28:29]
	v_fma_f64 v[30:31], s[40:41], v[10:11], v[30:31]
	v_fma_f64 v[32:33], s[38:39], v[6:7], -v[32:33]
	v_fma_f64 v[34:35], s[40:41], v[6:7], v[34:35]
	v_add_co_u32 v20, vcc_lo, v42, s4
	v_add_co_ci_u32_e64 v21, null, s5, v43, vcc_lo
	v_add_co_u32 v38, vcc_lo, v20, v40
	v_add_co_ci_u32_e64 v39, null, v21, v41, vcc_lo
	;; [unrolled: 2-line block ×4, first 2 shown]
	flat_store_dwordx4 v[40:41], v[24:27]
	flat_store_dwordx4 v[40:41], v[28:31] offset:256
	flat_store_dwordx4 v[38:39], v[32:35]
	flat_store_dwordx2 v[38:39], v[36:37] offset:256
	s_cbranch_execz .LBB268_7
	s_branch .LBB268_8
.LBB268_6:
                                        ; implicit-def: $vgpr16_vgpr17
                                        ; implicit-def: $vgpr20_vgpr21
.LBB268_7:
	v_mul_lo_u32 v20, v23, s20
	v_mul_lo_u32 v21, v22, s21
	v_mad_u64_u32 v[16:17], null, v22, s20, 0
	s_lshl_b64 s[4:5], s[22:23], 4
	v_lshlrev_b64 v[0:1], 4, v[0:1]
	s_add_u32 s2, s2, s4
	s_addc_u32 s3, s3, s5
	v_add3_u32 v17, v17, v21, v20
	v_lshlrev_b64 v[16:17], 4, v[16:17]
	v_add_co_u32 v30, vcc_lo, s2, v16
	v_add_co_ci_u32_e64 v31, null, s3, v17, vcc_lo
	v_mul_f64 v[16:17], s[40:41], v[18:19]
	v_add_co_u32 v20, vcc_lo, v30, v0
	v_add_co_ci_u32_e64 v21, null, v31, v1, vcc_lo
	v_mul_f64 v[18:19], s[38:39], v[18:19]
	flat_load_dwordx4 v[24:27], v[20:21]
	v_fma_f64 v[16:17], s[38:39], v[14:15], -v[16:17]
	v_fma_f64 v[18:19], s[40:41], v[14:15], v[18:19]
	s_waitcnt vmcnt(0) lgkmcnt(0)
	v_mul_f64 v[28:29], s[16:17], v[26:27]
	v_mul_f64 v[26:27], s[14:15], v[26:27]
	v_fma_f64 v[14:15], s[14:15], v[24:25], -v[28:29]
	v_fma_f64 v[24:25], s[16:17], v[24:25], v[26:27]
	v_mul_lo_u32 v26, v23, s26
	v_mul_lo_u32 v27, v22, s27
	v_mad_u64_u32 v[22:23], null, v22, s26, 0
	v_add3_u32 v23, v23, v27, v26
	v_add_f64 v[14:15], v[16:17], v[14:15]
	v_add_f64 v[16:17], v[18:19], v[24:25]
	v_lshlrev_b64 v[18:19], 4, v[22:23]
	v_add_co_u32 v24, vcc_lo, s0, v18
	v_add_co_ci_u32_e64 v25, null, s1, v19, vcc_lo
	s_lshl_b64 s[0:1], s[20:21], 8
	v_add_co_u32 v18, vcc_lo, v24, v0
	v_add_co_ci_u32_e64 v19, null, v25, v1, vcc_lo
	flat_store_dwordx4 v[18:19], v[14:17]
	flat_load_dwordx4 v[14:17], v[20:21] offset:256
	v_mul_f64 v[20:21], s[40:41], v[12:13]
	v_mul_f64 v[12:13], s[38:39], v[12:13]
	v_fma_f64 v[20:21], s[38:39], v[10:11], -v[20:21]
	v_fma_f64 v[12:13], s[40:41], v[10:11], v[12:13]
	s_waitcnt vmcnt(0) lgkmcnt(0)
	v_mul_f64 v[22:23], s[16:17], v[16:17]
	v_mul_f64 v[16:17], s[14:15], v[16:17]
	v_fma_f64 v[10:11], s[14:15], v[14:15], -v[22:23]
	v_fma_f64 v[14:15], s[16:17], v[14:15], v[16:17]
	v_mul_f64 v[16:17], s[40:41], v[8:9]
	v_mul_f64 v[8:9], s[38:39], v[8:9]
	v_add_f64 v[10:11], v[20:21], v[10:11]
	v_add_f64 v[12:13], v[12:13], v[14:15]
	v_add_co_u32 v14, vcc_lo, v30, s0
	v_add_co_ci_u32_e64 v15, null, s1, v31, vcc_lo
	v_fma_f64 v[16:17], s[38:39], v[6:7], -v[16:17]
	v_add_co_u32 v14, vcc_lo, v14, v0
	v_add_co_ci_u32_e64 v15, null, v15, v1, vcc_lo
	v_fma_f64 v[8:9], s[40:41], v[6:7], v[8:9]
	s_lshl_b64 s[0:1], s[26:27], 8
	flat_store_dwordx4 v[18:19], v[10:13] offset:256
	flat_load_dwordx4 v[10:13], v[14:15]
	s_waitcnt vmcnt(0) lgkmcnt(0)
	v_mul_f64 v[18:19], s[16:17], v[12:13]
	v_mul_f64 v[12:13], s[14:15], v[12:13]
	v_fma_f64 v[6:7], s[14:15], v[10:11], -v[18:19]
	v_fma_f64 v[10:11], s[16:17], v[10:11], v[12:13]
	v_add_f64 v[6:7], v[16:17], v[6:7]
	v_add_f64 v[8:9], v[8:9], v[10:11]
	v_add_co_u32 v10, vcc_lo, v24, s0
	v_add_co_ci_u32_e64 v11, null, s1, v25, vcc_lo
	v_add_co_u32 v0, vcc_lo, v10, v0
	v_add_co_ci_u32_e64 v1, null, v11, v1, vcc_lo
	v_mul_f64 v[10:11], s[40:41], v[4:5]
	v_mul_f64 v[4:5], s[38:39], v[4:5]
	v_add_co_u32 v20, vcc_lo, 0x100, v0
	v_add_co_ci_u32_e64 v21, null, 0, v1, vcc_lo
	flat_store_dwordx4 v[0:1], v[6:9]
	flat_load_dwordx4 v[6:9], v[14:15] offset:256
	v_fma_f64 v[10:11], s[38:39], v[2:3], -v[10:11]
	v_fma_f64 v[2:3], s[40:41], v[2:3], v[4:5]
	s_waitcnt vmcnt(0) lgkmcnt(0)
	v_mul_f64 v[12:13], s[16:17], v[8:9]
	v_mul_f64 v[8:9], s[14:15], v[8:9]
	v_fma_f64 v[4:5], s[14:15], v[6:7], -v[12:13]
	v_fma_f64 v[6:7], s[16:17], v[6:7], v[8:9]
	v_add_f64 v[4:5], v[10:11], v[4:5]
	v_add_f64 v[16:17], v[2:3], v[6:7]
	flat_store_dwordx2 v[0:1], v[4:5] offset:256
.LBB268_8:
	flat_store_dwordx2 v[20:21], v[16:17] offset:8
	s_endpgm
	.section	.rodata,"a",@progbits
	.p2align	6, 0x0
	.amdhsa_kernel _ZN12_GLOBAL__N_127rocblas_gemm_batched_kernelI19rocblas_complex_numIdELi16ELi16ELi32ELi32ELi8ELi32ELi8ELi8ELi32ELc84ELc67EKPKS2_S5_KPS2_EEvlllT_PT11_llSA_llS8_PT12_llPT13_lli
		.amdhsa_group_segment_fixed_size 8192
		.amdhsa_private_segment_fixed_size 0
		.amdhsa_kernarg_size 156
		.amdhsa_user_sgpr_count 6
		.amdhsa_user_sgpr_private_segment_buffer 1
		.amdhsa_user_sgpr_dispatch_ptr 0
		.amdhsa_user_sgpr_queue_ptr 0
		.amdhsa_user_sgpr_kernarg_segment_ptr 1
		.amdhsa_user_sgpr_dispatch_id 0
		.amdhsa_user_sgpr_flat_scratch_init 0
		.amdhsa_user_sgpr_private_segment_size 0
		.amdhsa_wavefront_size32 1
		.amdhsa_uses_dynamic_stack 0
		.amdhsa_system_sgpr_private_segment_wavefront_offset 0
		.amdhsa_system_sgpr_workgroup_id_x 1
		.amdhsa_system_sgpr_workgroup_id_y 1
		.amdhsa_system_sgpr_workgroup_id_z 1
		.amdhsa_system_sgpr_workgroup_info 0
		.amdhsa_system_vgpr_workitem_id 1
		.amdhsa_next_free_vgpr 162
		.amdhsa_next_free_sgpr 52
		.amdhsa_reserve_vcc 1
		.amdhsa_reserve_flat_scratch 0
		.amdhsa_float_round_mode_32 0
		.amdhsa_float_round_mode_16_64 0
		.amdhsa_float_denorm_mode_32 3
		.amdhsa_float_denorm_mode_16_64 3
		.amdhsa_dx10_clamp 1
		.amdhsa_ieee_mode 1
		.amdhsa_fp16_overflow 0
		.amdhsa_workgroup_processor_mode 1
		.amdhsa_memory_ordered 1
		.amdhsa_forward_progress 1
		.amdhsa_shared_vgpr_count 0
		.amdhsa_exception_fp_ieee_invalid_op 0
		.amdhsa_exception_fp_denorm_src 0
		.amdhsa_exception_fp_ieee_div_zero 0
		.amdhsa_exception_fp_ieee_overflow 0
		.amdhsa_exception_fp_ieee_underflow 0
		.amdhsa_exception_fp_ieee_inexact 0
		.amdhsa_exception_int_div_zero 0
	.end_amdhsa_kernel
	.section	.text._ZN12_GLOBAL__N_127rocblas_gemm_batched_kernelI19rocblas_complex_numIdELi16ELi16ELi32ELi32ELi8ELi32ELi8ELi8ELi32ELc84ELc67EKPKS2_S5_KPS2_EEvlllT_PT11_llSA_llS8_PT12_llPT13_lli,"axG",@progbits,_ZN12_GLOBAL__N_127rocblas_gemm_batched_kernelI19rocblas_complex_numIdELi16ELi16ELi32ELi32ELi8ELi32ELi8ELi8ELi32ELc84ELc67EKPKS2_S5_KPS2_EEvlllT_PT11_llSA_llS8_PT12_llPT13_lli,comdat
.Lfunc_end268:
	.size	_ZN12_GLOBAL__N_127rocblas_gemm_batched_kernelI19rocblas_complex_numIdELi16ELi16ELi32ELi32ELi8ELi32ELi8ELi8ELi32ELc84ELc67EKPKS2_S5_KPS2_EEvlllT_PT11_llSA_llS8_PT12_llPT13_lli, .Lfunc_end268-_ZN12_GLOBAL__N_127rocblas_gemm_batched_kernelI19rocblas_complex_numIdELi16ELi16ELi32ELi32ELi8ELi32ELi8ELi8ELi32ELc84ELc67EKPKS2_S5_KPS2_EEvlllT_PT11_llSA_llS8_PT12_llPT13_lli
                                        ; -- End function
	.set _ZN12_GLOBAL__N_127rocblas_gemm_batched_kernelI19rocblas_complex_numIdELi16ELi16ELi32ELi32ELi8ELi32ELi8ELi8ELi32ELc84ELc67EKPKS2_S5_KPS2_EEvlllT_PT11_llSA_llS8_PT12_llPT13_lli.num_vgpr, 162
	.set _ZN12_GLOBAL__N_127rocblas_gemm_batched_kernelI19rocblas_complex_numIdELi16ELi16ELi32ELi32ELi8ELi32ELi8ELi8ELi32ELc84ELc67EKPKS2_S5_KPS2_EEvlllT_PT11_llSA_llS8_PT12_llPT13_lli.num_agpr, 0
	.set _ZN12_GLOBAL__N_127rocblas_gemm_batched_kernelI19rocblas_complex_numIdELi16ELi16ELi32ELi32ELi8ELi32ELi8ELi8ELi32ELc84ELc67EKPKS2_S5_KPS2_EEvlllT_PT11_llSA_llS8_PT12_llPT13_lli.numbered_sgpr, 52
	.set _ZN12_GLOBAL__N_127rocblas_gemm_batched_kernelI19rocblas_complex_numIdELi16ELi16ELi32ELi32ELi8ELi32ELi8ELi8ELi32ELc84ELc67EKPKS2_S5_KPS2_EEvlllT_PT11_llSA_llS8_PT12_llPT13_lli.num_named_barrier, 0
	.set _ZN12_GLOBAL__N_127rocblas_gemm_batched_kernelI19rocblas_complex_numIdELi16ELi16ELi32ELi32ELi8ELi32ELi8ELi8ELi32ELc84ELc67EKPKS2_S5_KPS2_EEvlllT_PT11_llSA_llS8_PT12_llPT13_lli.private_seg_size, 0
	.set _ZN12_GLOBAL__N_127rocblas_gemm_batched_kernelI19rocblas_complex_numIdELi16ELi16ELi32ELi32ELi8ELi32ELi8ELi8ELi32ELc84ELc67EKPKS2_S5_KPS2_EEvlllT_PT11_llSA_llS8_PT12_llPT13_lli.uses_vcc, 1
	.set _ZN12_GLOBAL__N_127rocblas_gemm_batched_kernelI19rocblas_complex_numIdELi16ELi16ELi32ELi32ELi8ELi32ELi8ELi8ELi32ELc84ELc67EKPKS2_S5_KPS2_EEvlllT_PT11_llSA_llS8_PT12_llPT13_lli.uses_flat_scratch, 0
	.set _ZN12_GLOBAL__N_127rocblas_gemm_batched_kernelI19rocblas_complex_numIdELi16ELi16ELi32ELi32ELi8ELi32ELi8ELi8ELi32ELc84ELc67EKPKS2_S5_KPS2_EEvlllT_PT11_llSA_llS8_PT12_llPT13_lli.has_dyn_sized_stack, 0
	.set _ZN12_GLOBAL__N_127rocblas_gemm_batched_kernelI19rocblas_complex_numIdELi16ELi16ELi32ELi32ELi8ELi32ELi8ELi8ELi32ELc84ELc67EKPKS2_S5_KPS2_EEvlllT_PT11_llSA_llS8_PT12_llPT13_lli.has_recursion, 0
	.set _ZN12_GLOBAL__N_127rocblas_gemm_batched_kernelI19rocblas_complex_numIdELi16ELi16ELi32ELi32ELi8ELi32ELi8ELi8ELi32ELc84ELc67EKPKS2_S5_KPS2_EEvlllT_PT11_llSA_llS8_PT12_llPT13_lli.has_indirect_call, 0
	.section	.AMDGPU.csdata,"",@progbits
; Kernel info:
; codeLenInByte = 3556
; TotalNumSgprs: 54
; NumVgprs: 162
; ScratchSize: 0
; MemoryBound: 0
; FloatMode: 240
; IeeeMode: 1
; LDSByteSize: 8192 bytes/workgroup (compile time only)
; SGPRBlocks: 0
; VGPRBlocks: 20
; NumSGPRsForWavesPerEU: 54
; NumVGPRsForWavesPerEU: 162
; Occupancy: 5
; WaveLimiterHint : 1
; COMPUTE_PGM_RSRC2:SCRATCH_EN: 0
; COMPUTE_PGM_RSRC2:USER_SGPR: 6
; COMPUTE_PGM_RSRC2:TRAP_HANDLER: 0
; COMPUTE_PGM_RSRC2:TGID_X_EN: 1
; COMPUTE_PGM_RSRC2:TGID_Y_EN: 1
; COMPUTE_PGM_RSRC2:TGID_Z_EN: 1
; COMPUTE_PGM_RSRC2:TIDIG_COMP_CNT: 1
	.section	.text._ZN12_GLOBAL__N_135rocblas_gemm_batched_general_kernelI19rocblas_complex_numIdELi16ELi16ELi32ELi32ELi8ELi32ELi8ELi8ELi32ELc78ELc78EKPKS2_S5_KPS2_EEvlllT_PT11_llSA_llS8_PT12_llPT13_lli,"axG",@progbits,_ZN12_GLOBAL__N_135rocblas_gemm_batched_general_kernelI19rocblas_complex_numIdELi16ELi16ELi32ELi32ELi8ELi32ELi8ELi8ELi32ELc78ELc78EKPKS2_S5_KPS2_EEvlllT_PT11_llSA_llS8_PT12_llPT13_lli,comdat
	.globl	_ZN12_GLOBAL__N_135rocblas_gemm_batched_general_kernelI19rocblas_complex_numIdELi16ELi16ELi32ELi32ELi8ELi32ELi8ELi8ELi32ELc78ELc78EKPKS2_S5_KPS2_EEvlllT_PT11_llSA_llS8_PT12_llPT13_lli ; -- Begin function _ZN12_GLOBAL__N_135rocblas_gemm_batched_general_kernelI19rocblas_complex_numIdELi16ELi16ELi32ELi32ELi8ELi32ELi8ELi8ELi32ELc78ELc78EKPKS2_S5_KPS2_EEvlllT_PT11_llSA_llS8_PT12_llPT13_lli
	.p2align	8
	.type	_ZN12_GLOBAL__N_135rocblas_gemm_batched_general_kernelI19rocblas_complex_numIdELi16ELi16ELi32ELi32ELi8ELi32ELi8ELi8ELi32ELc78ELc78EKPKS2_S5_KPS2_EEvlllT_PT11_llSA_llS8_PT12_llPT13_lli,@function
_ZN12_GLOBAL__N_135rocblas_gemm_batched_general_kernelI19rocblas_complex_numIdELi16ELi16ELi32ELi32ELi8ELi32ELi8ELi8ELi32ELc78ELc78EKPKS2_S5_KPS2_EEvlllT_PT11_llSA_llS8_PT12_llPT13_lli: ; @_ZN12_GLOBAL__N_135rocblas_gemm_batched_general_kernelI19rocblas_complex_numIdELi16ELi16ELi32ELi32ELi8ELi32ELi8ELi8ELi32ELc78ELc78EKPKS2_S5_KPS2_EEvlllT_PT11_llSA_llS8_PT12_llPT13_lli
; %bb.0:
	s_clause 0x2
	s_load_dwordx16 s[12:27], s[4:5], 0x40
	s_load_dwordx4 s[28:31], s[4:5], 0x80
	s_load_dwordx16 s[36:51], s[4:5], 0x0
	s_mov_b32 s9, 0
	s_load_dwordx2 s[2:3], s[4:5], 0x90
	s_lshl_b64 s[0:1], s[8:9], 3
	s_mov_b32 s34, s7
	v_mov_b32_e32 v2, 0
	s_waitcnt lgkmcnt(0)
	s_add_u32 s4, s22, s0
	s_addc_u32 s5, s23, s1
	s_add_u32 s8, s28, s0
	s_addc_u32 s9, s29, s1
	s_load_dwordx2 s[4:5], s[4:5], 0x0
	s_load_dwordx2 s[10:11], s[8:9], 0x0
	v_cmp_lt_i64_e64 s22, s[40:41], 1
	s_ashr_i32 s7, s6, 31
	s_ashr_i32 s35, s34, 31
	s_lshl_b64 s[8:9], s[6:7], 5
	s_and_b32 vcc_lo, exec_lo, s22
	s_lshl_b64 s[22:23], s[34:35], 5
	s_cbranch_vccnz .LBB269_11
; %bb.1:
	v_lshl_add_u32 v3, v1, 4, v0
	v_and_b32_e32 v26, 7, v0
	s_add_u32 s12, s12, s0
	s_addc_u32 s13, s13, s1
	s_add_u32 s0, s46, s0
	v_lshrrev_b32_e32 v13, 3, v3
	v_lshrrev_b32_e32 v27, 5, v3
	v_and_b32_e32 v9, 31, v3
	v_lshlrev_b32_e32 v15, 4, v26
	s_load_dwordx2 s[12:13], s[12:13], 0x0
	v_add_co_u32 v5, s28, v13, s22
	v_add_co_ci_u32_e64 v6, null, 0, s23, s28
	v_mad_u64_u32 v[3:4], null, s48, v27, 0
	v_or_b32_e32 v7, s8, v9
	v_lshlrev_b32_e32 v14, 4, v9
	v_mul_lo_u32 v16, s15, v5
	v_mul_lo_u32 v17, s14, v6
	v_mad_u64_u32 v[9:10], null, s14, v5, 0
	v_mad_u64_u32 v[11:12], null, s49, v27, v[4:5]
	v_lshl_or_b32 v4, v13, 7, v15
	s_addc_u32 s1, s47, s1
	s_lshl_b64 s[16:17], s[16:17], 4
	s_load_dwordx2 s[14:15], s[0:1], 0x0
	v_add3_u32 v10, v10, v17, v16
	v_add_nc_u32_e32 v29, 0x1000, v4
	v_mov_b32_e32 v4, v11
	v_cmp_gt_i64_e64 s0, s[38:39], v[5:6]
	s_lshl_b64 s[6:7], s[6:7], 9
	v_lshlrev_b64 v[5:6], 4, v[9:10]
	s_lshl_b64 s[28:29], s[50:51], 4
	v_lshlrev_b64 v[3:4], 4, v[3:4]
	v_mov_b32_e32 v8, s9
	v_lshl_or_b32 v28, v27, 9, v14
	v_mov_b32_e32 v12, 0
	v_add_co_u32 v5, s1, v5, s16
	v_add_co_ci_u32_e64 v6, null, s17, v6, s1
	s_add_u32 s1, s28, s6
	s_addc_u32 s6, s29, s7
	v_add_co_u32 v3, s1, s1, v3
	v_add_co_ci_u32_e64 v4, null, s6, v4, s1
	v_add_co_u32 v5, s1, v5, v15
	v_add_co_ci_u32_e64 v6, null, 0, v6, s1
	;; [unrolled: 2-line block ×3, first 2 shown]
	s_waitcnt lgkmcnt(0)
	v_add_co_u32 v22, s1, s12, v5
	v_cmp_gt_i64_e32 vcc_lo, s[36:37], v[7:8]
	v_add_co_ci_u32_e64 v23, null, s13, v6, s1
	v_add_co_u32 v24, s1, s14, v3
	v_mov_b32_e32 v8, 0
	v_mov_b32_e32 v6, 0
	;; [unrolled: 1-line block ×7, first 2 shown]
	v_lshlrev_b32_e32 v30, 4, v0
	v_lshl_add_u32 v31, v1, 7, 0x1000
	v_add_co_ci_u32_e64 v25, null, s15, v4, s1
	v_mov_b32_e32 v9, 0
	v_mov_b32_e32 v7, 0
	;; [unrolled: 1-line block ×8, first 2 shown]
	s_lshl_b64 s[6:7], s[48:49], 7
	s_mov_b64 s[12:13], 0
	s_xor_b32 s1, vcc_lo, -1
	s_xor_b32 s0, s0, -1
	s_branch .LBB269_3
.LBB269_2:                              ;   in Loop: Header=BB269_3 Depth=1
	s_or_b32 exec_lo, exec_lo, s14
	s_waitcnt lgkmcnt(0)
	s_barrier
	buffer_gl0_inv
	ds_read_b128 v[32:35], v31
	ds_read_b128 v[36:39], v30
	ds_read_b128 v[40:43], v30 offset:256
	ds_read_b128 v[44:47], v31 offset:2048
	;; [unrolled: 1-line block ×12, first 2 shown]
	s_add_u32 s12, s12, 8
	s_addc_u32 s13, s13, 0
	v_add_co_u32 v22, vcc_lo, 0x80, v22
	v_cmp_lt_i64_e64 s14, s[12:13], s[40:41]
	v_add_co_ci_u32_e64 v23, null, 0, v23, vcc_lo
	s_waitcnt lgkmcnt(12)
	v_mul_f64 v[3:4], v[34:35], v[38:39]
	v_mul_f64 v[88:89], v[32:33], v[38:39]
	s_waitcnt lgkmcnt(11)
	v_mul_f64 v[90:91], v[34:35], v[42:43]
	v_mul_f64 v[92:93], v[32:33], v[42:43]
	;; [unrolled: 3-line block ×3, first 2 shown]
	v_mul_f64 v[96:97], v[46:47], v[42:43]
	v_mul_f64 v[42:43], v[44:45], v[42:43]
	s_waitcnt lgkmcnt(8)
	v_mul_f64 v[98:99], v[50:51], v[54:55]
	v_mul_f64 v[100:101], v[48:49], v[54:55]
	s_waitcnt lgkmcnt(7)
	;; [unrolled: 3-line block ×3, first 2 shown]
	v_mul_f64 v[106:107], v[62:63], v[54:55]
	v_mul_f64 v[54:55], v[60:61], v[54:55]
	v_mul_f64 v[108:109], v[62:63], v[58:59]
	v_mul_f64 v[58:59], v[60:61], v[58:59]
	s_waitcnt lgkmcnt(4)
	v_mul_f64 v[110:111], v[66:67], v[70:71]
	v_mul_f64 v[112:113], v[64:65], v[70:71]
	s_waitcnt lgkmcnt(3)
	v_mul_f64 v[114:115], v[66:67], v[74:75]
	v_mul_f64 v[116:117], v[64:65], v[74:75]
	;; [unrolled: 3-line block ×3, first 2 shown]
	v_fma_f64 v[3:4], v[32:33], v[36:37], -v[3:4]
	v_fma_f64 v[88:89], v[34:35], v[36:37], v[88:89]
	v_fma_f64 v[90:91], v[32:33], v[40:41], -v[90:91]
	v_fma_f64 v[92:93], v[34:35], v[40:41], v[92:93]
	;; [unrolled: 2-line block ×4, first 2 shown]
	v_mul_f64 v[124:125], v[78:79], v[74:75]
	v_mul_f64 v[74:75], v[76:77], v[74:75]
	ds_read_b128 v[32:35], v30 offset:1536
	ds_read_b128 v[36:39], v30 offset:1792
	v_fma_f64 v[98:99], v[48:49], v[52:53], -v[98:99]
	v_fma_f64 v[100:101], v[50:51], v[52:53], v[100:101]
	v_fma_f64 v[102:103], v[48:49], v[56:57], -v[102:103]
	v_fma_f64 v[104:105], v[50:51], v[56:57], v[104:105]
	;; [unrolled: 2-line block ×7, first 2 shown]
	v_add_f64 v[18:19], v[18:19], v[3:4]
	v_add_f64 v[20:21], v[88:89], v[20:21]
	;; [unrolled: 1-line block ×4, first 2 shown]
	s_waitcnt lgkmcnt(1)
	v_mul_f64 v[110:111], v[82:83], v[34:35]
	v_mul_f64 v[112:113], v[80:81], v[34:35]
	s_waitcnt lgkmcnt(0)
	v_mul_f64 v[70:71], v[82:83], v[38:39]
	v_mul_f64 v[114:115], v[80:81], v[38:39]
	v_fma_f64 v[76:77], v[76:77], v[72:73], -v[124:125]
	v_fma_f64 v[72:73], v[78:79], v[72:73], v[74:75]
	v_add_f64 v[74:75], v[10:11], v[94:95]
	v_add_f64 v[11:12], v[120:121], v[12:13]
	;; [unrolled: 1-line block ×4, first 2 shown]
	ds_read_b128 v[40:43], v31 offset:64
	ds_read_b128 v[44:47], v30 offset:2048
	;; [unrolled: 1-line block ×4, first 2 shown]
	v_mul_f64 v[116:117], v[86:87], v[34:35]
	v_mul_f64 v[34:35], v[84:85], v[34:35]
	;; [unrolled: 1-line block ×4, first 2 shown]
	ds_read_b128 v[48:51], v30 offset:2304
	v_add_f64 v[98:99], v[18:19], v[98:99]
	v_add_f64 v[19:20], v[100:101], v[20:21]
	v_add_f64 v[100:101], v[14:15], v[102:103]
	v_add_f64 v[102:103], v[104:105], v[16:17]
	v_fma_f64 v[92:93], v[80:81], v[32:33], -v[110:111]
	v_fma_f64 v[94:95], v[82:83], v[32:33], v[112:113]
	v_fma_f64 v[70:71], v[80:81], v[36:37], -v[70:71]
	v_fma_f64 v[82:83], v[82:83], v[36:37], v[114:115]
	ds_read_b128 v[3:6], v31 offset:80
	ds_read_b128 v[15:18], v30 offset:2816
	v_add_f64 v[74:75], v[74:75], v[106:107]
	v_add_f64 v[104:105], v[126:127], v[11:12]
	s_waitcnt lgkmcnt(5)
	v_mul_f64 v[80:81], v[42:43], v[46:47]
	v_mul_f64 v[96:97], v[40:41], v[46:47]
	s_waitcnt lgkmcnt(4)
	v_mul_f64 v[114:115], v[54:55], v[46:47]
	v_mul_f64 v[46:47], v[52:53], v[46:47]
	v_add_f64 v[60:61], v[78:79], v[60:61]
	v_add_f64 v[56:57], v[56:57], v[88:89]
	v_fma_f64 v[78:79], v[84:85], v[32:33], -v[116:117]
	v_fma_f64 v[88:89], v[86:87], v[32:33], v[34:35]
	ds_read_b128 v[11:14], v30 offset:2560
	s_waitcnt lgkmcnt(3)
	v_mul_f64 v[110:111], v[42:43], v[50:51]
	v_mul_f64 v[112:113], v[40:41], v[50:51]
	v_fma_f64 v[84:85], v[84:85], v[36:37], -v[90:91]
	v_fma_f64 v[86:87], v[86:87], v[36:37], v[38:39]
	v_mul_f64 v[36:37], v[54:55], v[50:51]
	v_mul_f64 v[38:39], v[52:53], v[50:51]
	v_add_co_u32 v24, vcc_lo, v24, s6
	v_add_co_ci_u32_e64 v25, null, s7, v25, vcc_lo
	s_and_b32 vcc_lo, exec_lo, s14
	v_add_f64 v[68:69], v[68:69], v[104:105]
	v_fma_f64 v[80:81], v[40:41], v[44:45], -v[80:81]
	v_fma_f64 v[90:91], v[42:43], v[44:45], v[96:97]
	v_fma_f64 v[50:51], v[52:53], v[44:45], -v[114:115]
	v_fma_f64 v[44:45], v[54:55], v[44:45], v[46:47]
	v_add_f64 v[46:47], v[98:99], v[58:59]
	v_add_f64 v[58:59], v[62:63], v[19:20]
	;; [unrolled: 1-line block ×7, first 2 shown]
	v_fma_f64 v[96:97], v[40:41], v[48:49], -v[110:111]
	v_fma_f64 v[106:107], v[42:43], v[48:49], v[112:113]
	s_waitcnt lgkmcnt(0)
	v_mul_f64 v[72:73], v[5:6], v[13:14]
	v_mul_f64 v[74:75], v[3:4], v[13:14]
	;; [unrolled: 1-line block ×8, first 2 shown]
	v_fma_f64 v[52:53], v[52:53], v[48:49], -v[36:37]
	v_fma_f64 v[48:49], v[54:55], v[48:49], v[38:39]
	ds_read_b128 v[17:20], v31 offset:96
	ds_read_b128 v[32:35], v30 offset:3072
	;; [unrolled: 1-line block ×4, first 2 shown]
	v_add_f64 v[46:47], v[46:47], v[92:93]
	v_add_f64 v[54:55], v[94:95], v[58:59]
	;; [unrolled: 1-line block ×8, first 2 shown]
	v_fma_f64 v[68:69], v[3:4], v[11:12], -v[72:73]
	v_fma_f64 v[70:71], v[5:6], v[11:12], v[74:75]
	v_fma_f64 v[72:73], v[3:4], v[15:16], -v[76:77]
	v_fma_f64 v[74:75], v[5:6], v[15:16], v[98:99]
	;; [unrolled: 2-line block ×4, first 2 shown]
	s_waitcnt lgkmcnt(2)
	v_mul_f64 v[84:85], v[19:20], v[34:35]
	v_mul_f64 v[86:87], v[17:18], v[34:35]
	s_waitcnt lgkmcnt(1)
	v_mul_f64 v[88:89], v[19:20], v[38:39]
	v_mul_f64 v[92:93], v[17:18], v[38:39]
	;; [unrolled: 3-line block ×3, first 2 shown]
	v_add_f64 v[80:81], v[46:47], v[80:81]
	v_add_f64 v[54:55], v[90:91], v[54:55]
	;; [unrolled: 1-line block ×8, first 2 shown]
	v_mul_f64 v[56:57], v[42:43], v[38:39]
	v_mul_f64 v[38:39], v[40:41], v[38:39]
	ds_read_b128 v[3:6], v31 offset:112
	ds_read_b128 v[7:10], v31 offset:2160
	;; [unrolled: 1-line block ×4, first 2 shown]
	s_waitcnt lgkmcnt(0)
	s_barrier
	buffer_gl0_inv
	v_fma_f64 v[60:61], v[17:18], v[32:33], -v[84:85]
	v_fma_f64 v[66:67], v[19:20], v[32:33], v[86:87]
	v_fma_f64 v[17:18], v[17:18], v[36:37], -v[88:89]
	v_fma_f64 v[19:20], v[19:20], v[36:37], v[92:93]
	;; [unrolled: 2-line block ×3, first 2 shown]
	v_add_f64 v[34:35], v[80:81], v[68:69]
	v_add_f64 v[54:55], v[70:71], v[54:55]
	;; [unrolled: 1-line block ×8, first 2 shown]
	v_fma_f64 v[40:41], v[40:41], v[36:37], -v[56:57]
	v_fma_f64 v[36:37], v[42:43], v[36:37], v[38:39]
	v_mul_f64 v[38:39], v[5:6], v[13:14]
	v_mul_f64 v[42:43], v[3:4], v[13:14]
	;; [unrolled: 1-line block ×8, first 2 shown]
	v_add_f64 v[34:35], v[34:35], v[60:61]
	v_add_f64 v[54:55], v[66:67], v[54:55]
	;; [unrolled: 1-line block ×8, first 2 shown]
	v_fma_f64 v[15:16], v[3:4], v[11:12], -v[38:39]
	v_fma_f64 v[20:21], v[5:6], v[11:12], v[42:43]
	v_fma_f64 v[3:4], v[3:4], v[44:45], -v[48:49]
	v_fma_f64 v[5:6], v[5:6], v[44:45], v[56:57]
	v_fma_f64 v[38:39], v[7:8], v[11:12], -v[68:69]
	v_fma_f64 v[12:13], v[9:10], v[11:12], v[13:14]
	v_fma_f64 v[7:8], v[7:8], v[44:45], -v[70:71]
	v_fma_f64 v[42:43], v[9:10], v[44:45], v[46:47]
	v_add_f64 v[18:19], v[34:35], v[15:16]
	v_add_f64 v[20:21], v[20:21], v[54:55]
	;; [unrolled: 1-line block ×8, first 2 shown]
	s_cbranch_vccz .LBB269_12
.LBB269_3:                              ; =>This Inner Loop Header: Depth=1
	v_add_co_u32 v3, s14, v27, s12
	v_add_co_ci_u32_e64 v4, null, 0, s13, s14
	v_cmp_le_i64_e32 vcc_lo, s[40:41], v[3:4]
	s_or_b32 s14, s1, vcc_lo
	s_and_saveexec_b32 s15, s14
	s_xor_b32 s14, exec_lo, s15
	s_cbranch_execz .LBB269_5
; %bb.4:                                ;   in Loop: Header=BB269_3 Depth=1
	v_mov_b32_e32 v3, v2
	v_mov_b32_e32 v4, v2
	;; [unrolled: 1-line block ×3, first 2 shown]
	ds_write_b128 v28, v[2:5]
.LBB269_5:                              ;   in Loop: Header=BB269_3 Depth=1
	s_andn2_saveexec_b32 s14, s14
	s_cbranch_execz .LBB269_7
; %bb.6:                                ;   in Loop: Header=BB269_3 Depth=1
	flat_load_dwordx4 v[32:35], v[24:25]
	s_waitcnt vmcnt(0) lgkmcnt(0)
	ds_write2_b64 v28, v[32:33], v[34:35] offset1:1
.LBB269_7:                              ;   in Loop: Header=BB269_3 Depth=1
	s_or_b32 exec_lo, exec_lo, s14
	v_add_co_u32 v3, s14, v26, s12
	v_add_co_ci_u32_e64 v4, null, 0, s13, s14
	v_cmp_le_i64_e32 vcc_lo, s[40:41], v[3:4]
	s_or_b32 s14, vcc_lo, s0
	s_and_saveexec_b32 s15, s14
	s_xor_b32 s14, exec_lo, s15
	s_cbranch_execz .LBB269_9
; %bb.8:                                ;   in Loop: Header=BB269_3 Depth=1
	v_mov_b32_e32 v3, v2
	v_mov_b32_e32 v4, v2
	;; [unrolled: 1-line block ×3, first 2 shown]
	ds_write_b128 v29, v[2:5]
.LBB269_9:                              ;   in Loop: Header=BB269_3 Depth=1
	s_andn2_saveexec_b32 s14, s14
	s_cbranch_execz .LBB269_2
; %bb.10:                               ;   in Loop: Header=BB269_3 Depth=1
	flat_load_dwordx4 v[32:35], v[22:23]
	s_waitcnt vmcnt(0) lgkmcnt(0)
	ds_write2_b64 v29, v[32:33], v[34:35] offset1:1
	s_branch .LBB269_2
.LBB269_11:
	v_mov_b32_e32 v18, 0
	v_mov_b32_e32 v20, 0
	v_mov_b32_e32 v14, 0
	v_mov_b32_e32 v16, 0
	v_mov_b32_e32 v10, 0
	v_mov_b32_e32 v12, 0
	v_mov_b32_e32 v6, 0
	v_mov_b32_e32 v8, 0
	v_mov_b32_e32 v19, 0
	v_mov_b32_e32 v21, 0
	v_mov_b32_e32 v15, 0
	v_mov_b32_e32 v17, 0
	v_mov_b32_e32 v11, 0
	v_mov_b32_e32 v13, 0
	v_mov_b32_e32 v7, 0
	v_mov_b32_e32 v9, 0
.LBB269_12:
	v_cmp_neq_f64_e64 s7, s[18:19], 0
	v_cmp_neq_f64_e64 s12, s[20:21], 0
	s_lshl_b64 s[0:1], s[2:3], 4
	v_add_co_u32 v1, s2, s22, v1
	v_add_co_ci_u32_e64 v2, null, s23, 0, s2
	s_waitcnt lgkmcnt(0)
	s_add_u32 s3, s10, s0
	s_addc_u32 s6, s11, s1
	v_cmp_gt_i64_e64 s0, s[38:39], v[1:2]
	s_or_b32 s1, s7, s12
	s_and_b32 vcc_lo, exec_lo, s1
	s_mov_b32 s1, -1
	s_cbranch_vccnz .LBB269_24
; %bb.13:
	s_and_saveexec_b32 s7, s0
	s_cbranch_execz .LBB269_23
; %bb.14:
	v_mul_lo_u32 v5, v2, s30
	v_mul_lo_u32 v22, v1, s31
	v_mad_u64_u32 v[3:4], null, v1, s30, 0
	v_add3_u32 v4, v4, v22, v5
	v_add_co_u32 v22, s1, s8, v0
	v_add_co_ci_u32_e64 v23, null, s9, 0, s1
	v_lshlrev_b64 v[24:25], 4, v[3:4]
	v_cmp_gt_i64_e32 vcc_lo, s[36:37], v[22:23]
	v_lshlrev_b64 v[3:4], 4, v[22:23]
	v_add_co_u32 v5, s1, s3, v24
	v_add_co_ci_u32_e64 v24, null, s6, v25, s1
	s_and_saveexec_b32 s2, vcc_lo
	s_cbranch_execz .LBB269_16
; %bb.15:
	v_mul_f64 v[25:26], s[44:45], v[20:21]
	v_mul_f64 v[27:28], s[42:43], v[20:21]
	v_add_co_u32 v29, s1, v5, v3
	v_add_co_ci_u32_e64 v30, null, v24, v4, s1
	v_fma_f64 v[25:26], s[42:43], v[18:19], -v[25:26]
	v_fma_f64 v[27:28], s[44:45], v[18:19], v[27:28]
	flat_store_dwordx4 v[29:30], v[25:28]
.LBB269_16:
	s_or_b32 exec_lo, exec_lo, s2
	v_add_co_u32 v22, s1, v22, 16
	v_add_co_ci_u32_e64 v23, null, 0, v23, s1
	v_cmp_gt_i64_e64 s1, s[36:37], v[22:23]
	s_and_saveexec_b32 s10, s1
	s_cbranch_execz .LBB269_18
; %bb.17:
	v_mul_f64 v[22:23], s[44:45], v[16:17]
	v_mul_f64 v[27:28], s[42:43], v[16:17]
	v_fma_f64 v[25:26], s[42:43], v[14:15], -v[22:23]
	v_fma_f64 v[27:28], s[44:45], v[14:15], v[27:28]
	v_add_co_u32 v22, s2, v5, v3
	v_add_co_ci_u32_e64 v23, null, v24, v4, s2
	flat_store_dwordx4 v[22:23], v[25:28] offset:256
.LBB269_18:
	s_or_b32 exec_lo, exec_lo, s10
	v_add_co_u32 v22, s2, v1, 16
	v_add_co_ci_u32_e64 v23, null, 0, v2, s2
	v_cmp_gt_i64_e64 s2, s[38:39], v[22:23]
	s_and_b32 exec_lo, exec_lo, s2
	s_cbranch_execz .LBB269_23
; %bb.19:
	s_lshl_b64 s[10:11], s[30:31], 8
	v_add_co_u32 v5, s2, v5, s10
	v_add_co_ci_u32_e64 v22, null, s11, v24, s2
	v_add_co_u32 v3, s2, v5, v3
	v_add_co_ci_u32_e64 v4, null, v22, v4, s2
	s_and_saveexec_b32 s2, vcc_lo
	s_cbranch_execz .LBB269_21
; %bb.20:
	v_mul_f64 v[22:23], s[44:45], v[12:13]
	v_mul_f64 v[24:25], s[42:43], v[12:13]
	v_fma_f64 v[22:23], s[42:43], v[10:11], -v[22:23]
	v_fma_f64 v[24:25], s[44:45], v[10:11], v[24:25]
	flat_store_dwordx4 v[3:4], v[22:25]
.LBB269_21:
	s_or_b32 exec_lo, exec_lo, s2
	s_and_b32 exec_lo, exec_lo, s1
	s_cbranch_execz .LBB269_23
; %bb.22:
	v_mul_f64 v[22:23], s[44:45], v[8:9]
	v_mul_f64 v[24:25], s[42:43], v[8:9]
	v_fma_f64 v[22:23], s[42:43], v[6:7], -v[22:23]
	v_fma_f64 v[24:25], s[44:45], v[6:7], v[24:25]
	flat_store_dwordx4 v[3:4], v[22:25] offset:256
.LBB269_23:
	s_or_b32 exec_lo, exec_lo, s7
	s_mov_b32 s1, 0
.LBB269_24:
	s_andn2_b32 vcc_lo, exec_lo, s1
	s_cbranch_vccnz .LBB269_35
; %bb.25:
	s_and_saveexec_b32 s1, s0
	s_cbranch_execz .LBB269_35
; %bb.26:
	v_mul_lo_u32 v5, v2, s24
	v_mul_lo_u32 v22, v1, s25
	v_mad_u64_u32 v[3:4], null, v1, s24, 0
	v_mul_lo_u32 v26, v2, s30
	v_mul_lo_u32 v27, v1, s31
	v_mad_u64_u32 v[24:25], null, v1, s30, 0
	s_lshl_b64 s[0:1], s[26:27], 4
	v_add3_u32 v4, v4, v22, v5
	v_add_co_u32 v22, s2, s8, v0
	v_add_co_ci_u32_e64 v23, null, s9, 0, s2
	v_add3_u32 v25, v25, v27, v26
	v_lshlrev_b64 v[3:4], 4, v[3:4]
	s_add_u32 s0, s4, s0
	s_addc_u32 s1, s5, s1
	v_cmp_gt_i64_e32 vcc_lo, s[36:37], v[22:23]
	v_lshlrev_b64 v[24:25], 4, v[24:25]
	v_add_co_u32 v0, s0, s0, v3
	v_add_co_ci_u32_e64 v5, null, s1, v4, s0
	v_add_co_u32 v24, s0, s3, v24
	v_lshlrev_b64 v[3:4], 4, v[22:23]
	v_add_co_ci_u32_e64 v25, null, s6, v25, s0
	s_and_saveexec_b32 s1, vcc_lo
	s_cbranch_execz .LBB269_28
; %bb.27:
	v_add_co_u32 v26, s0, v0, v3
	v_add_co_ci_u32_e64 v27, null, v5, v4, s0
	v_mul_f64 v[30:31], s[44:45], v[20:21]
	v_mul_f64 v[20:21], s[42:43], v[20:21]
	flat_load_dwordx4 v[26:29], v[26:27]
	v_fma_f64 v[30:31], s[42:43], v[18:19], -v[30:31]
	v_fma_f64 v[20:21], s[44:45], v[18:19], v[20:21]
	s_waitcnt vmcnt(0) lgkmcnt(0)
	v_mul_f64 v[32:33], s[20:21], v[28:29]
	v_mul_f64 v[28:29], s[18:19], v[28:29]
	v_fma_f64 v[18:19], s[18:19], v[26:27], -v[32:33]
	v_fma_f64 v[26:27], s[20:21], v[26:27], v[28:29]
	v_add_f64 v[18:19], v[30:31], v[18:19]
	v_add_f64 v[20:21], v[20:21], v[26:27]
	v_add_co_u32 v26, s0, v24, v3
	v_add_co_ci_u32_e64 v27, null, v25, v4, s0
	flat_store_dwordx4 v[26:27], v[18:21]
.LBB269_28:
	s_or_b32 exec_lo, exec_lo, s1
	v_add_co_u32 v18, s0, v22, 16
	v_add_co_ci_u32_e64 v19, null, 0, v23, s0
	v_cmp_gt_i64_e64 s0, s[36:37], v[18:19]
	s_and_saveexec_b32 s2, s0
	s_cbranch_execz .LBB269_30
; %bb.29:
	v_add_co_u32 v18, s1, v0, v3
	v_add_co_ci_u32_e64 v19, null, v5, v4, s1
	v_mul_f64 v[22:23], s[44:45], v[16:17]
	v_mul_f64 v[16:17], s[42:43], v[16:17]
	flat_load_dwordx4 v[18:21], v[18:19] offset:256
	v_fma_f64 v[22:23], s[42:43], v[14:15], -v[22:23]
	v_fma_f64 v[16:17], s[44:45], v[14:15], v[16:17]
	s_waitcnt vmcnt(0) lgkmcnt(0)
	v_mul_f64 v[26:27], s[20:21], v[20:21]
	v_mul_f64 v[20:21], s[18:19], v[20:21]
	v_fma_f64 v[14:15], s[18:19], v[18:19], -v[26:27]
	v_fma_f64 v[18:19], s[20:21], v[18:19], v[20:21]
	v_add_f64 v[14:15], v[22:23], v[14:15]
	v_add_f64 v[16:17], v[16:17], v[18:19]
	v_add_co_u32 v18, s1, v24, v3
	v_add_co_ci_u32_e64 v19, null, v25, v4, s1
	flat_store_dwordx4 v[18:19], v[14:17] offset:256
.LBB269_30:
	s_or_b32 exec_lo, exec_lo, s2
	v_add_co_u32 v1, s1, v1, 16
	v_add_co_ci_u32_e64 v2, null, 0, v2, s1
	v_cmp_gt_i64_e64 s1, s[38:39], v[1:2]
	s_and_b32 exec_lo, exec_lo, s1
	s_cbranch_execz .LBB269_35
; %bb.31:
	s_lshl_b64 s[2:3], s[24:25], 8
	v_add_co_u32 v0, s1, v0, s2
	v_add_co_ci_u32_e64 v1, null, s3, v5, s1
	s_lshl_b64 s[2:3], s[30:31], 8
	v_add_co_u32 v2, s1, v24, s2
	v_add_co_ci_u32_e64 v5, null, s3, v25, s1
	v_add_co_u32 v14, s1, v0, v3
	v_add_co_ci_u32_e64 v15, null, v1, v4, s1
	;; [unrolled: 2-line block ×3, first 2 shown]
	s_and_saveexec_b32 s1, vcc_lo
	s_cbranch_execz .LBB269_33
; %bb.32:
	flat_load_dwordx4 v[2:5], v[14:15]
	v_mul_f64 v[16:17], s[44:45], v[12:13]
	v_mul_f64 v[12:13], s[42:43], v[12:13]
	v_fma_f64 v[16:17], s[42:43], v[10:11], -v[16:17]
	v_fma_f64 v[10:11], s[44:45], v[10:11], v[12:13]
	s_waitcnt vmcnt(0) lgkmcnt(0)
	v_mul_f64 v[18:19], s[20:21], v[4:5]
	v_mul_f64 v[4:5], s[18:19], v[4:5]
	v_fma_f64 v[12:13], s[18:19], v[2:3], -v[18:19]
	v_fma_f64 v[4:5], s[20:21], v[2:3], v[4:5]
	v_add_f64 v[2:3], v[16:17], v[12:13]
	v_add_f64 v[4:5], v[10:11], v[4:5]
	flat_store_dwordx4 v[0:1], v[2:5]
.LBB269_33:
	s_or_b32 exec_lo, exec_lo, s1
	s_and_b32 exec_lo, exec_lo, s0
	s_cbranch_execz .LBB269_35
; %bb.34:
	flat_load_dwordx4 v[2:5], v[14:15] offset:256
	v_mul_f64 v[10:11], s[44:45], v[8:9]
	v_mul_f64 v[8:9], s[42:43], v[8:9]
	v_fma_f64 v[10:11], s[42:43], v[6:7], -v[10:11]
	v_fma_f64 v[6:7], s[44:45], v[6:7], v[8:9]
	s_waitcnt vmcnt(0) lgkmcnt(0)
	v_mul_f64 v[12:13], s[20:21], v[4:5]
	v_mul_f64 v[4:5], s[18:19], v[4:5]
	v_fma_f64 v[8:9], s[18:19], v[2:3], -v[12:13]
	v_fma_f64 v[4:5], s[20:21], v[2:3], v[4:5]
	v_add_f64 v[2:3], v[10:11], v[8:9]
	v_add_f64 v[4:5], v[6:7], v[4:5]
	flat_store_dwordx4 v[0:1], v[2:5] offset:256
.LBB269_35:
	s_endpgm
	.section	.rodata,"a",@progbits
	.p2align	6, 0x0
	.amdhsa_kernel _ZN12_GLOBAL__N_135rocblas_gemm_batched_general_kernelI19rocblas_complex_numIdELi16ELi16ELi32ELi32ELi8ELi32ELi8ELi8ELi32ELc78ELc78EKPKS2_S5_KPS2_EEvlllT_PT11_llSA_llS8_PT12_llPT13_lli
		.amdhsa_group_segment_fixed_size 8192
		.amdhsa_private_segment_fixed_size 0
		.amdhsa_kernarg_size 156
		.amdhsa_user_sgpr_count 6
		.amdhsa_user_sgpr_private_segment_buffer 1
		.amdhsa_user_sgpr_dispatch_ptr 0
		.amdhsa_user_sgpr_queue_ptr 0
		.amdhsa_user_sgpr_kernarg_segment_ptr 1
		.amdhsa_user_sgpr_dispatch_id 0
		.amdhsa_user_sgpr_flat_scratch_init 0
		.amdhsa_user_sgpr_private_segment_size 0
		.amdhsa_wavefront_size32 1
		.amdhsa_uses_dynamic_stack 0
		.amdhsa_system_sgpr_private_segment_wavefront_offset 0
		.amdhsa_system_sgpr_workgroup_id_x 1
		.amdhsa_system_sgpr_workgroup_id_y 1
		.amdhsa_system_sgpr_workgroup_id_z 1
		.amdhsa_system_sgpr_workgroup_info 0
		.amdhsa_system_vgpr_workitem_id 1
		.amdhsa_next_free_vgpr 128
		.amdhsa_next_free_sgpr 52
		.amdhsa_reserve_vcc 1
		.amdhsa_reserve_flat_scratch 0
		.amdhsa_float_round_mode_32 0
		.amdhsa_float_round_mode_16_64 0
		.amdhsa_float_denorm_mode_32 3
		.amdhsa_float_denorm_mode_16_64 3
		.amdhsa_dx10_clamp 1
		.amdhsa_ieee_mode 1
		.amdhsa_fp16_overflow 0
		.amdhsa_workgroup_processor_mode 1
		.amdhsa_memory_ordered 1
		.amdhsa_forward_progress 1
		.amdhsa_shared_vgpr_count 0
		.amdhsa_exception_fp_ieee_invalid_op 0
		.amdhsa_exception_fp_denorm_src 0
		.amdhsa_exception_fp_ieee_div_zero 0
		.amdhsa_exception_fp_ieee_overflow 0
		.amdhsa_exception_fp_ieee_underflow 0
		.amdhsa_exception_fp_ieee_inexact 0
		.amdhsa_exception_int_div_zero 0
	.end_amdhsa_kernel
	.section	.text._ZN12_GLOBAL__N_135rocblas_gemm_batched_general_kernelI19rocblas_complex_numIdELi16ELi16ELi32ELi32ELi8ELi32ELi8ELi8ELi32ELc78ELc78EKPKS2_S5_KPS2_EEvlllT_PT11_llSA_llS8_PT12_llPT13_lli,"axG",@progbits,_ZN12_GLOBAL__N_135rocblas_gemm_batched_general_kernelI19rocblas_complex_numIdELi16ELi16ELi32ELi32ELi8ELi32ELi8ELi8ELi32ELc78ELc78EKPKS2_S5_KPS2_EEvlllT_PT11_llSA_llS8_PT12_llPT13_lli,comdat
.Lfunc_end269:
	.size	_ZN12_GLOBAL__N_135rocblas_gemm_batched_general_kernelI19rocblas_complex_numIdELi16ELi16ELi32ELi32ELi8ELi32ELi8ELi8ELi32ELc78ELc78EKPKS2_S5_KPS2_EEvlllT_PT11_llSA_llS8_PT12_llPT13_lli, .Lfunc_end269-_ZN12_GLOBAL__N_135rocblas_gemm_batched_general_kernelI19rocblas_complex_numIdELi16ELi16ELi32ELi32ELi8ELi32ELi8ELi8ELi32ELc78ELc78EKPKS2_S5_KPS2_EEvlllT_PT11_llSA_llS8_PT12_llPT13_lli
                                        ; -- End function
	.set _ZN12_GLOBAL__N_135rocblas_gemm_batched_general_kernelI19rocblas_complex_numIdELi16ELi16ELi32ELi32ELi8ELi32ELi8ELi8ELi32ELc78ELc78EKPKS2_S5_KPS2_EEvlllT_PT11_llSA_llS8_PT12_llPT13_lli.num_vgpr, 128
	.set _ZN12_GLOBAL__N_135rocblas_gemm_batched_general_kernelI19rocblas_complex_numIdELi16ELi16ELi32ELi32ELi8ELi32ELi8ELi8ELi32ELc78ELc78EKPKS2_S5_KPS2_EEvlllT_PT11_llSA_llS8_PT12_llPT13_lli.num_agpr, 0
	.set _ZN12_GLOBAL__N_135rocblas_gemm_batched_general_kernelI19rocblas_complex_numIdELi16ELi16ELi32ELi32ELi8ELi32ELi8ELi8ELi32ELc78ELc78EKPKS2_S5_KPS2_EEvlllT_PT11_llSA_llS8_PT12_llPT13_lli.numbered_sgpr, 52
	.set _ZN12_GLOBAL__N_135rocblas_gemm_batched_general_kernelI19rocblas_complex_numIdELi16ELi16ELi32ELi32ELi8ELi32ELi8ELi8ELi32ELc78ELc78EKPKS2_S5_KPS2_EEvlllT_PT11_llSA_llS8_PT12_llPT13_lli.num_named_barrier, 0
	.set _ZN12_GLOBAL__N_135rocblas_gemm_batched_general_kernelI19rocblas_complex_numIdELi16ELi16ELi32ELi32ELi8ELi32ELi8ELi8ELi32ELc78ELc78EKPKS2_S5_KPS2_EEvlllT_PT11_llSA_llS8_PT12_llPT13_lli.private_seg_size, 0
	.set _ZN12_GLOBAL__N_135rocblas_gemm_batched_general_kernelI19rocblas_complex_numIdELi16ELi16ELi32ELi32ELi8ELi32ELi8ELi8ELi32ELc78ELc78EKPKS2_S5_KPS2_EEvlllT_PT11_llSA_llS8_PT12_llPT13_lli.uses_vcc, 1
	.set _ZN12_GLOBAL__N_135rocblas_gemm_batched_general_kernelI19rocblas_complex_numIdELi16ELi16ELi32ELi32ELi8ELi32ELi8ELi8ELi32ELc78ELc78EKPKS2_S5_KPS2_EEvlllT_PT11_llSA_llS8_PT12_llPT13_lli.uses_flat_scratch, 0
	.set _ZN12_GLOBAL__N_135rocblas_gemm_batched_general_kernelI19rocblas_complex_numIdELi16ELi16ELi32ELi32ELi8ELi32ELi8ELi8ELi32ELc78ELc78EKPKS2_S5_KPS2_EEvlllT_PT11_llSA_llS8_PT12_llPT13_lli.has_dyn_sized_stack, 0
	.set _ZN12_GLOBAL__N_135rocblas_gemm_batched_general_kernelI19rocblas_complex_numIdELi16ELi16ELi32ELi32ELi8ELi32ELi8ELi8ELi32ELc78ELc78EKPKS2_S5_KPS2_EEvlllT_PT11_llSA_llS8_PT12_llPT13_lli.has_recursion, 0
	.set _ZN12_GLOBAL__N_135rocblas_gemm_batched_general_kernelI19rocblas_complex_numIdELi16ELi16ELi32ELi32ELi8ELi32ELi8ELi8ELi32ELc78ELc78EKPKS2_S5_KPS2_EEvlllT_PT11_llSA_llS8_PT12_llPT13_lli.has_indirect_call, 0
	.section	.AMDGPU.csdata,"",@progbits
; Kernel info:
; codeLenInByte = 4040
; TotalNumSgprs: 54
; NumVgprs: 128
; ScratchSize: 0
; MemoryBound: 0
; FloatMode: 240
; IeeeMode: 1
; LDSByteSize: 8192 bytes/workgroup (compile time only)
; SGPRBlocks: 0
; VGPRBlocks: 15
; NumSGPRsForWavesPerEU: 54
; NumVGPRsForWavesPerEU: 128
; Occupancy: 8
; WaveLimiterHint : 1
; COMPUTE_PGM_RSRC2:SCRATCH_EN: 0
; COMPUTE_PGM_RSRC2:USER_SGPR: 6
; COMPUTE_PGM_RSRC2:TRAP_HANDLER: 0
; COMPUTE_PGM_RSRC2:TGID_X_EN: 1
; COMPUTE_PGM_RSRC2:TGID_Y_EN: 1
; COMPUTE_PGM_RSRC2:TGID_Z_EN: 1
; COMPUTE_PGM_RSRC2:TIDIG_COMP_CNT: 1
	.section	.text._ZN12_GLOBAL__N_135rocblas_gemm_batched_general_kernelI19rocblas_complex_numIdELi16ELi16ELi32ELi32ELi8ELi32ELi8ELi8ELi32ELc84ELc78EKPKS2_S5_KPS2_EEvlllT_PT11_llSA_llS8_PT12_llPT13_lli,"axG",@progbits,_ZN12_GLOBAL__N_135rocblas_gemm_batched_general_kernelI19rocblas_complex_numIdELi16ELi16ELi32ELi32ELi8ELi32ELi8ELi8ELi32ELc84ELc78EKPKS2_S5_KPS2_EEvlllT_PT11_llSA_llS8_PT12_llPT13_lli,comdat
	.globl	_ZN12_GLOBAL__N_135rocblas_gemm_batched_general_kernelI19rocblas_complex_numIdELi16ELi16ELi32ELi32ELi8ELi32ELi8ELi8ELi32ELc84ELc78EKPKS2_S5_KPS2_EEvlllT_PT11_llSA_llS8_PT12_llPT13_lli ; -- Begin function _ZN12_GLOBAL__N_135rocblas_gemm_batched_general_kernelI19rocblas_complex_numIdELi16ELi16ELi32ELi32ELi8ELi32ELi8ELi8ELi32ELc84ELc78EKPKS2_S5_KPS2_EEvlllT_PT11_llSA_llS8_PT12_llPT13_lli
	.p2align	8
	.type	_ZN12_GLOBAL__N_135rocblas_gemm_batched_general_kernelI19rocblas_complex_numIdELi16ELi16ELi32ELi32ELi8ELi32ELi8ELi8ELi32ELc84ELc78EKPKS2_S5_KPS2_EEvlllT_PT11_llSA_llS8_PT12_llPT13_lli,@function
_ZN12_GLOBAL__N_135rocblas_gemm_batched_general_kernelI19rocblas_complex_numIdELi16ELi16ELi32ELi32ELi8ELi32ELi8ELi8ELi32ELc84ELc78EKPKS2_S5_KPS2_EEvlllT_PT11_llSA_llS8_PT12_llPT13_lli: ; @_ZN12_GLOBAL__N_135rocblas_gemm_batched_general_kernelI19rocblas_complex_numIdELi16ELi16ELi32ELi32ELi8ELi32ELi8ELi8ELi32ELc84ELc78EKPKS2_S5_KPS2_EEvlllT_PT11_llSA_llS8_PT12_llPT13_lli
; %bb.0:
	s_clause 0x2
	s_load_dwordx16 s[12:27], s[4:5], 0x40
	s_load_dwordx4 s[28:31], s[4:5], 0x80
	s_load_dwordx16 s[36:51], s[4:5], 0x0
	s_mov_b32 s9, 0
	s_load_dwordx2 s[2:3], s[4:5], 0x90
	s_lshl_b64 s[0:1], s[8:9], 3
	s_mov_b32 s10, s7
	v_mov_b32_e32 v2, 0
	s_waitcnt lgkmcnt(0)
	s_add_u32 s4, s22, s0
	s_addc_u32 s5, s23, s1
	s_add_u32 s8, s28, s0
	s_addc_u32 s9, s29, s1
	s_load_dwordx2 s[4:5], s[4:5], 0x0
	s_load_dwordx2 s[8:9], s[8:9], 0x0
	v_cmp_lt_i64_e64 s22, s[40:41], 1
	s_ashr_i32 s7, s6, 31
	s_ashr_i32 s11, s10, 31
	s_lshl_b64 s[6:7], s[6:7], 5
	s_lshl_b64 s[10:11], s[10:11], 5
	s_and_b32 vcc_lo, exec_lo, s22
	s_cbranch_vccnz .LBB270_11
; %bb.1:
	v_lshl_add_u32 v3, v1, 4, v0
	v_mov_b32_e32 v4, s7
	s_add_u32 s12, s12, s0
	v_and_b32_e32 v26, 7, v0
	s_addc_u32 s13, s13, s1
	v_lshrrev_b32_e32 v8, 3, v3
	v_and_b32_e32 v7, 31, v3
	v_lshrrev_b32_e32 v27, 5, v3
	s_add_u32 s0, s46, s0
	s_addc_u32 s1, s47, s1
	v_add_co_u32 v5, s22, v8, s10
	v_or_b32_e32 v3, s6, v7
	v_add_co_ci_u32_e64 v6, null, 0, s11, s22
	v_mul_lo_u32 v9, s15, v5
	s_load_dwordx2 s[12:13], s[12:13], 0x0
	s_load_dwordx2 s[22:23], s[0:1], 0x0
	v_cmp_gt_i64_e32 vcc_lo, s[36:37], v[3:4]
	v_mul_lo_u32 v10, s14, v6
	v_mad_u64_u32 v[3:4], null, s14, v5, 0
	v_add_co_u32 v12, s0, s6, v7
	v_lshlrev_b32_e32 v11, 4, v26
	v_add_co_ci_u32_e64 v13, null, s7, 0, s0
	v_lshlrev_b32_e32 v14, 4, v7
	v_add3_u32 v4, v4, v10, v9
	v_lshl_or_b32 v15, v8, 7, v11
	v_mul_lo_u32 v9, s49, v12
	v_mul_lo_u32 v10, s48, v13
	v_mad_u64_u32 v[7:8], null, s48, v12, 0
	v_lshlrev_b64 v[3:4], 4, v[3:4]
	s_lshl_b64 s[14:15], s[16:17], 4
	v_cmp_gt_i64_e64 s0, s[38:39], v[5:6]
	v_lshl_or_b32 v28, v27, 9, v14
	v_add_nc_u32_e32 v29, 0x1000, v15
	v_mov_b32_e32 v12, 0
	v_add3_u32 v8, v8, v10, v9
	v_add_co_u32 v5, s1, v3, s14
	v_add_co_ci_u32_e64 v6, null, s15, v4, s1
	v_lshlrev_b64 v[3:4], 4, v[7:8]
	v_add_co_u32 v5, s1, v5, v11
	s_lshl_b64 s[14:15], s[50:51], 4
	v_add_co_ci_u32_e64 v6, null, 0, v6, s1
	v_add_co_u32 v3, s1, v3, s14
	v_lshlrev_b32_e32 v7, 4, v27
	v_add_co_ci_u32_e64 v4, null, s15, v4, s1
	s_waitcnt lgkmcnt(0)
	v_add_co_u32 v22, s1, s12, v5
	v_add_co_ci_u32_e64 v23, null, s13, v6, s1
	v_add_co_u32 v3, s1, v3, v7
	v_add_co_ci_u32_e64 v4, null, 0, v4, s1
	v_mov_b32_e32 v8, 0
	v_add_co_u32 v24, s1, s22, v3
	v_mov_b32_e32 v6, 0
	v_mov_b32_e32 v10, 0
	;; [unrolled: 1-line block ×6, first 2 shown]
	v_lshlrev_b32_e32 v30, 4, v0
	v_lshl_add_u32 v31, v1, 7, 0x1000
	v_mov_b32_e32 v9, 0
	v_mov_b32_e32 v7, 0
	;; [unrolled: 1-line block ×8, first 2 shown]
	v_add_co_ci_u32_e64 v25, null, s23, v4, s1
	s_mov_b64 s[12:13], 0
	s_xor_b32 s1, vcc_lo, -1
	s_xor_b32 s0, s0, -1
	s_branch .LBB270_3
.LBB270_2:                              ;   in Loop: Header=BB270_3 Depth=1
	s_or_b32 exec_lo, exec_lo, s14
	s_waitcnt lgkmcnt(0)
	s_barrier
	buffer_gl0_inv
	ds_read_b128 v[32:35], v31
	ds_read_b128 v[36:39], v30
	ds_read_b128 v[40:43], v30 offset:256
	ds_read_b128 v[44:47], v31 offset:2048
	;; [unrolled: 1-line block ×12, first 2 shown]
	s_add_u32 s12, s12, 8
	s_addc_u32 s13, s13, 0
	v_add_co_u32 v22, vcc_lo, 0x80, v22
	v_cmp_lt_i64_e64 s14, s[12:13], s[40:41]
	v_add_co_ci_u32_e64 v23, null, 0, v23, vcc_lo
	s_waitcnt lgkmcnt(12)
	v_mul_f64 v[3:4], v[34:35], v[38:39]
	v_mul_f64 v[88:89], v[32:33], v[38:39]
	s_waitcnt lgkmcnt(11)
	v_mul_f64 v[90:91], v[34:35], v[42:43]
	v_mul_f64 v[92:93], v[32:33], v[42:43]
	;; [unrolled: 3-line block ×3, first 2 shown]
	v_mul_f64 v[96:97], v[46:47], v[42:43]
	v_mul_f64 v[42:43], v[44:45], v[42:43]
	s_waitcnt lgkmcnt(8)
	v_mul_f64 v[98:99], v[50:51], v[54:55]
	v_mul_f64 v[100:101], v[48:49], v[54:55]
	s_waitcnt lgkmcnt(7)
	;; [unrolled: 3-line block ×3, first 2 shown]
	v_mul_f64 v[106:107], v[62:63], v[54:55]
	v_mul_f64 v[54:55], v[60:61], v[54:55]
	;; [unrolled: 1-line block ×4, first 2 shown]
	s_waitcnt lgkmcnt(4)
	v_mul_f64 v[110:111], v[66:67], v[70:71]
	v_mul_f64 v[112:113], v[64:65], v[70:71]
	s_waitcnt lgkmcnt(3)
	v_mul_f64 v[114:115], v[66:67], v[74:75]
	v_mul_f64 v[116:117], v[64:65], v[74:75]
	;; [unrolled: 3-line block ×3, first 2 shown]
	v_fma_f64 v[3:4], v[32:33], v[36:37], -v[3:4]
	v_fma_f64 v[88:89], v[34:35], v[36:37], v[88:89]
	v_fma_f64 v[90:91], v[32:33], v[40:41], -v[90:91]
	v_fma_f64 v[92:93], v[34:35], v[40:41], v[92:93]
	;; [unrolled: 2-line block ×4, first 2 shown]
	v_mul_f64 v[124:125], v[78:79], v[74:75]
	v_mul_f64 v[74:75], v[76:77], v[74:75]
	ds_read_b128 v[32:35], v30 offset:1536
	ds_read_b128 v[36:39], v30 offset:1792
	v_fma_f64 v[98:99], v[48:49], v[52:53], -v[98:99]
	v_fma_f64 v[100:101], v[50:51], v[52:53], v[100:101]
	v_fma_f64 v[102:103], v[48:49], v[56:57], -v[102:103]
	v_fma_f64 v[104:105], v[50:51], v[56:57], v[104:105]
	v_fma_f64 v[106:107], v[60:61], v[52:53], -v[106:107]
	v_fma_f64 v[126:127], v[62:63], v[52:53], v[54:55]
	v_fma_f64 v[60:61], v[60:61], v[56:57], -v[108:109]
	v_fma_f64 v[56:57], v[62:63], v[56:57], v[58:59]
	v_fma_f64 v[58:59], v[64:65], v[68:69], -v[110:111]
	v_fma_f64 v[62:63], v[66:67], v[68:69], v[112:113]
	v_fma_f64 v[64:65], v[64:65], v[72:73], -v[114:115]
	v_fma_f64 v[66:67], v[66:67], v[72:73], v[116:117]
	v_fma_f64 v[108:109], v[76:77], v[68:69], -v[118:119]
	v_fma_f64 v[68:69], v[78:79], v[68:69], v[70:71]
	v_add_f64 v[18:19], v[18:19], v[3:4]
	v_add_f64 v[20:21], v[88:89], v[20:21]
	;; [unrolled: 1-line block ×4, first 2 shown]
	s_waitcnt lgkmcnt(1)
	v_mul_f64 v[110:111], v[82:83], v[34:35]
	v_mul_f64 v[112:113], v[80:81], v[34:35]
	s_waitcnt lgkmcnt(0)
	v_mul_f64 v[70:71], v[82:83], v[38:39]
	v_mul_f64 v[114:115], v[80:81], v[38:39]
	v_fma_f64 v[76:77], v[76:77], v[72:73], -v[124:125]
	v_fma_f64 v[72:73], v[78:79], v[72:73], v[74:75]
	v_add_f64 v[74:75], v[10:11], v[94:95]
	v_add_f64 v[11:12], v[120:121], v[12:13]
	;; [unrolled: 1-line block ×4, first 2 shown]
	ds_read_b128 v[40:43], v31 offset:64
	ds_read_b128 v[44:47], v30 offset:2048
	;; [unrolled: 1-line block ×4, first 2 shown]
	v_mul_f64 v[116:117], v[86:87], v[34:35]
	v_mul_f64 v[34:35], v[84:85], v[34:35]
	;; [unrolled: 1-line block ×4, first 2 shown]
	ds_read_b128 v[48:51], v30 offset:2304
	v_add_f64 v[98:99], v[18:19], v[98:99]
	v_add_f64 v[19:20], v[100:101], v[20:21]
	;; [unrolled: 1-line block ×4, first 2 shown]
	v_fma_f64 v[92:93], v[80:81], v[32:33], -v[110:111]
	v_fma_f64 v[94:95], v[82:83], v[32:33], v[112:113]
	v_fma_f64 v[70:71], v[80:81], v[36:37], -v[70:71]
	v_fma_f64 v[82:83], v[82:83], v[36:37], v[114:115]
	ds_read_b128 v[3:6], v31 offset:80
	ds_read_b128 v[15:18], v30 offset:2816
	v_add_f64 v[74:75], v[74:75], v[106:107]
	v_add_f64 v[104:105], v[126:127], v[11:12]
	s_waitcnt lgkmcnt(5)
	v_mul_f64 v[80:81], v[42:43], v[46:47]
	v_mul_f64 v[96:97], v[40:41], v[46:47]
	s_waitcnt lgkmcnt(4)
	v_mul_f64 v[114:115], v[54:55], v[46:47]
	v_mul_f64 v[46:47], v[52:53], v[46:47]
	v_add_f64 v[60:61], v[78:79], v[60:61]
	v_add_f64 v[56:57], v[56:57], v[88:89]
	v_fma_f64 v[78:79], v[84:85], v[32:33], -v[116:117]
	v_fma_f64 v[88:89], v[86:87], v[32:33], v[34:35]
	ds_read_b128 v[11:14], v30 offset:2560
	s_waitcnt lgkmcnt(3)
	v_mul_f64 v[110:111], v[42:43], v[50:51]
	v_mul_f64 v[112:113], v[40:41], v[50:51]
	v_fma_f64 v[84:85], v[84:85], v[36:37], -v[90:91]
	v_fma_f64 v[86:87], v[86:87], v[36:37], v[38:39]
	v_mul_f64 v[36:37], v[54:55], v[50:51]
	v_mul_f64 v[38:39], v[52:53], v[50:51]
	v_add_co_u32 v24, vcc_lo, 0x80, v24
	v_add_co_ci_u32_e64 v25, null, 0, v25, vcc_lo
	s_and_b32 vcc_lo, exec_lo, s14
	v_add_f64 v[68:69], v[68:69], v[104:105]
	v_fma_f64 v[80:81], v[40:41], v[44:45], -v[80:81]
	v_fma_f64 v[90:91], v[42:43], v[44:45], v[96:97]
	v_fma_f64 v[50:51], v[52:53], v[44:45], -v[114:115]
	v_fma_f64 v[44:45], v[54:55], v[44:45], v[46:47]
	v_add_f64 v[46:47], v[98:99], v[58:59]
	v_add_f64 v[58:59], v[62:63], v[19:20]
	;; [unrolled: 1-line block ×7, first 2 shown]
	v_fma_f64 v[96:97], v[40:41], v[48:49], -v[110:111]
	v_fma_f64 v[106:107], v[42:43], v[48:49], v[112:113]
	s_waitcnt lgkmcnt(0)
	v_mul_f64 v[72:73], v[5:6], v[13:14]
	v_mul_f64 v[74:75], v[3:4], v[13:14]
	v_mul_f64 v[76:77], v[5:6], v[17:18]
	v_mul_f64 v[98:99], v[3:4], v[17:18]
	v_mul_f64 v[100:101], v[9:10], v[13:14]
	v_mul_f64 v[13:14], v[7:8], v[13:14]
	v_mul_f64 v[102:103], v[9:10], v[17:18]
	v_mul_f64 v[104:105], v[7:8], v[17:18]
	v_fma_f64 v[52:53], v[52:53], v[48:49], -v[36:37]
	v_fma_f64 v[48:49], v[54:55], v[48:49], v[38:39]
	ds_read_b128 v[17:20], v31 offset:96
	ds_read_b128 v[32:35], v30 offset:3072
	;; [unrolled: 1-line block ×4, first 2 shown]
	v_add_f64 v[46:47], v[46:47], v[92:93]
	v_add_f64 v[54:55], v[94:95], v[58:59]
	;; [unrolled: 1-line block ×8, first 2 shown]
	v_fma_f64 v[68:69], v[3:4], v[11:12], -v[72:73]
	v_fma_f64 v[70:71], v[5:6], v[11:12], v[74:75]
	v_fma_f64 v[72:73], v[3:4], v[15:16], -v[76:77]
	v_fma_f64 v[74:75], v[5:6], v[15:16], v[98:99]
	;; [unrolled: 2-line block ×4, first 2 shown]
	s_waitcnt lgkmcnt(2)
	v_mul_f64 v[84:85], v[19:20], v[34:35]
	v_mul_f64 v[86:87], v[17:18], v[34:35]
	s_waitcnt lgkmcnt(1)
	v_mul_f64 v[88:89], v[19:20], v[38:39]
	v_mul_f64 v[92:93], v[17:18], v[38:39]
	;; [unrolled: 3-line block ×3, first 2 shown]
	v_add_f64 v[80:81], v[46:47], v[80:81]
	v_add_f64 v[54:55], v[90:91], v[54:55]
	v_add_f64 v[58:59], v[58:59], v[96:97]
	v_add_f64 v[62:63], v[106:107], v[62:63]
	v_add_f64 v[50:51], v[64:65], v[50:51]
	v_add_f64 v[64:65], v[44:45], v[66:67]
	v_add_f64 v[52:53], v[60:61], v[52:53]
	v_add_f64 v[48:49], v[48:49], v[56:57]
	v_mul_f64 v[56:57], v[42:43], v[38:39]
	v_mul_f64 v[38:39], v[40:41], v[38:39]
	ds_read_b128 v[3:6], v31 offset:112
	ds_read_b128 v[7:10], v31 offset:2160
	;; [unrolled: 1-line block ×4, first 2 shown]
	s_waitcnt lgkmcnt(0)
	s_barrier
	buffer_gl0_inv
	v_fma_f64 v[60:61], v[17:18], v[32:33], -v[84:85]
	v_fma_f64 v[66:67], v[19:20], v[32:33], v[86:87]
	v_fma_f64 v[17:18], v[17:18], v[36:37], -v[88:89]
	v_fma_f64 v[19:20], v[19:20], v[36:37], v[92:93]
	v_fma_f64 v[84:85], v[40:41], v[32:33], -v[94:95]
	v_fma_f64 v[32:33], v[42:43], v[32:33], v[34:35]
	v_add_f64 v[34:35], v[80:81], v[68:69]
	v_add_f64 v[54:55], v[70:71], v[54:55]
	;; [unrolled: 1-line block ×8, first 2 shown]
	v_fma_f64 v[40:41], v[40:41], v[36:37], -v[56:57]
	v_fma_f64 v[36:37], v[42:43], v[36:37], v[38:39]
	v_mul_f64 v[38:39], v[5:6], v[13:14]
	v_mul_f64 v[42:43], v[3:4], v[13:14]
	;; [unrolled: 1-line block ×8, first 2 shown]
	v_add_f64 v[34:35], v[34:35], v[60:61]
	v_add_f64 v[54:55], v[66:67], v[54:55]
	;; [unrolled: 1-line block ×8, first 2 shown]
	v_fma_f64 v[15:16], v[3:4], v[11:12], -v[38:39]
	v_fma_f64 v[20:21], v[5:6], v[11:12], v[42:43]
	v_fma_f64 v[3:4], v[3:4], v[44:45], -v[48:49]
	v_fma_f64 v[5:6], v[5:6], v[44:45], v[56:57]
	;; [unrolled: 2-line block ×4, first 2 shown]
	v_add_f64 v[18:19], v[34:35], v[15:16]
	v_add_f64 v[20:21], v[20:21], v[54:55]
	;; [unrolled: 1-line block ×8, first 2 shown]
	s_cbranch_vccz .LBB270_12
.LBB270_3:                              ; =>This Inner Loop Header: Depth=1
	v_add_co_u32 v3, s14, v27, s12
	v_add_co_ci_u32_e64 v4, null, 0, s13, s14
	v_cmp_le_i64_e32 vcc_lo, s[40:41], v[3:4]
	s_or_b32 s14, s1, vcc_lo
	s_and_saveexec_b32 s15, s14
	s_xor_b32 s14, exec_lo, s15
	s_cbranch_execz .LBB270_5
; %bb.4:                                ;   in Loop: Header=BB270_3 Depth=1
	v_mov_b32_e32 v3, v2
	v_mov_b32_e32 v4, v2
	v_mov_b32_e32 v5, v2
	ds_write_b128 v28, v[2:5]
.LBB270_5:                              ;   in Loop: Header=BB270_3 Depth=1
	s_andn2_saveexec_b32 s14, s14
	s_cbranch_execz .LBB270_7
; %bb.6:                                ;   in Loop: Header=BB270_3 Depth=1
	flat_load_dwordx4 v[32:35], v[24:25]
	s_waitcnt vmcnt(0) lgkmcnt(0)
	ds_write2_b64 v28, v[32:33], v[34:35] offset1:1
.LBB270_7:                              ;   in Loop: Header=BB270_3 Depth=1
	s_or_b32 exec_lo, exec_lo, s14
	v_add_co_u32 v3, s14, v26, s12
	v_add_co_ci_u32_e64 v4, null, 0, s13, s14
	v_cmp_le_i64_e32 vcc_lo, s[40:41], v[3:4]
	s_or_b32 s14, vcc_lo, s0
	s_and_saveexec_b32 s15, s14
	s_xor_b32 s14, exec_lo, s15
	s_cbranch_execz .LBB270_9
; %bb.8:                                ;   in Loop: Header=BB270_3 Depth=1
	v_mov_b32_e32 v3, v2
	v_mov_b32_e32 v4, v2
	;; [unrolled: 1-line block ×3, first 2 shown]
	ds_write_b128 v29, v[2:5]
.LBB270_9:                              ;   in Loop: Header=BB270_3 Depth=1
	s_andn2_saveexec_b32 s14, s14
	s_cbranch_execz .LBB270_2
; %bb.10:                               ;   in Loop: Header=BB270_3 Depth=1
	flat_load_dwordx4 v[32:35], v[22:23]
	s_waitcnt vmcnt(0) lgkmcnt(0)
	ds_write2_b64 v29, v[32:33], v[34:35] offset1:1
	s_branch .LBB270_2
.LBB270_11:
	v_mov_b32_e32 v18, 0
	v_mov_b32_e32 v20, 0
	;; [unrolled: 1-line block ×16, first 2 shown]
.LBB270_12:
	v_cmp_neq_f64_e64 s12, s[18:19], 0
	v_cmp_neq_f64_e64 s13, s[20:21], 0
	s_lshl_b64 s[0:1], s[2:3], 4
	v_add_co_u32 v1, s2, s10, v1
	v_add_co_ci_u32_e64 v2, null, s11, 0, s2
	s_waitcnt lgkmcnt(0)
	s_add_u32 s3, s8, s0
	s_addc_u32 s8, s9, s1
	v_cmp_gt_i64_e64 s0, s[38:39], v[1:2]
	s_or_b32 s1, s12, s13
	s_and_b32 vcc_lo, exec_lo, s1
	s_mov_b32 s1, -1
	s_cbranch_vccnz .LBB270_24
; %bb.13:
	s_and_saveexec_b32 s9, s0
	s_cbranch_execz .LBB270_23
; %bb.14:
	v_mul_lo_u32 v5, v2, s30
	v_mul_lo_u32 v22, v1, s31
	v_mad_u64_u32 v[3:4], null, v1, s30, 0
	v_add3_u32 v4, v4, v22, v5
	v_add_co_u32 v22, s1, s6, v0
	v_add_co_ci_u32_e64 v23, null, s7, 0, s1
	v_lshlrev_b64 v[24:25], 4, v[3:4]
	v_cmp_gt_i64_e32 vcc_lo, s[36:37], v[22:23]
	v_lshlrev_b64 v[3:4], 4, v[22:23]
	v_add_co_u32 v5, s1, s3, v24
	v_add_co_ci_u32_e64 v24, null, s8, v25, s1
	s_and_saveexec_b32 s2, vcc_lo
	s_cbranch_execz .LBB270_16
; %bb.15:
	v_mul_f64 v[25:26], s[44:45], v[20:21]
	v_mul_f64 v[27:28], s[42:43], v[20:21]
	v_add_co_u32 v29, s1, v5, v3
	v_add_co_ci_u32_e64 v30, null, v24, v4, s1
	v_fma_f64 v[25:26], s[42:43], v[18:19], -v[25:26]
	v_fma_f64 v[27:28], s[44:45], v[18:19], v[27:28]
	flat_store_dwordx4 v[29:30], v[25:28]
.LBB270_16:
	s_or_b32 exec_lo, exec_lo, s2
	v_add_co_u32 v22, s1, v22, 16
	v_add_co_ci_u32_e64 v23, null, 0, v23, s1
	v_cmp_gt_i64_e64 s1, s[36:37], v[22:23]
	s_and_saveexec_b32 s10, s1
	s_cbranch_execz .LBB270_18
; %bb.17:
	v_mul_f64 v[22:23], s[44:45], v[16:17]
	v_mul_f64 v[27:28], s[42:43], v[16:17]
	v_fma_f64 v[25:26], s[42:43], v[14:15], -v[22:23]
	v_fma_f64 v[27:28], s[44:45], v[14:15], v[27:28]
	v_add_co_u32 v22, s2, v5, v3
	v_add_co_ci_u32_e64 v23, null, v24, v4, s2
	flat_store_dwordx4 v[22:23], v[25:28] offset:256
.LBB270_18:
	s_or_b32 exec_lo, exec_lo, s10
	v_add_co_u32 v22, s2, v1, 16
	v_add_co_ci_u32_e64 v23, null, 0, v2, s2
	v_cmp_gt_i64_e64 s2, s[38:39], v[22:23]
	s_and_b32 exec_lo, exec_lo, s2
	s_cbranch_execz .LBB270_23
; %bb.19:
	s_lshl_b64 s[10:11], s[30:31], 8
	v_add_co_u32 v5, s2, v5, s10
	v_add_co_ci_u32_e64 v22, null, s11, v24, s2
	v_add_co_u32 v3, s2, v5, v3
	v_add_co_ci_u32_e64 v4, null, v22, v4, s2
	s_and_saveexec_b32 s2, vcc_lo
	s_cbranch_execz .LBB270_21
; %bb.20:
	v_mul_f64 v[22:23], s[44:45], v[12:13]
	v_mul_f64 v[24:25], s[42:43], v[12:13]
	v_fma_f64 v[22:23], s[42:43], v[10:11], -v[22:23]
	v_fma_f64 v[24:25], s[44:45], v[10:11], v[24:25]
	flat_store_dwordx4 v[3:4], v[22:25]
.LBB270_21:
	s_or_b32 exec_lo, exec_lo, s2
	s_and_b32 exec_lo, exec_lo, s1
	s_cbranch_execz .LBB270_23
; %bb.22:
	v_mul_f64 v[22:23], s[44:45], v[8:9]
	v_mul_f64 v[24:25], s[42:43], v[8:9]
	v_fma_f64 v[22:23], s[42:43], v[6:7], -v[22:23]
	v_fma_f64 v[24:25], s[44:45], v[6:7], v[24:25]
	flat_store_dwordx4 v[3:4], v[22:25] offset:256
.LBB270_23:
	s_or_b32 exec_lo, exec_lo, s9
	s_mov_b32 s1, 0
.LBB270_24:
	s_andn2_b32 vcc_lo, exec_lo, s1
	s_cbranch_vccnz .LBB270_35
; %bb.25:
	s_and_saveexec_b32 s1, s0
	s_cbranch_execz .LBB270_35
; %bb.26:
	v_mul_lo_u32 v5, v2, s24
	v_mul_lo_u32 v22, v1, s25
	v_mad_u64_u32 v[3:4], null, v1, s24, 0
	v_mul_lo_u32 v26, v2, s30
	v_mul_lo_u32 v27, v1, s31
	v_mad_u64_u32 v[24:25], null, v1, s30, 0
	s_lshl_b64 s[0:1], s[26:27], 4
	v_add3_u32 v4, v4, v22, v5
	v_add_co_u32 v22, s2, s6, v0
	v_add_co_ci_u32_e64 v23, null, s7, 0, s2
	v_add3_u32 v25, v25, v27, v26
	v_lshlrev_b64 v[3:4], 4, v[3:4]
	s_add_u32 s0, s4, s0
	s_addc_u32 s1, s5, s1
	v_cmp_gt_i64_e32 vcc_lo, s[36:37], v[22:23]
	v_lshlrev_b64 v[24:25], 4, v[24:25]
	v_add_co_u32 v0, s0, s0, v3
	v_add_co_ci_u32_e64 v5, null, s1, v4, s0
	v_add_co_u32 v24, s0, s3, v24
	v_lshlrev_b64 v[3:4], 4, v[22:23]
	v_add_co_ci_u32_e64 v25, null, s8, v25, s0
	s_and_saveexec_b32 s1, vcc_lo
	s_cbranch_execz .LBB270_28
; %bb.27:
	v_add_co_u32 v26, s0, v0, v3
	v_add_co_ci_u32_e64 v27, null, v5, v4, s0
	v_mul_f64 v[30:31], s[44:45], v[20:21]
	v_mul_f64 v[20:21], s[42:43], v[20:21]
	flat_load_dwordx4 v[26:29], v[26:27]
	v_fma_f64 v[30:31], s[42:43], v[18:19], -v[30:31]
	v_fma_f64 v[20:21], s[44:45], v[18:19], v[20:21]
	s_waitcnt vmcnt(0) lgkmcnt(0)
	v_mul_f64 v[32:33], s[20:21], v[28:29]
	v_mul_f64 v[28:29], s[18:19], v[28:29]
	v_fma_f64 v[18:19], s[18:19], v[26:27], -v[32:33]
	v_fma_f64 v[26:27], s[20:21], v[26:27], v[28:29]
	v_add_f64 v[18:19], v[30:31], v[18:19]
	v_add_f64 v[20:21], v[20:21], v[26:27]
	v_add_co_u32 v26, s0, v24, v3
	v_add_co_ci_u32_e64 v27, null, v25, v4, s0
	flat_store_dwordx4 v[26:27], v[18:21]
.LBB270_28:
	s_or_b32 exec_lo, exec_lo, s1
	v_add_co_u32 v18, s0, v22, 16
	v_add_co_ci_u32_e64 v19, null, 0, v23, s0
	v_cmp_gt_i64_e64 s0, s[36:37], v[18:19]
	s_and_saveexec_b32 s2, s0
	s_cbranch_execz .LBB270_30
; %bb.29:
	v_add_co_u32 v18, s1, v0, v3
	v_add_co_ci_u32_e64 v19, null, v5, v4, s1
	v_mul_f64 v[22:23], s[44:45], v[16:17]
	v_mul_f64 v[16:17], s[42:43], v[16:17]
	flat_load_dwordx4 v[18:21], v[18:19] offset:256
	v_fma_f64 v[22:23], s[42:43], v[14:15], -v[22:23]
	v_fma_f64 v[16:17], s[44:45], v[14:15], v[16:17]
	s_waitcnt vmcnt(0) lgkmcnt(0)
	v_mul_f64 v[26:27], s[20:21], v[20:21]
	v_mul_f64 v[20:21], s[18:19], v[20:21]
	v_fma_f64 v[14:15], s[18:19], v[18:19], -v[26:27]
	v_fma_f64 v[18:19], s[20:21], v[18:19], v[20:21]
	v_add_f64 v[14:15], v[22:23], v[14:15]
	v_add_f64 v[16:17], v[16:17], v[18:19]
	v_add_co_u32 v18, s1, v24, v3
	v_add_co_ci_u32_e64 v19, null, v25, v4, s1
	flat_store_dwordx4 v[18:19], v[14:17] offset:256
.LBB270_30:
	s_or_b32 exec_lo, exec_lo, s2
	v_add_co_u32 v1, s1, v1, 16
	v_add_co_ci_u32_e64 v2, null, 0, v2, s1
	v_cmp_gt_i64_e64 s1, s[38:39], v[1:2]
	s_and_b32 exec_lo, exec_lo, s1
	s_cbranch_execz .LBB270_35
; %bb.31:
	s_lshl_b64 s[2:3], s[24:25], 8
	v_add_co_u32 v0, s1, v0, s2
	v_add_co_ci_u32_e64 v1, null, s3, v5, s1
	s_lshl_b64 s[2:3], s[30:31], 8
	v_add_co_u32 v2, s1, v24, s2
	v_add_co_ci_u32_e64 v5, null, s3, v25, s1
	v_add_co_u32 v14, s1, v0, v3
	v_add_co_ci_u32_e64 v15, null, v1, v4, s1
	;; [unrolled: 2-line block ×3, first 2 shown]
	s_and_saveexec_b32 s1, vcc_lo
	s_cbranch_execz .LBB270_33
; %bb.32:
	flat_load_dwordx4 v[2:5], v[14:15]
	v_mul_f64 v[16:17], s[44:45], v[12:13]
	v_mul_f64 v[12:13], s[42:43], v[12:13]
	v_fma_f64 v[16:17], s[42:43], v[10:11], -v[16:17]
	v_fma_f64 v[10:11], s[44:45], v[10:11], v[12:13]
	s_waitcnt vmcnt(0) lgkmcnt(0)
	v_mul_f64 v[18:19], s[20:21], v[4:5]
	v_mul_f64 v[4:5], s[18:19], v[4:5]
	v_fma_f64 v[12:13], s[18:19], v[2:3], -v[18:19]
	v_fma_f64 v[4:5], s[20:21], v[2:3], v[4:5]
	v_add_f64 v[2:3], v[16:17], v[12:13]
	v_add_f64 v[4:5], v[10:11], v[4:5]
	flat_store_dwordx4 v[0:1], v[2:5]
.LBB270_33:
	s_or_b32 exec_lo, exec_lo, s1
	s_and_b32 exec_lo, exec_lo, s0
	s_cbranch_execz .LBB270_35
; %bb.34:
	flat_load_dwordx4 v[2:5], v[14:15] offset:256
	v_mul_f64 v[10:11], s[44:45], v[8:9]
	v_mul_f64 v[8:9], s[42:43], v[8:9]
	v_fma_f64 v[10:11], s[42:43], v[6:7], -v[10:11]
	v_fma_f64 v[6:7], s[44:45], v[6:7], v[8:9]
	s_waitcnt vmcnt(0) lgkmcnt(0)
	v_mul_f64 v[12:13], s[20:21], v[4:5]
	v_mul_f64 v[4:5], s[18:19], v[4:5]
	v_fma_f64 v[8:9], s[18:19], v[2:3], -v[12:13]
	v_fma_f64 v[4:5], s[20:21], v[2:3], v[4:5]
	v_add_f64 v[2:3], v[10:11], v[8:9]
	v_add_f64 v[4:5], v[6:7], v[4:5]
	flat_store_dwordx4 v[0:1], v[2:5] offset:256
.LBB270_35:
	s_endpgm
	.section	.rodata,"a",@progbits
	.p2align	6, 0x0
	.amdhsa_kernel _ZN12_GLOBAL__N_135rocblas_gemm_batched_general_kernelI19rocblas_complex_numIdELi16ELi16ELi32ELi32ELi8ELi32ELi8ELi8ELi32ELc84ELc78EKPKS2_S5_KPS2_EEvlllT_PT11_llSA_llS8_PT12_llPT13_lli
		.amdhsa_group_segment_fixed_size 8192
		.amdhsa_private_segment_fixed_size 0
		.amdhsa_kernarg_size 156
		.amdhsa_user_sgpr_count 6
		.amdhsa_user_sgpr_private_segment_buffer 1
		.amdhsa_user_sgpr_dispatch_ptr 0
		.amdhsa_user_sgpr_queue_ptr 0
		.amdhsa_user_sgpr_kernarg_segment_ptr 1
		.amdhsa_user_sgpr_dispatch_id 0
		.amdhsa_user_sgpr_flat_scratch_init 0
		.amdhsa_user_sgpr_private_segment_size 0
		.amdhsa_wavefront_size32 1
		.amdhsa_uses_dynamic_stack 0
		.amdhsa_system_sgpr_private_segment_wavefront_offset 0
		.amdhsa_system_sgpr_workgroup_id_x 1
		.amdhsa_system_sgpr_workgroup_id_y 1
		.amdhsa_system_sgpr_workgroup_id_z 1
		.amdhsa_system_sgpr_workgroup_info 0
		.amdhsa_system_vgpr_workitem_id 1
		.amdhsa_next_free_vgpr 128
		.amdhsa_next_free_sgpr 52
		.amdhsa_reserve_vcc 1
		.amdhsa_reserve_flat_scratch 0
		.amdhsa_float_round_mode_32 0
		.amdhsa_float_round_mode_16_64 0
		.amdhsa_float_denorm_mode_32 3
		.amdhsa_float_denorm_mode_16_64 3
		.amdhsa_dx10_clamp 1
		.amdhsa_ieee_mode 1
		.amdhsa_fp16_overflow 0
		.amdhsa_workgroup_processor_mode 1
		.amdhsa_memory_ordered 1
		.amdhsa_forward_progress 1
		.amdhsa_shared_vgpr_count 0
		.amdhsa_exception_fp_ieee_invalid_op 0
		.amdhsa_exception_fp_denorm_src 0
		.amdhsa_exception_fp_ieee_div_zero 0
		.amdhsa_exception_fp_ieee_overflow 0
		.amdhsa_exception_fp_ieee_underflow 0
		.amdhsa_exception_fp_ieee_inexact 0
		.amdhsa_exception_int_div_zero 0
	.end_amdhsa_kernel
	.section	.text._ZN12_GLOBAL__N_135rocblas_gemm_batched_general_kernelI19rocblas_complex_numIdELi16ELi16ELi32ELi32ELi8ELi32ELi8ELi8ELi32ELc84ELc78EKPKS2_S5_KPS2_EEvlllT_PT11_llSA_llS8_PT12_llPT13_lli,"axG",@progbits,_ZN12_GLOBAL__N_135rocblas_gemm_batched_general_kernelI19rocblas_complex_numIdELi16ELi16ELi32ELi32ELi8ELi32ELi8ELi8ELi32ELc84ELc78EKPKS2_S5_KPS2_EEvlllT_PT11_llSA_llS8_PT12_llPT13_lli,comdat
.Lfunc_end270:
	.size	_ZN12_GLOBAL__N_135rocblas_gemm_batched_general_kernelI19rocblas_complex_numIdELi16ELi16ELi32ELi32ELi8ELi32ELi8ELi8ELi32ELc84ELc78EKPKS2_S5_KPS2_EEvlllT_PT11_llSA_llS8_PT12_llPT13_lli, .Lfunc_end270-_ZN12_GLOBAL__N_135rocblas_gemm_batched_general_kernelI19rocblas_complex_numIdELi16ELi16ELi32ELi32ELi8ELi32ELi8ELi8ELi32ELc84ELc78EKPKS2_S5_KPS2_EEvlllT_PT11_llSA_llS8_PT12_llPT13_lli
                                        ; -- End function
	.set _ZN12_GLOBAL__N_135rocblas_gemm_batched_general_kernelI19rocblas_complex_numIdELi16ELi16ELi32ELi32ELi8ELi32ELi8ELi8ELi32ELc84ELc78EKPKS2_S5_KPS2_EEvlllT_PT11_llSA_llS8_PT12_llPT13_lli.num_vgpr, 128
	.set _ZN12_GLOBAL__N_135rocblas_gemm_batched_general_kernelI19rocblas_complex_numIdELi16ELi16ELi32ELi32ELi8ELi32ELi8ELi8ELi32ELc84ELc78EKPKS2_S5_KPS2_EEvlllT_PT11_llSA_llS8_PT12_llPT13_lli.num_agpr, 0
	.set _ZN12_GLOBAL__N_135rocblas_gemm_batched_general_kernelI19rocblas_complex_numIdELi16ELi16ELi32ELi32ELi8ELi32ELi8ELi8ELi32ELc84ELc78EKPKS2_S5_KPS2_EEvlllT_PT11_llSA_llS8_PT12_llPT13_lli.numbered_sgpr, 52
	.set _ZN12_GLOBAL__N_135rocblas_gemm_batched_general_kernelI19rocblas_complex_numIdELi16ELi16ELi32ELi32ELi8ELi32ELi8ELi8ELi32ELc84ELc78EKPKS2_S5_KPS2_EEvlllT_PT11_llSA_llS8_PT12_llPT13_lli.num_named_barrier, 0
	.set _ZN12_GLOBAL__N_135rocblas_gemm_batched_general_kernelI19rocblas_complex_numIdELi16ELi16ELi32ELi32ELi8ELi32ELi8ELi8ELi32ELc84ELc78EKPKS2_S5_KPS2_EEvlllT_PT11_llSA_llS8_PT12_llPT13_lli.private_seg_size, 0
	.set _ZN12_GLOBAL__N_135rocblas_gemm_batched_general_kernelI19rocblas_complex_numIdELi16ELi16ELi32ELi32ELi8ELi32ELi8ELi8ELi32ELc84ELc78EKPKS2_S5_KPS2_EEvlllT_PT11_llSA_llS8_PT12_llPT13_lli.uses_vcc, 1
	.set _ZN12_GLOBAL__N_135rocblas_gemm_batched_general_kernelI19rocblas_complex_numIdELi16ELi16ELi32ELi32ELi8ELi32ELi8ELi8ELi32ELc84ELc78EKPKS2_S5_KPS2_EEvlllT_PT11_llSA_llS8_PT12_llPT13_lli.uses_flat_scratch, 0
	.set _ZN12_GLOBAL__N_135rocblas_gemm_batched_general_kernelI19rocblas_complex_numIdELi16ELi16ELi32ELi32ELi8ELi32ELi8ELi8ELi32ELc84ELc78EKPKS2_S5_KPS2_EEvlllT_PT11_llSA_llS8_PT12_llPT13_lli.has_dyn_sized_stack, 0
	.set _ZN12_GLOBAL__N_135rocblas_gemm_batched_general_kernelI19rocblas_complex_numIdELi16ELi16ELi32ELi32ELi8ELi32ELi8ELi8ELi32ELc84ELc78EKPKS2_S5_KPS2_EEvlllT_PT11_llSA_llS8_PT12_llPT13_lli.has_recursion, 0
	.set _ZN12_GLOBAL__N_135rocblas_gemm_batched_general_kernelI19rocblas_complex_numIdELi16ELi16ELi32ELi32ELi8ELi32ELi8ELi8ELi32ELc84ELc78EKPKS2_S5_KPS2_EEvlllT_PT11_llSA_llS8_PT12_llPT13_lli.has_indirect_call, 0
	.section	.AMDGPU.csdata,"",@progbits
; Kernel info:
; codeLenInByte = 4060
; TotalNumSgprs: 54
; NumVgprs: 128
; ScratchSize: 0
; MemoryBound: 0
; FloatMode: 240
; IeeeMode: 1
; LDSByteSize: 8192 bytes/workgroup (compile time only)
; SGPRBlocks: 0
; VGPRBlocks: 15
; NumSGPRsForWavesPerEU: 54
; NumVGPRsForWavesPerEU: 128
; Occupancy: 8
; WaveLimiterHint : 1
; COMPUTE_PGM_RSRC2:SCRATCH_EN: 0
; COMPUTE_PGM_RSRC2:USER_SGPR: 6
; COMPUTE_PGM_RSRC2:TRAP_HANDLER: 0
; COMPUTE_PGM_RSRC2:TGID_X_EN: 1
; COMPUTE_PGM_RSRC2:TGID_Y_EN: 1
; COMPUTE_PGM_RSRC2:TGID_Z_EN: 1
; COMPUTE_PGM_RSRC2:TIDIG_COMP_CNT: 1
	.section	.text._ZN12_GLOBAL__N_135rocblas_gemm_batched_general_kernelI19rocblas_complex_numIdELi16ELi16ELi32ELi32ELi8ELi32ELi8ELi8ELi32ELc78ELc84EKPKS2_S5_KPS2_EEvlllT_PT11_llSA_llS8_PT12_llPT13_lli,"axG",@progbits,_ZN12_GLOBAL__N_135rocblas_gemm_batched_general_kernelI19rocblas_complex_numIdELi16ELi16ELi32ELi32ELi8ELi32ELi8ELi8ELi32ELc78ELc84EKPKS2_S5_KPS2_EEvlllT_PT11_llSA_llS8_PT12_llPT13_lli,comdat
	.globl	_ZN12_GLOBAL__N_135rocblas_gemm_batched_general_kernelI19rocblas_complex_numIdELi16ELi16ELi32ELi32ELi8ELi32ELi8ELi8ELi32ELc78ELc84EKPKS2_S5_KPS2_EEvlllT_PT11_llSA_llS8_PT12_llPT13_lli ; -- Begin function _ZN12_GLOBAL__N_135rocblas_gemm_batched_general_kernelI19rocblas_complex_numIdELi16ELi16ELi32ELi32ELi8ELi32ELi8ELi8ELi32ELc78ELc84EKPKS2_S5_KPS2_EEvlllT_PT11_llSA_llS8_PT12_llPT13_lli
	.p2align	8
	.type	_ZN12_GLOBAL__N_135rocblas_gemm_batched_general_kernelI19rocblas_complex_numIdELi16ELi16ELi32ELi32ELi8ELi32ELi8ELi8ELi32ELc78ELc84EKPKS2_S5_KPS2_EEvlllT_PT11_llSA_llS8_PT12_llPT13_lli,@function
_ZN12_GLOBAL__N_135rocblas_gemm_batched_general_kernelI19rocblas_complex_numIdELi16ELi16ELi32ELi32ELi8ELi32ELi8ELi8ELi32ELc78ELc84EKPKS2_S5_KPS2_EEvlllT_PT11_llSA_llS8_PT12_llPT13_lli: ; @_ZN12_GLOBAL__N_135rocblas_gemm_batched_general_kernelI19rocblas_complex_numIdELi16ELi16ELi32ELi32ELi8ELi32ELi8ELi8ELi32ELc78ELc84EKPKS2_S5_KPS2_EEvlllT_PT11_llSA_llS8_PT12_llPT13_lli
; %bb.0:
	s_clause 0x2
	s_load_dwordx16 s[12:27], s[4:5], 0x40
	s_load_dwordx4 s[28:31], s[4:5], 0x80
	s_load_dwordx16 s[36:51], s[4:5], 0x0
	s_mov_b32 s9, 0
	s_load_dwordx2 s[2:3], s[4:5], 0x90
	s_lshl_b64 s[0:1], s[8:9], 3
	s_mov_b32 s34, s7
	v_mov_b32_e32 v2, 0
	s_waitcnt lgkmcnt(0)
	s_add_u32 s4, s22, s0
	s_addc_u32 s5, s23, s1
	s_add_u32 s8, s28, s0
	s_addc_u32 s9, s29, s1
	s_load_dwordx2 s[4:5], s[4:5], 0x0
	s_load_dwordx2 s[10:11], s[8:9], 0x0
	v_cmp_lt_i64_e64 s22, s[40:41], 1
	s_ashr_i32 s7, s6, 31
	s_ashr_i32 s35, s34, 31
	s_lshl_b64 s[8:9], s[6:7], 5
	s_and_b32 vcc_lo, exec_lo, s22
	s_lshl_b64 s[22:23], s[34:35], 5
	s_cbranch_vccnz .LBB271_11
; %bb.1:
	v_lshl_add_u32 v5, v1, 4, v0
	v_and_b32_e32 v26, 7, v0
	v_mov_b32_e32 v6, s9
	s_add_u32 s12, s12, s0
	s_addc_u32 s13, s13, s1
	v_and_b32_e32 v7, 31, v5
	v_mad_u64_u32 v[3:4], null, s14, v26, 0
	v_lshrrev_b32_e32 v27, 5, v5
	v_lshrrev_b32_e32 v12, 3, v5
	v_or_b32_e32 v5, s8, v7
	v_lshlrev_b32_e32 v13, 4, v7
	v_lshlrev_b32_e32 v14, 4, v26
	s_add_u32 s0, s46, s0
	s_addc_u32 s1, s47, s1
	v_mad_u64_u32 v[7:8], null, s15, v26, v[4:5]
	v_mad_u64_u32 v[8:9], null, s48, v27, 0
	v_cmp_gt_i64_e32 vcc_lo, s[36:37], v[5:6]
	v_lshl_or_b32 v6, v12, 7, v14
	s_lshl_b64 s[34:35], s[34:35], 9
	s_lshl_b64 s[16:17], s[16:17], 4
	v_mov_b32_e32 v4, v7
	s_load_dwordx2 s[12:13], s[12:13], 0x0
	s_load_dwordx2 s[28:29], s[0:1], 0x0
	v_mov_b32_e32 v5, v9
	v_add_nc_u32_e32 v29, 0x1000, v6
	s_add_u32 s1, s16, s34
	v_lshlrev_b64 v[3:4], 4, v[3:4]
	s_addc_u32 s16, s17, s35
	v_mad_u64_u32 v[5:6], null, s49, v27, v[5:6]
	s_lshl_b64 s[34:35], s[50:51], 4
	v_lshlrev_b32_e32 v7, 4, v12
	v_add_co_u32 v10, s0, v12, s22
	v_add_co_ci_u32_e64 v11, null, 0, s23, s0
	v_mov_b32_e32 v9, v5
	v_add_co_u32 v5, s1, s1, v3
	v_add_co_ci_u32_e64 v6, null, s16, v4, s1
	v_lshlrev_b64 v[3:4], 4, v[8:9]
	s_lshl_b64 s[16:17], s[6:7], 9
	s_lshl_b64 s[6:7], s[14:15], 7
	s_add_u32 s1, s34, s16
	s_addc_u32 s14, s35, s17
	v_cmp_gt_i64_e64 s0, s[38:39], v[10:11]
	v_add_co_u32 v3, s1, s1, v3
	v_add_co_ci_u32_e64 v4, null, s14, v4, s1
	v_add_co_u32 v5, s1, v5, v7
	v_add_co_ci_u32_e64 v6, null, 0, v6, s1
	;; [unrolled: 2-line block ×3, first 2 shown]
	s_waitcnt lgkmcnt(0)
	v_add_co_u32 v22, s1, s12, v5
	v_add_co_ci_u32_e64 v23, null, s13, v6, s1
	v_add_co_u32 v24, s1, s28, v3
	v_lshl_or_b32 v28, v27, 9, v13
	v_mov_b32_e32 v8, 0
	v_mov_b32_e32 v6, 0
	;; [unrolled: 1-line block ×8, first 2 shown]
	v_lshlrev_b32_e32 v30, 4, v0
	v_lshl_add_u32 v31, v1, 7, 0x1000
	v_add_co_ci_u32_e64 v25, null, s29, v4, s1
	v_mov_b32_e32 v9, 0
	v_mov_b32_e32 v7, 0
	;; [unrolled: 1-line block ×8, first 2 shown]
	s_lshl_b64 s[12:13], s[48:49], 7
	s_mov_b64 s[14:15], 0
	s_xor_b32 s1, vcc_lo, -1
	s_xor_b32 s0, s0, -1
	s_branch .LBB271_3
.LBB271_2:                              ;   in Loop: Header=BB271_3 Depth=1
	s_or_b32 exec_lo, exec_lo, s16
	s_waitcnt lgkmcnt(0)
	s_barrier
	buffer_gl0_inv
	ds_read_b128 v[32:35], v31
	ds_read_b128 v[36:39], v30
	ds_read_b128 v[40:43], v30 offset:256
	ds_read_b128 v[44:47], v31 offset:2048
	;; [unrolled: 1-line block ×12, first 2 shown]
	s_add_u32 s14, s14, 8
	s_addc_u32 s15, s15, 0
	v_add_co_u32 v22, vcc_lo, v22, s6
	v_cmp_lt_i64_e64 s16, s[14:15], s[40:41]
	v_add_co_ci_u32_e64 v23, null, s7, v23, vcc_lo
	s_waitcnt lgkmcnt(12)
	v_mul_f64 v[3:4], v[34:35], v[38:39]
	v_mul_f64 v[88:89], v[32:33], v[38:39]
	s_waitcnt lgkmcnt(11)
	v_mul_f64 v[90:91], v[34:35], v[42:43]
	v_mul_f64 v[92:93], v[32:33], v[42:43]
	;; [unrolled: 3-line block ×3, first 2 shown]
	v_mul_f64 v[96:97], v[46:47], v[42:43]
	v_mul_f64 v[42:43], v[44:45], v[42:43]
	s_waitcnt lgkmcnt(8)
	v_mul_f64 v[98:99], v[50:51], v[54:55]
	v_mul_f64 v[100:101], v[48:49], v[54:55]
	s_waitcnt lgkmcnt(7)
	v_mul_f64 v[102:103], v[50:51], v[58:59]
	v_mul_f64 v[104:105], v[48:49], v[58:59]
	s_waitcnt lgkmcnt(6)
	v_mul_f64 v[106:107], v[62:63], v[54:55]
	v_mul_f64 v[54:55], v[60:61], v[54:55]
	;; [unrolled: 1-line block ×4, first 2 shown]
	s_waitcnt lgkmcnt(4)
	v_mul_f64 v[110:111], v[66:67], v[70:71]
	v_mul_f64 v[112:113], v[64:65], v[70:71]
	s_waitcnt lgkmcnt(3)
	v_mul_f64 v[114:115], v[66:67], v[74:75]
	v_mul_f64 v[116:117], v[64:65], v[74:75]
	s_waitcnt lgkmcnt(2)
	v_mul_f64 v[118:119], v[78:79], v[70:71]
	v_mul_f64 v[70:71], v[76:77], v[70:71]
	v_fma_f64 v[3:4], v[32:33], v[36:37], -v[3:4]
	v_fma_f64 v[88:89], v[34:35], v[36:37], v[88:89]
	v_fma_f64 v[90:91], v[32:33], v[40:41], -v[90:91]
	v_fma_f64 v[92:93], v[34:35], v[40:41], v[92:93]
	;; [unrolled: 2-line block ×4, first 2 shown]
	v_mul_f64 v[124:125], v[78:79], v[74:75]
	v_mul_f64 v[74:75], v[76:77], v[74:75]
	ds_read_b128 v[32:35], v30 offset:1536
	ds_read_b128 v[36:39], v30 offset:1792
	v_fma_f64 v[98:99], v[48:49], v[52:53], -v[98:99]
	v_fma_f64 v[100:101], v[50:51], v[52:53], v[100:101]
	v_fma_f64 v[102:103], v[48:49], v[56:57], -v[102:103]
	v_fma_f64 v[104:105], v[50:51], v[56:57], v[104:105]
	;; [unrolled: 2-line block ×7, first 2 shown]
	v_add_f64 v[18:19], v[18:19], v[3:4]
	v_add_f64 v[20:21], v[88:89], v[20:21]
	;; [unrolled: 1-line block ×4, first 2 shown]
	s_waitcnt lgkmcnt(1)
	v_mul_f64 v[110:111], v[82:83], v[34:35]
	v_mul_f64 v[112:113], v[80:81], v[34:35]
	s_waitcnt lgkmcnt(0)
	v_mul_f64 v[70:71], v[82:83], v[38:39]
	v_mul_f64 v[114:115], v[80:81], v[38:39]
	v_fma_f64 v[76:77], v[76:77], v[72:73], -v[124:125]
	v_fma_f64 v[72:73], v[78:79], v[72:73], v[74:75]
	v_add_f64 v[74:75], v[10:11], v[94:95]
	v_add_f64 v[11:12], v[120:121], v[12:13]
	;; [unrolled: 1-line block ×4, first 2 shown]
	ds_read_b128 v[40:43], v31 offset:64
	ds_read_b128 v[44:47], v30 offset:2048
	;; [unrolled: 1-line block ×4, first 2 shown]
	v_mul_f64 v[116:117], v[86:87], v[34:35]
	v_mul_f64 v[34:35], v[84:85], v[34:35]
	;; [unrolled: 1-line block ×4, first 2 shown]
	ds_read_b128 v[48:51], v30 offset:2304
	v_add_f64 v[98:99], v[18:19], v[98:99]
	v_add_f64 v[19:20], v[100:101], v[20:21]
	;; [unrolled: 1-line block ×4, first 2 shown]
	v_fma_f64 v[92:93], v[80:81], v[32:33], -v[110:111]
	v_fma_f64 v[94:95], v[82:83], v[32:33], v[112:113]
	v_fma_f64 v[70:71], v[80:81], v[36:37], -v[70:71]
	v_fma_f64 v[82:83], v[82:83], v[36:37], v[114:115]
	ds_read_b128 v[3:6], v31 offset:80
	ds_read_b128 v[15:18], v30 offset:2816
	v_add_f64 v[74:75], v[74:75], v[106:107]
	v_add_f64 v[104:105], v[126:127], v[11:12]
	s_waitcnt lgkmcnt(5)
	v_mul_f64 v[80:81], v[42:43], v[46:47]
	v_mul_f64 v[96:97], v[40:41], v[46:47]
	s_waitcnt lgkmcnt(4)
	v_mul_f64 v[114:115], v[54:55], v[46:47]
	v_mul_f64 v[46:47], v[52:53], v[46:47]
	v_add_f64 v[60:61], v[78:79], v[60:61]
	v_add_f64 v[56:57], v[56:57], v[88:89]
	v_fma_f64 v[78:79], v[84:85], v[32:33], -v[116:117]
	v_fma_f64 v[88:89], v[86:87], v[32:33], v[34:35]
	ds_read_b128 v[11:14], v30 offset:2560
	s_waitcnt lgkmcnt(3)
	v_mul_f64 v[110:111], v[42:43], v[50:51]
	v_mul_f64 v[112:113], v[40:41], v[50:51]
	v_fma_f64 v[84:85], v[84:85], v[36:37], -v[90:91]
	v_fma_f64 v[86:87], v[86:87], v[36:37], v[38:39]
	v_mul_f64 v[36:37], v[54:55], v[50:51]
	v_mul_f64 v[38:39], v[52:53], v[50:51]
	v_add_co_u32 v24, vcc_lo, v24, s12
	v_add_co_ci_u32_e64 v25, null, s13, v25, vcc_lo
	s_and_b32 vcc_lo, exec_lo, s16
	v_add_f64 v[68:69], v[68:69], v[104:105]
	v_fma_f64 v[80:81], v[40:41], v[44:45], -v[80:81]
	v_fma_f64 v[90:91], v[42:43], v[44:45], v[96:97]
	v_fma_f64 v[50:51], v[52:53], v[44:45], -v[114:115]
	v_fma_f64 v[44:45], v[54:55], v[44:45], v[46:47]
	v_add_f64 v[46:47], v[98:99], v[58:59]
	v_add_f64 v[58:59], v[62:63], v[19:20]
	;; [unrolled: 1-line block ×7, first 2 shown]
	v_fma_f64 v[96:97], v[40:41], v[48:49], -v[110:111]
	v_fma_f64 v[106:107], v[42:43], v[48:49], v[112:113]
	s_waitcnt lgkmcnt(0)
	v_mul_f64 v[72:73], v[5:6], v[13:14]
	v_mul_f64 v[74:75], v[3:4], v[13:14]
	;; [unrolled: 1-line block ×8, first 2 shown]
	v_fma_f64 v[52:53], v[52:53], v[48:49], -v[36:37]
	v_fma_f64 v[48:49], v[54:55], v[48:49], v[38:39]
	ds_read_b128 v[17:20], v31 offset:96
	ds_read_b128 v[32:35], v30 offset:3072
	;; [unrolled: 1-line block ×4, first 2 shown]
	v_add_f64 v[46:47], v[46:47], v[92:93]
	v_add_f64 v[54:55], v[94:95], v[58:59]
	v_add_f64 v[58:59], v[62:63], v[70:71]
	v_add_f64 v[62:63], v[82:83], v[64:65]
	v_add_f64 v[64:65], v[66:67], v[78:79]
	v_add_f64 v[66:67], v[88:89], v[68:69]
	v_add_f64 v[60:61], v[60:61], v[84:85]
	v_add_f64 v[56:57], v[86:87], v[56:57]
	v_fma_f64 v[68:69], v[3:4], v[11:12], -v[72:73]
	v_fma_f64 v[70:71], v[5:6], v[11:12], v[74:75]
	v_fma_f64 v[72:73], v[3:4], v[15:16], -v[76:77]
	v_fma_f64 v[74:75], v[5:6], v[15:16], v[98:99]
	;; [unrolled: 2-line block ×4, first 2 shown]
	s_waitcnt lgkmcnt(2)
	v_mul_f64 v[84:85], v[19:20], v[34:35]
	v_mul_f64 v[86:87], v[17:18], v[34:35]
	s_waitcnt lgkmcnt(1)
	v_mul_f64 v[88:89], v[19:20], v[38:39]
	v_mul_f64 v[92:93], v[17:18], v[38:39]
	;; [unrolled: 3-line block ×3, first 2 shown]
	v_add_f64 v[80:81], v[46:47], v[80:81]
	v_add_f64 v[54:55], v[90:91], v[54:55]
	;; [unrolled: 1-line block ×8, first 2 shown]
	v_mul_f64 v[56:57], v[42:43], v[38:39]
	v_mul_f64 v[38:39], v[40:41], v[38:39]
	ds_read_b128 v[3:6], v31 offset:112
	ds_read_b128 v[7:10], v31 offset:2160
	;; [unrolled: 1-line block ×4, first 2 shown]
	s_waitcnt lgkmcnt(0)
	s_barrier
	buffer_gl0_inv
	v_fma_f64 v[60:61], v[17:18], v[32:33], -v[84:85]
	v_fma_f64 v[66:67], v[19:20], v[32:33], v[86:87]
	v_fma_f64 v[17:18], v[17:18], v[36:37], -v[88:89]
	v_fma_f64 v[19:20], v[19:20], v[36:37], v[92:93]
	;; [unrolled: 2-line block ×3, first 2 shown]
	v_add_f64 v[34:35], v[80:81], v[68:69]
	v_add_f64 v[54:55], v[70:71], v[54:55]
	;; [unrolled: 1-line block ×8, first 2 shown]
	v_fma_f64 v[40:41], v[40:41], v[36:37], -v[56:57]
	v_fma_f64 v[36:37], v[42:43], v[36:37], v[38:39]
	v_mul_f64 v[38:39], v[5:6], v[13:14]
	v_mul_f64 v[42:43], v[3:4], v[13:14]
	;; [unrolled: 1-line block ×8, first 2 shown]
	v_add_f64 v[34:35], v[34:35], v[60:61]
	v_add_f64 v[54:55], v[66:67], v[54:55]
	;; [unrolled: 1-line block ×8, first 2 shown]
	v_fma_f64 v[15:16], v[3:4], v[11:12], -v[38:39]
	v_fma_f64 v[20:21], v[5:6], v[11:12], v[42:43]
	v_fma_f64 v[3:4], v[3:4], v[44:45], -v[48:49]
	v_fma_f64 v[5:6], v[5:6], v[44:45], v[56:57]
	v_fma_f64 v[38:39], v[7:8], v[11:12], -v[68:69]
	v_fma_f64 v[12:13], v[9:10], v[11:12], v[13:14]
	v_fma_f64 v[7:8], v[7:8], v[44:45], -v[70:71]
	v_fma_f64 v[42:43], v[9:10], v[44:45], v[46:47]
	v_add_f64 v[18:19], v[34:35], v[15:16]
	v_add_f64 v[20:21], v[20:21], v[54:55]
	;; [unrolled: 1-line block ×8, first 2 shown]
	s_cbranch_vccz .LBB271_12
.LBB271_3:                              ; =>This Inner Loop Header: Depth=1
	v_add_co_u32 v3, s16, v27, s14
	v_add_co_ci_u32_e64 v4, null, 0, s15, s16
	v_cmp_le_i64_e32 vcc_lo, s[40:41], v[3:4]
	s_or_b32 s16, s1, vcc_lo
	s_and_saveexec_b32 s17, s16
	s_xor_b32 s16, exec_lo, s17
	s_cbranch_execz .LBB271_5
; %bb.4:                                ;   in Loop: Header=BB271_3 Depth=1
	v_mov_b32_e32 v3, v2
	v_mov_b32_e32 v4, v2
	;; [unrolled: 1-line block ×3, first 2 shown]
	ds_write_b128 v28, v[2:5]
.LBB271_5:                              ;   in Loop: Header=BB271_3 Depth=1
	s_andn2_saveexec_b32 s16, s16
	s_cbranch_execz .LBB271_7
; %bb.6:                                ;   in Loop: Header=BB271_3 Depth=1
	flat_load_dwordx4 v[32:35], v[24:25]
	s_waitcnt vmcnt(0) lgkmcnt(0)
	ds_write2_b64 v28, v[32:33], v[34:35] offset1:1
.LBB271_7:                              ;   in Loop: Header=BB271_3 Depth=1
	s_or_b32 exec_lo, exec_lo, s16
	v_add_co_u32 v3, s16, v26, s14
	v_add_co_ci_u32_e64 v4, null, 0, s15, s16
	v_cmp_le_i64_e32 vcc_lo, s[40:41], v[3:4]
	s_or_b32 s16, vcc_lo, s0
	s_and_saveexec_b32 s17, s16
	s_xor_b32 s16, exec_lo, s17
	s_cbranch_execz .LBB271_9
; %bb.8:                                ;   in Loop: Header=BB271_3 Depth=1
	v_mov_b32_e32 v3, v2
	v_mov_b32_e32 v4, v2
	;; [unrolled: 1-line block ×3, first 2 shown]
	ds_write_b128 v29, v[2:5]
.LBB271_9:                              ;   in Loop: Header=BB271_3 Depth=1
	s_andn2_saveexec_b32 s16, s16
	s_cbranch_execz .LBB271_2
; %bb.10:                               ;   in Loop: Header=BB271_3 Depth=1
	flat_load_dwordx4 v[32:35], v[22:23]
	s_waitcnt vmcnt(0) lgkmcnt(0)
	ds_write2_b64 v29, v[32:33], v[34:35] offset1:1
	s_branch .LBB271_2
.LBB271_11:
	v_mov_b32_e32 v18, 0
	v_mov_b32_e32 v20, 0
	;; [unrolled: 1-line block ×16, first 2 shown]
.LBB271_12:
	v_cmp_neq_f64_e64 s7, s[18:19], 0
	v_cmp_neq_f64_e64 s12, s[20:21], 0
	s_lshl_b64 s[0:1], s[2:3], 4
	v_add_co_u32 v1, s2, s22, v1
	v_add_co_ci_u32_e64 v2, null, s23, 0, s2
	s_waitcnt lgkmcnt(0)
	s_add_u32 s3, s10, s0
	s_addc_u32 s6, s11, s1
	v_cmp_gt_i64_e64 s0, s[38:39], v[1:2]
	s_or_b32 s1, s7, s12
	s_and_b32 vcc_lo, exec_lo, s1
	s_mov_b32 s1, -1
	s_cbranch_vccnz .LBB271_24
; %bb.13:
	s_and_saveexec_b32 s7, s0
	s_cbranch_execz .LBB271_23
; %bb.14:
	v_mul_lo_u32 v5, v2, s30
	v_mul_lo_u32 v22, v1, s31
	v_mad_u64_u32 v[3:4], null, v1, s30, 0
	v_add3_u32 v4, v4, v22, v5
	v_add_co_u32 v22, s1, s8, v0
	v_add_co_ci_u32_e64 v23, null, s9, 0, s1
	v_lshlrev_b64 v[24:25], 4, v[3:4]
	v_cmp_gt_i64_e32 vcc_lo, s[36:37], v[22:23]
	v_lshlrev_b64 v[3:4], 4, v[22:23]
	v_add_co_u32 v5, s1, s3, v24
	v_add_co_ci_u32_e64 v24, null, s6, v25, s1
	s_and_saveexec_b32 s2, vcc_lo
	s_cbranch_execz .LBB271_16
; %bb.15:
	v_mul_f64 v[25:26], s[44:45], v[20:21]
	v_mul_f64 v[27:28], s[42:43], v[20:21]
	v_add_co_u32 v29, s1, v5, v3
	v_add_co_ci_u32_e64 v30, null, v24, v4, s1
	v_fma_f64 v[25:26], s[42:43], v[18:19], -v[25:26]
	v_fma_f64 v[27:28], s[44:45], v[18:19], v[27:28]
	flat_store_dwordx4 v[29:30], v[25:28]
.LBB271_16:
	s_or_b32 exec_lo, exec_lo, s2
	v_add_co_u32 v22, s1, v22, 16
	v_add_co_ci_u32_e64 v23, null, 0, v23, s1
	v_cmp_gt_i64_e64 s1, s[36:37], v[22:23]
	s_and_saveexec_b32 s10, s1
	s_cbranch_execz .LBB271_18
; %bb.17:
	v_mul_f64 v[22:23], s[44:45], v[16:17]
	v_mul_f64 v[27:28], s[42:43], v[16:17]
	v_fma_f64 v[25:26], s[42:43], v[14:15], -v[22:23]
	v_fma_f64 v[27:28], s[44:45], v[14:15], v[27:28]
	v_add_co_u32 v22, s2, v5, v3
	v_add_co_ci_u32_e64 v23, null, v24, v4, s2
	flat_store_dwordx4 v[22:23], v[25:28] offset:256
.LBB271_18:
	s_or_b32 exec_lo, exec_lo, s10
	v_add_co_u32 v22, s2, v1, 16
	v_add_co_ci_u32_e64 v23, null, 0, v2, s2
	v_cmp_gt_i64_e64 s2, s[38:39], v[22:23]
	s_and_b32 exec_lo, exec_lo, s2
	s_cbranch_execz .LBB271_23
; %bb.19:
	s_lshl_b64 s[10:11], s[30:31], 8
	v_add_co_u32 v5, s2, v5, s10
	v_add_co_ci_u32_e64 v22, null, s11, v24, s2
	v_add_co_u32 v3, s2, v5, v3
	v_add_co_ci_u32_e64 v4, null, v22, v4, s2
	s_and_saveexec_b32 s2, vcc_lo
	s_cbranch_execz .LBB271_21
; %bb.20:
	v_mul_f64 v[22:23], s[44:45], v[12:13]
	v_mul_f64 v[24:25], s[42:43], v[12:13]
	v_fma_f64 v[22:23], s[42:43], v[10:11], -v[22:23]
	v_fma_f64 v[24:25], s[44:45], v[10:11], v[24:25]
	flat_store_dwordx4 v[3:4], v[22:25]
.LBB271_21:
	s_or_b32 exec_lo, exec_lo, s2
	s_and_b32 exec_lo, exec_lo, s1
	s_cbranch_execz .LBB271_23
; %bb.22:
	v_mul_f64 v[22:23], s[44:45], v[8:9]
	v_mul_f64 v[24:25], s[42:43], v[8:9]
	v_fma_f64 v[22:23], s[42:43], v[6:7], -v[22:23]
	v_fma_f64 v[24:25], s[44:45], v[6:7], v[24:25]
	flat_store_dwordx4 v[3:4], v[22:25] offset:256
.LBB271_23:
	s_or_b32 exec_lo, exec_lo, s7
	s_mov_b32 s1, 0
.LBB271_24:
	s_andn2_b32 vcc_lo, exec_lo, s1
	s_cbranch_vccnz .LBB271_35
; %bb.25:
	s_and_saveexec_b32 s1, s0
	s_cbranch_execz .LBB271_35
; %bb.26:
	v_mul_lo_u32 v5, v2, s24
	v_mul_lo_u32 v22, v1, s25
	v_mad_u64_u32 v[3:4], null, v1, s24, 0
	v_mul_lo_u32 v26, v2, s30
	v_mul_lo_u32 v27, v1, s31
	v_mad_u64_u32 v[24:25], null, v1, s30, 0
	s_lshl_b64 s[0:1], s[26:27], 4
	v_add3_u32 v4, v4, v22, v5
	v_add_co_u32 v22, s2, s8, v0
	v_add_co_ci_u32_e64 v23, null, s9, 0, s2
	v_add3_u32 v25, v25, v27, v26
	v_lshlrev_b64 v[3:4], 4, v[3:4]
	s_add_u32 s0, s4, s0
	s_addc_u32 s1, s5, s1
	v_cmp_gt_i64_e32 vcc_lo, s[36:37], v[22:23]
	v_lshlrev_b64 v[24:25], 4, v[24:25]
	v_add_co_u32 v0, s0, s0, v3
	v_add_co_ci_u32_e64 v5, null, s1, v4, s0
	v_add_co_u32 v24, s0, s3, v24
	v_lshlrev_b64 v[3:4], 4, v[22:23]
	v_add_co_ci_u32_e64 v25, null, s6, v25, s0
	s_and_saveexec_b32 s1, vcc_lo
	s_cbranch_execz .LBB271_28
; %bb.27:
	v_add_co_u32 v26, s0, v0, v3
	v_add_co_ci_u32_e64 v27, null, v5, v4, s0
	v_mul_f64 v[30:31], s[44:45], v[20:21]
	v_mul_f64 v[20:21], s[42:43], v[20:21]
	flat_load_dwordx4 v[26:29], v[26:27]
	v_fma_f64 v[30:31], s[42:43], v[18:19], -v[30:31]
	v_fma_f64 v[20:21], s[44:45], v[18:19], v[20:21]
	s_waitcnt vmcnt(0) lgkmcnt(0)
	v_mul_f64 v[32:33], s[20:21], v[28:29]
	v_mul_f64 v[28:29], s[18:19], v[28:29]
	v_fma_f64 v[18:19], s[18:19], v[26:27], -v[32:33]
	v_fma_f64 v[26:27], s[20:21], v[26:27], v[28:29]
	v_add_f64 v[18:19], v[30:31], v[18:19]
	v_add_f64 v[20:21], v[20:21], v[26:27]
	v_add_co_u32 v26, s0, v24, v3
	v_add_co_ci_u32_e64 v27, null, v25, v4, s0
	flat_store_dwordx4 v[26:27], v[18:21]
.LBB271_28:
	s_or_b32 exec_lo, exec_lo, s1
	v_add_co_u32 v18, s0, v22, 16
	v_add_co_ci_u32_e64 v19, null, 0, v23, s0
	v_cmp_gt_i64_e64 s0, s[36:37], v[18:19]
	s_and_saveexec_b32 s2, s0
	s_cbranch_execz .LBB271_30
; %bb.29:
	v_add_co_u32 v18, s1, v0, v3
	v_add_co_ci_u32_e64 v19, null, v5, v4, s1
	v_mul_f64 v[22:23], s[44:45], v[16:17]
	v_mul_f64 v[16:17], s[42:43], v[16:17]
	flat_load_dwordx4 v[18:21], v[18:19] offset:256
	v_fma_f64 v[22:23], s[42:43], v[14:15], -v[22:23]
	v_fma_f64 v[16:17], s[44:45], v[14:15], v[16:17]
	s_waitcnt vmcnt(0) lgkmcnt(0)
	v_mul_f64 v[26:27], s[20:21], v[20:21]
	v_mul_f64 v[20:21], s[18:19], v[20:21]
	v_fma_f64 v[14:15], s[18:19], v[18:19], -v[26:27]
	v_fma_f64 v[18:19], s[20:21], v[18:19], v[20:21]
	v_add_f64 v[14:15], v[22:23], v[14:15]
	v_add_f64 v[16:17], v[16:17], v[18:19]
	v_add_co_u32 v18, s1, v24, v3
	v_add_co_ci_u32_e64 v19, null, v25, v4, s1
	flat_store_dwordx4 v[18:19], v[14:17] offset:256
.LBB271_30:
	s_or_b32 exec_lo, exec_lo, s2
	v_add_co_u32 v1, s1, v1, 16
	v_add_co_ci_u32_e64 v2, null, 0, v2, s1
	v_cmp_gt_i64_e64 s1, s[38:39], v[1:2]
	s_and_b32 exec_lo, exec_lo, s1
	s_cbranch_execz .LBB271_35
; %bb.31:
	s_lshl_b64 s[2:3], s[24:25], 8
	v_add_co_u32 v0, s1, v0, s2
	v_add_co_ci_u32_e64 v1, null, s3, v5, s1
	s_lshl_b64 s[2:3], s[30:31], 8
	v_add_co_u32 v2, s1, v24, s2
	v_add_co_ci_u32_e64 v5, null, s3, v25, s1
	v_add_co_u32 v14, s1, v0, v3
	v_add_co_ci_u32_e64 v15, null, v1, v4, s1
	;; [unrolled: 2-line block ×3, first 2 shown]
	s_and_saveexec_b32 s1, vcc_lo
	s_cbranch_execz .LBB271_33
; %bb.32:
	flat_load_dwordx4 v[2:5], v[14:15]
	v_mul_f64 v[16:17], s[44:45], v[12:13]
	v_mul_f64 v[12:13], s[42:43], v[12:13]
	v_fma_f64 v[16:17], s[42:43], v[10:11], -v[16:17]
	v_fma_f64 v[10:11], s[44:45], v[10:11], v[12:13]
	s_waitcnt vmcnt(0) lgkmcnt(0)
	v_mul_f64 v[18:19], s[20:21], v[4:5]
	v_mul_f64 v[4:5], s[18:19], v[4:5]
	v_fma_f64 v[12:13], s[18:19], v[2:3], -v[18:19]
	v_fma_f64 v[4:5], s[20:21], v[2:3], v[4:5]
	v_add_f64 v[2:3], v[16:17], v[12:13]
	v_add_f64 v[4:5], v[10:11], v[4:5]
	flat_store_dwordx4 v[0:1], v[2:5]
.LBB271_33:
	s_or_b32 exec_lo, exec_lo, s1
	s_and_b32 exec_lo, exec_lo, s0
	s_cbranch_execz .LBB271_35
; %bb.34:
	flat_load_dwordx4 v[2:5], v[14:15] offset:256
	v_mul_f64 v[10:11], s[44:45], v[8:9]
	v_mul_f64 v[8:9], s[42:43], v[8:9]
	v_fma_f64 v[10:11], s[42:43], v[6:7], -v[10:11]
	v_fma_f64 v[6:7], s[44:45], v[6:7], v[8:9]
	s_waitcnt vmcnt(0) lgkmcnt(0)
	v_mul_f64 v[12:13], s[20:21], v[4:5]
	v_mul_f64 v[4:5], s[18:19], v[4:5]
	v_fma_f64 v[8:9], s[18:19], v[2:3], -v[12:13]
	v_fma_f64 v[4:5], s[20:21], v[2:3], v[4:5]
	v_add_f64 v[2:3], v[10:11], v[8:9]
	v_add_f64 v[4:5], v[6:7], v[4:5]
	flat_store_dwordx4 v[0:1], v[2:5] offset:256
.LBB271_35:
	s_endpgm
	.section	.rodata,"a",@progbits
	.p2align	6, 0x0
	.amdhsa_kernel _ZN12_GLOBAL__N_135rocblas_gemm_batched_general_kernelI19rocblas_complex_numIdELi16ELi16ELi32ELi32ELi8ELi32ELi8ELi8ELi32ELc78ELc84EKPKS2_S5_KPS2_EEvlllT_PT11_llSA_llS8_PT12_llPT13_lli
		.amdhsa_group_segment_fixed_size 8192
		.amdhsa_private_segment_fixed_size 0
		.amdhsa_kernarg_size 156
		.amdhsa_user_sgpr_count 6
		.amdhsa_user_sgpr_private_segment_buffer 1
		.amdhsa_user_sgpr_dispatch_ptr 0
		.amdhsa_user_sgpr_queue_ptr 0
		.amdhsa_user_sgpr_kernarg_segment_ptr 1
		.amdhsa_user_sgpr_dispatch_id 0
		.amdhsa_user_sgpr_flat_scratch_init 0
		.amdhsa_user_sgpr_private_segment_size 0
		.amdhsa_wavefront_size32 1
		.amdhsa_uses_dynamic_stack 0
		.amdhsa_system_sgpr_private_segment_wavefront_offset 0
		.amdhsa_system_sgpr_workgroup_id_x 1
		.amdhsa_system_sgpr_workgroup_id_y 1
		.amdhsa_system_sgpr_workgroup_id_z 1
		.amdhsa_system_sgpr_workgroup_info 0
		.amdhsa_system_vgpr_workitem_id 1
		.amdhsa_next_free_vgpr 128
		.amdhsa_next_free_sgpr 52
		.amdhsa_reserve_vcc 1
		.amdhsa_reserve_flat_scratch 0
		.amdhsa_float_round_mode_32 0
		.amdhsa_float_round_mode_16_64 0
		.amdhsa_float_denorm_mode_32 3
		.amdhsa_float_denorm_mode_16_64 3
		.amdhsa_dx10_clamp 1
		.amdhsa_ieee_mode 1
		.amdhsa_fp16_overflow 0
		.amdhsa_workgroup_processor_mode 1
		.amdhsa_memory_ordered 1
		.amdhsa_forward_progress 1
		.amdhsa_shared_vgpr_count 0
		.amdhsa_exception_fp_ieee_invalid_op 0
		.amdhsa_exception_fp_denorm_src 0
		.amdhsa_exception_fp_ieee_div_zero 0
		.amdhsa_exception_fp_ieee_overflow 0
		.amdhsa_exception_fp_ieee_underflow 0
		.amdhsa_exception_fp_ieee_inexact 0
		.amdhsa_exception_int_div_zero 0
	.end_amdhsa_kernel
	.section	.text._ZN12_GLOBAL__N_135rocblas_gemm_batched_general_kernelI19rocblas_complex_numIdELi16ELi16ELi32ELi32ELi8ELi32ELi8ELi8ELi32ELc78ELc84EKPKS2_S5_KPS2_EEvlllT_PT11_llSA_llS8_PT12_llPT13_lli,"axG",@progbits,_ZN12_GLOBAL__N_135rocblas_gemm_batched_general_kernelI19rocblas_complex_numIdELi16ELi16ELi32ELi32ELi8ELi32ELi8ELi8ELi32ELc78ELc84EKPKS2_S5_KPS2_EEvlllT_PT11_llSA_llS8_PT12_llPT13_lli,comdat
.Lfunc_end271:
	.size	_ZN12_GLOBAL__N_135rocblas_gemm_batched_general_kernelI19rocblas_complex_numIdELi16ELi16ELi32ELi32ELi8ELi32ELi8ELi8ELi32ELc78ELc84EKPKS2_S5_KPS2_EEvlllT_PT11_llSA_llS8_PT12_llPT13_lli, .Lfunc_end271-_ZN12_GLOBAL__N_135rocblas_gemm_batched_general_kernelI19rocblas_complex_numIdELi16ELi16ELi32ELi32ELi8ELi32ELi8ELi8ELi32ELc78ELc84EKPKS2_S5_KPS2_EEvlllT_PT11_llSA_llS8_PT12_llPT13_lli
                                        ; -- End function
	.set _ZN12_GLOBAL__N_135rocblas_gemm_batched_general_kernelI19rocblas_complex_numIdELi16ELi16ELi32ELi32ELi8ELi32ELi8ELi8ELi32ELc78ELc84EKPKS2_S5_KPS2_EEvlllT_PT11_llSA_llS8_PT12_llPT13_lli.num_vgpr, 128
	.set _ZN12_GLOBAL__N_135rocblas_gemm_batched_general_kernelI19rocblas_complex_numIdELi16ELi16ELi32ELi32ELi8ELi32ELi8ELi8ELi32ELc78ELc84EKPKS2_S5_KPS2_EEvlllT_PT11_llSA_llS8_PT12_llPT13_lli.num_agpr, 0
	.set _ZN12_GLOBAL__N_135rocblas_gemm_batched_general_kernelI19rocblas_complex_numIdELi16ELi16ELi32ELi32ELi8ELi32ELi8ELi8ELi32ELc78ELc84EKPKS2_S5_KPS2_EEvlllT_PT11_llSA_llS8_PT12_llPT13_lli.numbered_sgpr, 52
	.set _ZN12_GLOBAL__N_135rocblas_gemm_batched_general_kernelI19rocblas_complex_numIdELi16ELi16ELi32ELi32ELi8ELi32ELi8ELi8ELi32ELc78ELc84EKPKS2_S5_KPS2_EEvlllT_PT11_llSA_llS8_PT12_llPT13_lli.num_named_barrier, 0
	.set _ZN12_GLOBAL__N_135rocblas_gemm_batched_general_kernelI19rocblas_complex_numIdELi16ELi16ELi32ELi32ELi8ELi32ELi8ELi8ELi32ELc78ELc84EKPKS2_S5_KPS2_EEvlllT_PT11_llSA_llS8_PT12_llPT13_lli.private_seg_size, 0
	.set _ZN12_GLOBAL__N_135rocblas_gemm_batched_general_kernelI19rocblas_complex_numIdELi16ELi16ELi32ELi32ELi8ELi32ELi8ELi8ELi32ELc78ELc84EKPKS2_S5_KPS2_EEvlllT_PT11_llSA_llS8_PT12_llPT13_lli.uses_vcc, 1
	.set _ZN12_GLOBAL__N_135rocblas_gemm_batched_general_kernelI19rocblas_complex_numIdELi16ELi16ELi32ELi32ELi8ELi32ELi8ELi8ELi32ELc78ELc84EKPKS2_S5_KPS2_EEvlllT_PT11_llSA_llS8_PT12_llPT13_lli.uses_flat_scratch, 0
	.set _ZN12_GLOBAL__N_135rocblas_gemm_batched_general_kernelI19rocblas_complex_numIdELi16ELi16ELi32ELi32ELi8ELi32ELi8ELi8ELi32ELc78ELc84EKPKS2_S5_KPS2_EEvlllT_PT11_llSA_llS8_PT12_llPT13_lli.has_dyn_sized_stack, 0
	.set _ZN12_GLOBAL__N_135rocblas_gemm_batched_general_kernelI19rocblas_complex_numIdELi16ELi16ELi32ELi32ELi8ELi32ELi8ELi8ELi32ELc78ELc84EKPKS2_S5_KPS2_EEvlllT_PT11_llSA_llS8_PT12_llPT13_lli.has_recursion, 0
	.set _ZN12_GLOBAL__N_135rocblas_gemm_batched_general_kernelI19rocblas_complex_numIdELi16ELi16ELi32ELi32ELi8ELi32ELi8ELi8ELi32ELc78ELc84EKPKS2_S5_KPS2_EEvlllT_PT11_llSA_llS8_PT12_llPT13_lli.has_indirect_call, 0
	.section	.AMDGPU.csdata,"",@progbits
; Kernel info:
; codeLenInByte = 4048
; TotalNumSgprs: 54
; NumVgprs: 128
; ScratchSize: 0
; MemoryBound: 0
; FloatMode: 240
; IeeeMode: 1
; LDSByteSize: 8192 bytes/workgroup (compile time only)
; SGPRBlocks: 0
; VGPRBlocks: 15
; NumSGPRsForWavesPerEU: 54
; NumVGPRsForWavesPerEU: 128
; Occupancy: 8
; WaveLimiterHint : 1
; COMPUTE_PGM_RSRC2:SCRATCH_EN: 0
; COMPUTE_PGM_RSRC2:USER_SGPR: 6
; COMPUTE_PGM_RSRC2:TRAP_HANDLER: 0
; COMPUTE_PGM_RSRC2:TGID_X_EN: 1
; COMPUTE_PGM_RSRC2:TGID_Y_EN: 1
; COMPUTE_PGM_RSRC2:TGID_Z_EN: 1
; COMPUTE_PGM_RSRC2:TIDIG_COMP_CNT: 1
	.section	.text._ZN12_GLOBAL__N_135rocblas_gemm_batched_general_kernelI19rocblas_complex_numIdELi16ELi16ELi32ELi32ELi8ELi32ELi8ELi8ELi32ELc84ELc84EKPKS2_S5_KPS2_EEvlllT_PT11_llSA_llS8_PT12_llPT13_lli,"axG",@progbits,_ZN12_GLOBAL__N_135rocblas_gemm_batched_general_kernelI19rocblas_complex_numIdELi16ELi16ELi32ELi32ELi8ELi32ELi8ELi8ELi32ELc84ELc84EKPKS2_S5_KPS2_EEvlllT_PT11_llSA_llS8_PT12_llPT13_lli,comdat
	.globl	_ZN12_GLOBAL__N_135rocblas_gemm_batched_general_kernelI19rocblas_complex_numIdELi16ELi16ELi32ELi32ELi8ELi32ELi8ELi8ELi32ELc84ELc84EKPKS2_S5_KPS2_EEvlllT_PT11_llSA_llS8_PT12_llPT13_lli ; -- Begin function _ZN12_GLOBAL__N_135rocblas_gemm_batched_general_kernelI19rocblas_complex_numIdELi16ELi16ELi32ELi32ELi8ELi32ELi8ELi8ELi32ELc84ELc84EKPKS2_S5_KPS2_EEvlllT_PT11_llSA_llS8_PT12_llPT13_lli
	.p2align	8
	.type	_ZN12_GLOBAL__N_135rocblas_gemm_batched_general_kernelI19rocblas_complex_numIdELi16ELi16ELi32ELi32ELi8ELi32ELi8ELi8ELi32ELc84ELc84EKPKS2_S5_KPS2_EEvlllT_PT11_llSA_llS8_PT12_llPT13_lli,@function
_ZN12_GLOBAL__N_135rocblas_gemm_batched_general_kernelI19rocblas_complex_numIdELi16ELi16ELi32ELi32ELi8ELi32ELi8ELi8ELi32ELc84ELc84EKPKS2_S5_KPS2_EEvlllT_PT11_llSA_llS8_PT12_llPT13_lli: ; @_ZN12_GLOBAL__N_135rocblas_gemm_batched_general_kernelI19rocblas_complex_numIdELi16ELi16ELi32ELi32ELi8ELi32ELi8ELi8ELi32ELc84ELc84EKPKS2_S5_KPS2_EEvlllT_PT11_llSA_llS8_PT12_llPT13_lli
; %bb.0:
	s_clause 0x2
	s_load_dwordx16 s[12:27], s[4:5], 0x40
	s_load_dwordx4 s[28:31], s[4:5], 0x80
	s_load_dwordx16 s[36:51], s[4:5], 0x0
	s_mov_b32 s9, 0
	s_load_dwordx2 s[2:3], s[4:5], 0x90
	s_lshl_b64 s[0:1], s[8:9], 3
	s_mov_b32 s34, s7
	v_mov_b32_e32 v2, 0
	s_waitcnt lgkmcnt(0)
	s_add_u32 s4, s22, s0
	s_addc_u32 s5, s23, s1
	s_add_u32 s8, s28, s0
	s_addc_u32 s9, s29, s1
	s_load_dwordx2 s[4:5], s[4:5], 0x0
	s_load_dwordx2 s[8:9], s[8:9], 0x0
	v_cmp_lt_i64_e64 s10, s[40:41], 1
	s_ashr_i32 s7, s6, 31
	s_ashr_i32 s35, s34, 31
	s_lshl_b64 s[6:7], s[6:7], 5
	s_and_b32 vcc_lo, exec_lo, s10
	s_lshl_b64 s[10:11], s[34:35], 5
	s_cbranch_vccnz .LBB272_11
; %bb.1:
	v_lshl_add_u32 v5, v1, 4, v0
	v_and_b32_e32 v26, 7, v0
	s_add_u32 s12, s12, s0
	s_addc_u32 s13, s13, s1
	s_add_u32 s0, s46, s0
	v_lshrrev_b32_e32 v11, 3, v5
	v_mad_u64_u32 v[3:4], null, s14, v26, 0
	v_lshrrev_b32_e32 v27, 5, v5
	v_and_b32_e32 v12, 31, v5
	v_add_co_u32 v5, s22, v11, s10
	v_lshlrev_b32_e32 v9, 4, v26
	v_add_co_ci_u32_e64 v6, null, 0, s11, s22
	s_addc_u32 s1, s47, s1
	s_load_dwordx2 s[12:13], s[12:13], 0x0
	v_lshl_or_b32 v14, v11, 7, v9
	v_mad_u64_u32 v[9:10], null, s15, v26, v[4:5]
	s_load_dwordx2 s[22:23], s[0:1], 0x0
	v_cmp_gt_i64_e64 s0, s[38:39], v[5:6]
	v_add_co_u32 v5, s1, s6, v12
	v_or_b32_e32 v7, s6, v12
	v_mov_b32_e32 v8, s7
	v_mov_b32_e32 v4, v9
	v_add_co_ci_u32_e64 v6, null, s7, 0, s1
	s_lshl_b64 s[28:29], s[34:35], 9
	v_cmp_gt_i64_e32 vcc_lo, s[36:37], v[7:8]
	v_lshlrev_b64 v[3:4], 4, v[3:4]
	v_mul_lo_u32 v7, s49, v5
	v_mul_lo_u32 v8, s48, v6
	v_mad_u64_u32 v[5:6], null, s48, v5, 0
	s_lshl_b64 s[16:17], s[16:17], 4
	v_lshlrev_b32_e32 v9, 4, v11
	s_add_u32 s1, s16, s28
	s_addc_u32 s16, s17, s29
	v_add_co_u32 v3, s1, s1, v3
	v_add_co_ci_u32_e64 v4, null, s16, v4, s1
	v_add3_u32 v6, v6, v8, v7
	v_add_co_u32 v7, s1, v3, v9
	v_add_co_ci_u32_e64 v8, null, 0, v4, s1
	v_lshlrev_b64 v[3:4], 4, v[5:6]
	s_waitcnt lgkmcnt(0)
	v_add_co_u32 v22, s1, s12, v7
	v_add_co_ci_u32_e64 v23, null, s13, v8, s1
	s_lshl_b64 s[12:13], s[50:51], 4
	v_lshlrev_b32_e32 v5, 4, v27
	v_add_co_u32 v3, s1, v3, s12
	v_add_co_ci_u32_e64 v4, null, s13, v4, s1
	v_lshlrev_b32_e32 v13, 4, v12
	v_add_co_u32 v3, s1, v3, v5
	v_add_co_ci_u32_e64 v4, null, 0, v4, s1
	v_lshl_or_b32 v28, v27, 9, v13
	v_add_co_u32 v24, s1, s22, v3
	v_add_nc_u32_e32 v29, 0x1000, v14
	v_mov_b32_e32 v8, 0
	v_mov_b32_e32 v6, 0
	;; [unrolled: 1-line block ×8, first 2 shown]
	v_lshlrev_b32_e32 v30, 4, v0
	v_lshl_add_u32 v31, v1, 7, 0x1000
	v_mov_b32_e32 v9, 0
	v_mov_b32_e32 v7, 0
	;; [unrolled: 1-line block ×8, first 2 shown]
	v_add_co_ci_u32_e64 v25, null, s23, v4, s1
	s_lshl_b64 s[12:13], s[14:15], 7
	s_mov_b64 s[14:15], 0
	s_xor_b32 s1, vcc_lo, -1
	s_xor_b32 s0, s0, -1
	s_branch .LBB272_3
.LBB272_2:                              ;   in Loop: Header=BB272_3 Depth=1
	s_or_b32 exec_lo, exec_lo, s16
	s_waitcnt lgkmcnt(0)
	s_barrier
	buffer_gl0_inv
	ds_read_b128 v[32:35], v31
	ds_read_b128 v[36:39], v30
	ds_read_b128 v[40:43], v30 offset:256
	ds_read_b128 v[44:47], v31 offset:2048
	;; [unrolled: 1-line block ×12, first 2 shown]
	s_add_u32 s14, s14, 8
	s_addc_u32 s15, s15, 0
	v_add_co_u32 v22, vcc_lo, v22, s12
	v_cmp_lt_i64_e64 s16, s[14:15], s[40:41]
	v_add_co_ci_u32_e64 v23, null, s13, v23, vcc_lo
	s_waitcnt lgkmcnt(12)
	v_mul_f64 v[3:4], v[34:35], v[38:39]
	v_mul_f64 v[88:89], v[32:33], v[38:39]
	s_waitcnt lgkmcnt(11)
	v_mul_f64 v[90:91], v[34:35], v[42:43]
	v_mul_f64 v[92:93], v[32:33], v[42:43]
	;; [unrolled: 3-line block ×3, first 2 shown]
	v_mul_f64 v[96:97], v[46:47], v[42:43]
	v_mul_f64 v[42:43], v[44:45], v[42:43]
	s_waitcnt lgkmcnt(8)
	v_mul_f64 v[98:99], v[50:51], v[54:55]
	v_mul_f64 v[100:101], v[48:49], v[54:55]
	s_waitcnt lgkmcnt(7)
	;; [unrolled: 3-line block ×3, first 2 shown]
	v_mul_f64 v[106:107], v[62:63], v[54:55]
	v_mul_f64 v[54:55], v[60:61], v[54:55]
	;; [unrolled: 1-line block ×4, first 2 shown]
	s_waitcnt lgkmcnt(4)
	v_mul_f64 v[110:111], v[66:67], v[70:71]
	v_mul_f64 v[112:113], v[64:65], v[70:71]
	s_waitcnt lgkmcnt(3)
	v_mul_f64 v[114:115], v[66:67], v[74:75]
	v_mul_f64 v[116:117], v[64:65], v[74:75]
	s_waitcnt lgkmcnt(2)
	v_mul_f64 v[118:119], v[78:79], v[70:71]
	v_mul_f64 v[70:71], v[76:77], v[70:71]
	v_fma_f64 v[3:4], v[32:33], v[36:37], -v[3:4]
	v_fma_f64 v[88:89], v[34:35], v[36:37], v[88:89]
	v_fma_f64 v[90:91], v[32:33], v[40:41], -v[90:91]
	v_fma_f64 v[92:93], v[34:35], v[40:41], v[92:93]
	;; [unrolled: 2-line block ×4, first 2 shown]
	v_mul_f64 v[124:125], v[78:79], v[74:75]
	v_mul_f64 v[74:75], v[76:77], v[74:75]
	ds_read_b128 v[32:35], v30 offset:1536
	ds_read_b128 v[36:39], v30 offset:1792
	v_fma_f64 v[98:99], v[48:49], v[52:53], -v[98:99]
	v_fma_f64 v[100:101], v[50:51], v[52:53], v[100:101]
	v_fma_f64 v[102:103], v[48:49], v[56:57], -v[102:103]
	v_fma_f64 v[104:105], v[50:51], v[56:57], v[104:105]
	;; [unrolled: 2-line block ×7, first 2 shown]
	v_add_f64 v[18:19], v[18:19], v[3:4]
	v_add_f64 v[20:21], v[88:89], v[20:21]
	;; [unrolled: 1-line block ×4, first 2 shown]
	s_waitcnt lgkmcnt(1)
	v_mul_f64 v[110:111], v[82:83], v[34:35]
	v_mul_f64 v[112:113], v[80:81], v[34:35]
	s_waitcnt lgkmcnt(0)
	v_mul_f64 v[70:71], v[82:83], v[38:39]
	v_mul_f64 v[114:115], v[80:81], v[38:39]
	v_fma_f64 v[76:77], v[76:77], v[72:73], -v[124:125]
	v_fma_f64 v[72:73], v[78:79], v[72:73], v[74:75]
	v_add_f64 v[74:75], v[10:11], v[94:95]
	v_add_f64 v[11:12], v[120:121], v[12:13]
	;; [unrolled: 1-line block ×4, first 2 shown]
	ds_read_b128 v[40:43], v31 offset:64
	ds_read_b128 v[44:47], v30 offset:2048
	ds_read_b128 v[52:55], v31 offset:2112
	ds_read_b128 v[7:10], v31 offset:2128
	v_mul_f64 v[116:117], v[86:87], v[34:35]
	v_mul_f64 v[34:35], v[84:85], v[34:35]
	;; [unrolled: 1-line block ×4, first 2 shown]
	ds_read_b128 v[48:51], v30 offset:2304
	v_add_f64 v[98:99], v[18:19], v[98:99]
	v_add_f64 v[19:20], v[100:101], v[20:21]
	v_add_f64 v[100:101], v[14:15], v[102:103]
	v_add_f64 v[102:103], v[104:105], v[16:17]
	v_fma_f64 v[92:93], v[80:81], v[32:33], -v[110:111]
	v_fma_f64 v[94:95], v[82:83], v[32:33], v[112:113]
	v_fma_f64 v[70:71], v[80:81], v[36:37], -v[70:71]
	v_fma_f64 v[82:83], v[82:83], v[36:37], v[114:115]
	ds_read_b128 v[3:6], v31 offset:80
	ds_read_b128 v[15:18], v30 offset:2816
	v_add_f64 v[74:75], v[74:75], v[106:107]
	v_add_f64 v[104:105], v[126:127], v[11:12]
	s_waitcnt lgkmcnt(5)
	v_mul_f64 v[80:81], v[42:43], v[46:47]
	v_mul_f64 v[96:97], v[40:41], v[46:47]
	s_waitcnt lgkmcnt(4)
	v_mul_f64 v[114:115], v[54:55], v[46:47]
	v_mul_f64 v[46:47], v[52:53], v[46:47]
	v_add_f64 v[60:61], v[78:79], v[60:61]
	v_add_f64 v[56:57], v[56:57], v[88:89]
	v_fma_f64 v[78:79], v[84:85], v[32:33], -v[116:117]
	v_fma_f64 v[88:89], v[86:87], v[32:33], v[34:35]
	ds_read_b128 v[11:14], v30 offset:2560
	s_waitcnt lgkmcnt(3)
	v_mul_f64 v[110:111], v[42:43], v[50:51]
	v_mul_f64 v[112:113], v[40:41], v[50:51]
	v_fma_f64 v[84:85], v[84:85], v[36:37], -v[90:91]
	v_fma_f64 v[86:87], v[86:87], v[36:37], v[38:39]
	v_mul_f64 v[36:37], v[54:55], v[50:51]
	v_mul_f64 v[38:39], v[52:53], v[50:51]
	v_add_co_u32 v24, vcc_lo, 0x80, v24
	v_add_co_ci_u32_e64 v25, null, 0, v25, vcc_lo
	s_and_b32 vcc_lo, exec_lo, s16
	v_add_f64 v[68:69], v[68:69], v[104:105]
	v_fma_f64 v[80:81], v[40:41], v[44:45], -v[80:81]
	v_fma_f64 v[90:91], v[42:43], v[44:45], v[96:97]
	v_fma_f64 v[50:51], v[52:53], v[44:45], -v[114:115]
	v_fma_f64 v[44:45], v[54:55], v[44:45], v[46:47]
	v_add_f64 v[46:47], v[98:99], v[58:59]
	v_add_f64 v[58:59], v[62:63], v[19:20]
	;; [unrolled: 1-line block ×7, first 2 shown]
	v_fma_f64 v[96:97], v[40:41], v[48:49], -v[110:111]
	v_fma_f64 v[106:107], v[42:43], v[48:49], v[112:113]
	s_waitcnt lgkmcnt(0)
	v_mul_f64 v[72:73], v[5:6], v[13:14]
	v_mul_f64 v[74:75], v[3:4], v[13:14]
	;; [unrolled: 1-line block ×8, first 2 shown]
	v_fma_f64 v[52:53], v[52:53], v[48:49], -v[36:37]
	v_fma_f64 v[48:49], v[54:55], v[48:49], v[38:39]
	ds_read_b128 v[17:20], v31 offset:96
	ds_read_b128 v[32:35], v30 offset:3072
	;; [unrolled: 1-line block ×4, first 2 shown]
	v_add_f64 v[46:47], v[46:47], v[92:93]
	v_add_f64 v[54:55], v[94:95], v[58:59]
	;; [unrolled: 1-line block ×8, first 2 shown]
	v_fma_f64 v[68:69], v[3:4], v[11:12], -v[72:73]
	v_fma_f64 v[70:71], v[5:6], v[11:12], v[74:75]
	v_fma_f64 v[72:73], v[3:4], v[15:16], -v[76:77]
	v_fma_f64 v[74:75], v[5:6], v[15:16], v[98:99]
	;; [unrolled: 2-line block ×4, first 2 shown]
	s_waitcnt lgkmcnt(2)
	v_mul_f64 v[84:85], v[19:20], v[34:35]
	v_mul_f64 v[86:87], v[17:18], v[34:35]
	s_waitcnt lgkmcnt(1)
	v_mul_f64 v[88:89], v[19:20], v[38:39]
	v_mul_f64 v[92:93], v[17:18], v[38:39]
	;; [unrolled: 3-line block ×3, first 2 shown]
	v_add_f64 v[80:81], v[46:47], v[80:81]
	v_add_f64 v[54:55], v[90:91], v[54:55]
	;; [unrolled: 1-line block ×8, first 2 shown]
	v_mul_f64 v[56:57], v[42:43], v[38:39]
	v_mul_f64 v[38:39], v[40:41], v[38:39]
	ds_read_b128 v[3:6], v31 offset:112
	ds_read_b128 v[7:10], v31 offset:2160
	;; [unrolled: 1-line block ×4, first 2 shown]
	s_waitcnt lgkmcnt(0)
	s_barrier
	buffer_gl0_inv
	v_fma_f64 v[60:61], v[17:18], v[32:33], -v[84:85]
	v_fma_f64 v[66:67], v[19:20], v[32:33], v[86:87]
	v_fma_f64 v[17:18], v[17:18], v[36:37], -v[88:89]
	v_fma_f64 v[19:20], v[19:20], v[36:37], v[92:93]
	;; [unrolled: 2-line block ×3, first 2 shown]
	v_add_f64 v[34:35], v[80:81], v[68:69]
	v_add_f64 v[54:55], v[70:71], v[54:55]
	;; [unrolled: 1-line block ×8, first 2 shown]
	v_fma_f64 v[40:41], v[40:41], v[36:37], -v[56:57]
	v_fma_f64 v[36:37], v[42:43], v[36:37], v[38:39]
	v_mul_f64 v[38:39], v[5:6], v[13:14]
	v_mul_f64 v[42:43], v[3:4], v[13:14]
	;; [unrolled: 1-line block ×8, first 2 shown]
	v_add_f64 v[34:35], v[34:35], v[60:61]
	v_add_f64 v[54:55], v[66:67], v[54:55]
	;; [unrolled: 1-line block ×8, first 2 shown]
	v_fma_f64 v[15:16], v[3:4], v[11:12], -v[38:39]
	v_fma_f64 v[20:21], v[5:6], v[11:12], v[42:43]
	v_fma_f64 v[3:4], v[3:4], v[44:45], -v[48:49]
	v_fma_f64 v[5:6], v[5:6], v[44:45], v[56:57]
	;; [unrolled: 2-line block ×4, first 2 shown]
	v_add_f64 v[18:19], v[34:35], v[15:16]
	v_add_f64 v[20:21], v[20:21], v[54:55]
	;; [unrolled: 1-line block ×8, first 2 shown]
	s_cbranch_vccz .LBB272_12
.LBB272_3:                              ; =>This Inner Loop Header: Depth=1
	v_add_co_u32 v3, s16, v27, s14
	v_add_co_ci_u32_e64 v4, null, 0, s15, s16
	v_cmp_le_i64_e32 vcc_lo, s[40:41], v[3:4]
	s_or_b32 s16, s1, vcc_lo
	s_and_saveexec_b32 s17, s16
	s_xor_b32 s16, exec_lo, s17
	s_cbranch_execz .LBB272_5
; %bb.4:                                ;   in Loop: Header=BB272_3 Depth=1
	v_mov_b32_e32 v3, v2
	v_mov_b32_e32 v4, v2
	;; [unrolled: 1-line block ×3, first 2 shown]
	ds_write_b128 v28, v[2:5]
.LBB272_5:                              ;   in Loop: Header=BB272_3 Depth=1
	s_andn2_saveexec_b32 s16, s16
	s_cbranch_execz .LBB272_7
; %bb.6:                                ;   in Loop: Header=BB272_3 Depth=1
	flat_load_dwordx4 v[32:35], v[24:25]
	s_waitcnt vmcnt(0) lgkmcnt(0)
	ds_write2_b64 v28, v[32:33], v[34:35] offset1:1
.LBB272_7:                              ;   in Loop: Header=BB272_3 Depth=1
	s_or_b32 exec_lo, exec_lo, s16
	v_add_co_u32 v3, s16, v26, s14
	v_add_co_ci_u32_e64 v4, null, 0, s15, s16
	v_cmp_le_i64_e32 vcc_lo, s[40:41], v[3:4]
	s_or_b32 s16, vcc_lo, s0
	s_and_saveexec_b32 s17, s16
	s_xor_b32 s16, exec_lo, s17
	s_cbranch_execz .LBB272_9
; %bb.8:                                ;   in Loop: Header=BB272_3 Depth=1
	v_mov_b32_e32 v3, v2
	v_mov_b32_e32 v4, v2
	;; [unrolled: 1-line block ×3, first 2 shown]
	ds_write_b128 v29, v[2:5]
.LBB272_9:                              ;   in Loop: Header=BB272_3 Depth=1
	s_andn2_saveexec_b32 s16, s16
	s_cbranch_execz .LBB272_2
; %bb.10:                               ;   in Loop: Header=BB272_3 Depth=1
	flat_load_dwordx4 v[32:35], v[22:23]
	s_waitcnt vmcnt(0) lgkmcnt(0)
	ds_write2_b64 v29, v[32:33], v[34:35] offset1:1
	s_branch .LBB272_2
.LBB272_11:
	v_mov_b32_e32 v18, 0
	v_mov_b32_e32 v20, 0
	;; [unrolled: 1-line block ×16, first 2 shown]
.LBB272_12:
	v_cmp_neq_f64_e64 s12, s[18:19], 0
	v_cmp_neq_f64_e64 s13, s[20:21], 0
	s_lshl_b64 s[0:1], s[2:3], 4
	v_add_co_u32 v1, s2, s10, v1
	v_add_co_ci_u32_e64 v2, null, s11, 0, s2
	s_waitcnt lgkmcnt(0)
	s_add_u32 s3, s8, s0
	s_addc_u32 s8, s9, s1
	v_cmp_gt_i64_e64 s0, s[38:39], v[1:2]
	s_or_b32 s1, s12, s13
	s_and_b32 vcc_lo, exec_lo, s1
	s_mov_b32 s1, -1
	s_cbranch_vccnz .LBB272_24
; %bb.13:
	s_and_saveexec_b32 s9, s0
	s_cbranch_execz .LBB272_23
; %bb.14:
	v_mul_lo_u32 v5, v2, s30
	v_mul_lo_u32 v22, v1, s31
	v_mad_u64_u32 v[3:4], null, v1, s30, 0
	v_add3_u32 v4, v4, v22, v5
	v_add_co_u32 v22, s1, s6, v0
	v_add_co_ci_u32_e64 v23, null, s7, 0, s1
	v_lshlrev_b64 v[24:25], 4, v[3:4]
	v_cmp_gt_i64_e32 vcc_lo, s[36:37], v[22:23]
	v_lshlrev_b64 v[3:4], 4, v[22:23]
	v_add_co_u32 v5, s1, s3, v24
	v_add_co_ci_u32_e64 v24, null, s8, v25, s1
	s_and_saveexec_b32 s2, vcc_lo
	s_cbranch_execz .LBB272_16
; %bb.15:
	v_mul_f64 v[25:26], s[44:45], v[20:21]
	v_mul_f64 v[27:28], s[42:43], v[20:21]
	v_add_co_u32 v29, s1, v5, v3
	v_add_co_ci_u32_e64 v30, null, v24, v4, s1
	v_fma_f64 v[25:26], s[42:43], v[18:19], -v[25:26]
	v_fma_f64 v[27:28], s[44:45], v[18:19], v[27:28]
	flat_store_dwordx4 v[29:30], v[25:28]
.LBB272_16:
	s_or_b32 exec_lo, exec_lo, s2
	v_add_co_u32 v22, s1, v22, 16
	v_add_co_ci_u32_e64 v23, null, 0, v23, s1
	v_cmp_gt_i64_e64 s1, s[36:37], v[22:23]
	s_and_saveexec_b32 s10, s1
	s_cbranch_execz .LBB272_18
; %bb.17:
	v_mul_f64 v[22:23], s[44:45], v[16:17]
	v_mul_f64 v[27:28], s[42:43], v[16:17]
	v_fma_f64 v[25:26], s[42:43], v[14:15], -v[22:23]
	v_fma_f64 v[27:28], s[44:45], v[14:15], v[27:28]
	v_add_co_u32 v22, s2, v5, v3
	v_add_co_ci_u32_e64 v23, null, v24, v4, s2
	flat_store_dwordx4 v[22:23], v[25:28] offset:256
.LBB272_18:
	s_or_b32 exec_lo, exec_lo, s10
	v_add_co_u32 v22, s2, v1, 16
	v_add_co_ci_u32_e64 v23, null, 0, v2, s2
	v_cmp_gt_i64_e64 s2, s[38:39], v[22:23]
	s_and_b32 exec_lo, exec_lo, s2
	s_cbranch_execz .LBB272_23
; %bb.19:
	s_lshl_b64 s[10:11], s[30:31], 8
	v_add_co_u32 v5, s2, v5, s10
	v_add_co_ci_u32_e64 v22, null, s11, v24, s2
	v_add_co_u32 v3, s2, v5, v3
	v_add_co_ci_u32_e64 v4, null, v22, v4, s2
	s_and_saveexec_b32 s2, vcc_lo
	s_cbranch_execz .LBB272_21
; %bb.20:
	v_mul_f64 v[22:23], s[44:45], v[12:13]
	v_mul_f64 v[24:25], s[42:43], v[12:13]
	v_fma_f64 v[22:23], s[42:43], v[10:11], -v[22:23]
	v_fma_f64 v[24:25], s[44:45], v[10:11], v[24:25]
	flat_store_dwordx4 v[3:4], v[22:25]
.LBB272_21:
	s_or_b32 exec_lo, exec_lo, s2
	s_and_b32 exec_lo, exec_lo, s1
	s_cbranch_execz .LBB272_23
; %bb.22:
	v_mul_f64 v[22:23], s[44:45], v[8:9]
	v_mul_f64 v[24:25], s[42:43], v[8:9]
	v_fma_f64 v[22:23], s[42:43], v[6:7], -v[22:23]
	v_fma_f64 v[24:25], s[44:45], v[6:7], v[24:25]
	flat_store_dwordx4 v[3:4], v[22:25] offset:256
.LBB272_23:
	s_or_b32 exec_lo, exec_lo, s9
	s_mov_b32 s1, 0
.LBB272_24:
	s_andn2_b32 vcc_lo, exec_lo, s1
	s_cbranch_vccnz .LBB272_35
; %bb.25:
	s_and_saveexec_b32 s1, s0
	s_cbranch_execz .LBB272_35
; %bb.26:
	v_mul_lo_u32 v5, v2, s24
	v_mul_lo_u32 v22, v1, s25
	v_mad_u64_u32 v[3:4], null, v1, s24, 0
	v_mul_lo_u32 v26, v2, s30
	v_mul_lo_u32 v27, v1, s31
	v_mad_u64_u32 v[24:25], null, v1, s30, 0
	s_lshl_b64 s[0:1], s[26:27], 4
	v_add3_u32 v4, v4, v22, v5
	v_add_co_u32 v22, s2, s6, v0
	v_add_co_ci_u32_e64 v23, null, s7, 0, s2
	v_add3_u32 v25, v25, v27, v26
	v_lshlrev_b64 v[3:4], 4, v[3:4]
	s_add_u32 s0, s4, s0
	s_addc_u32 s1, s5, s1
	v_cmp_gt_i64_e32 vcc_lo, s[36:37], v[22:23]
	v_lshlrev_b64 v[24:25], 4, v[24:25]
	v_add_co_u32 v0, s0, s0, v3
	v_add_co_ci_u32_e64 v5, null, s1, v4, s0
	v_add_co_u32 v24, s0, s3, v24
	v_lshlrev_b64 v[3:4], 4, v[22:23]
	v_add_co_ci_u32_e64 v25, null, s8, v25, s0
	s_and_saveexec_b32 s1, vcc_lo
	s_cbranch_execz .LBB272_28
; %bb.27:
	v_add_co_u32 v26, s0, v0, v3
	v_add_co_ci_u32_e64 v27, null, v5, v4, s0
	v_mul_f64 v[30:31], s[44:45], v[20:21]
	v_mul_f64 v[20:21], s[42:43], v[20:21]
	flat_load_dwordx4 v[26:29], v[26:27]
	v_fma_f64 v[30:31], s[42:43], v[18:19], -v[30:31]
	v_fma_f64 v[20:21], s[44:45], v[18:19], v[20:21]
	s_waitcnt vmcnt(0) lgkmcnt(0)
	v_mul_f64 v[32:33], s[20:21], v[28:29]
	v_mul_f64 v[28:29], s[18:19], v[28:29]
	v_fma_f64 v[18:19], s[18:19], v[26:27], -v[32:33]
	v_fma_f64 v[26:27], s[20:21], v[26:27], v[28:29]
	v_add_f64 v[18:19], v[30:31], v[18:19]
	v_add_f64 v[20:21], v[20:21], v[26:27]
	v_add_co_u32 v26, s0, v24, v3
	v_add_co_ci_u32_e64 v27, null, v25, v4, s0
	flat_store_dwordx4 v[26:27], v[18:21]
.LBB272_28:
	s_or_b32 exec_lo, exec_lo, s1
	v_add_co_u32 v18, s0, v22, 16
	v_add_co_ci_u32_e64 v19, null, 0, v23, s0
	v_cmp_gt_i64_e64 s0, s[36:37], v[18:19]
	s_and_saveexec_b32 s2, s0
	s_cbranch_execz .LBB272_30
; %bb.29:
	v_add_co_u32 v18, s1, v0, v3
	v_add_co_ci_u32_e64 v19, null, v5, v4, s1
	v_mul_f64 v[22:23], s[44:45], v[16:17]
	v_mul_f64 v[16:17], s[42:43], v[16:17]
	flat_load_dwordx4 v[18:21], v[18:19] offset:256
	v_fma_f64 v[22:23], s[42:43], v[14:15], -v[22:23]
	v_fma_f64 v[16:17], s[44:45], v[14:15], v[16:17]
	s_waitcnt vmcnt(0) lgkmcnt(0)
	v_mul_f64 v[26:27], s[20:21], v[20:21]
	v_mul_f64 v[20:21], s[18:19], v[20:21]
	v_fma_f64 v[14:15], s[18:19], v[18:19], -v[26:27]
	v_fma_f64 v[18:19], s[20:21], v[18:19], v[20:21]
	v_add_f64 v[14:15], v[22:23], v[14:15]
	v_add_f64 v[16:17], v[16:17], v[18:19]
	v_add_co_u32 v18, s1, v24, v3
	v_add_co_ci_u32_e64 v19, null, v25, v4, s1
	flat_store_dwordx4 v[18:19], v[14:17] offset:256
.LBB272_30:
	s_or_b32 exec_lo, exec_lo, s2
	v_add_co_u32 v1, s1, v1, 16
	v_add_co_ci_u32_e64 v2, null, 0, v2, s1
	v_cmp_gt_i64_e64 s1, s[38:39], v[1:2]
	s_and_b32 exec_lo, exec_lo, s1
	s_cbranch_execz .LBB272_35
; %bb.31:
	s_lshl_b64 s[2:3], s[24:25], 8
	v_add_co_u32 v0, s1, v0, s2
	v_add_co_ci_u32_e64 v1, null, s3, v5, s1
	s_lshl_b64 s[2:3], s[30:31], 8
	v_add_co_u32 v2, s1, v24, s2
	v_add_co_ci_u32_e64 v5, null, s3, v25, s1
	v_add_co_u32 v14, s1, v0, v3
	v_add_co_ci_u32_e64 v15, null, v1, v4, s1
	;; [unrolled: 2-line block ×3, first 2 shown]
	s_and_saveexec_b32 s1, vcc_lo
	s_cbranch_execz .LBB272_33
; %bb.32:
	flat_load_dwordx4 v[2:5], v[14:15]
	v_mul_f64 v[16:17], s[44:45], v[12:13]
	v_mul_f64 v[12:13], s[42:43], v[12:13]
	v_fma_f64 v[16:17], s[42:43], v[10:11], -v[16:17]
	v_fma_f64 v[10:11], s[44:45], v[10:11], v[12:13]
	s_waitcnt vmcnt(0) lgkmcnt(0)
	v_mul_f64 v[18:19], s[20:21], v[4:5]
	v_mul_f64 v[4:5], s[18:19], v[4:5]
	v_fma_f64 v[12:13], s[18:19], v[2:3], -v[18:19]
	v_fma_f64 v[4:5], s[20:21], v[2:3], v[4:5]
	v_add_f64 v[2:3], v[16:17], v[12:13]
	v_add_f64 v[4:5], v[10:11], v[4:5]
	flat_store_dwordx4 v[0:1], v[2:5]
.LBB272_33:
	s_or_b32 exec_lo, exec_lo, s1
	s_and_b32 exec_lo, exec_lo, s0
	s_cbranch_execz .LBB272_35
; %bb.34:
	flat_load_dwordx4 v[2:5], v[14:15] offset:256
	v_mul_f64 v[10:11], s[44:45], v[8:9]
	v_mul_f64 v[8:9], s[42:43], v[8:9]
	v_fma_f64 v[10:11], s[42:43], v[6:7], -v[10:11]
	v_fma_f64 v[6:7], s[44:45], v[6:7], v[8:9]
	s_waitcnt vmcnt(0) lgkmcnt(0)
	v_mul_f64 v[12:13], s[20:21], v[4:5]
	v_mul_f64 v[4:5], s[18:19], v[4:5]
	v_fma_f64 v[8:9], s[18:19], v[2:3], -v[12:13]
	v_fma_f64 v[4:5], s[20:21], v[2:3], v[4:5]
	v_add_f64 v[2:3], v[10:11], v[8:9]
	v_add_f64 v[4:5], v[6:7], v[4:5]
	flat_store_dwordx4 v[0:1], v[2:5] offset:256
.LBB272_35:
	s_endpgm
	.section	.rodata,"a",@progbits
	.p2align	6, 0x0
	.amdhsa_kernel _ZN12_GLOBAL__N_135rocblas_gemm_batched_general_kernelI19rocblas_complex_numIdELi16ELi16ELi32ELi32ELi8ELi32ELi8ELi8ELi32ELc84ELc84EKPKS2_S5_KPS2_EEvlllT_PT11_llSA_llS8_PT12_llPT13_lli
		.amdhsa_group_segment_fixed_size 8192
		.amdhsa_private_segment_fixed_size 0
		.amdhsa_kernarg_size 156
		.amdhsa_user_sgpr_count 6
		.amdhsa_user_sgpr_private_segment_buffer 1
		.amdhsa_user_sgpr_dispatch_ptr 0
		.amdhsa_user_sgpr_queue_ptr 0
		.amdhsa_user_sgpr_kernarg_segment_ptr 1
		.amdhsa_user_sgpr_dispatch_id 0
		.amdhsa_user_sgpr_flat_scratch_init 0
		.amdhsa_user_sgpr_private_segment_size 0
		.amdhsa_wavefront_size32 1
		.amdhsa_uses_dynamic_stack 0
		.amdhsa_system_sgpr_private_segment_wavefront_offset 0
		.amdhsa_system_sgpr_workgroup_id_x 1
		.amdhsa_system_sgpr_workgroup_id_y 1
		.amdhsa_system_sgpr_workgroup_id_z 1
		.amdhsa_system_sgpr_workgroup_info 0
		.amdhsa_system_vgpr_workitem_id 1
		.amdhsa_next_free_vgpr 128
		.amdhsa_next_free_sgpr 52
		.amdhsa_reserve_vcc 1
		.amdhsa_reserve_flat_scratch 0
		.amdhsa_float_round_mode_32 0
		.amdhsa_float_round_mode_16_64 0
		.amdhsa_float_denorm_mode_32 3
		.amdhsa_float_denorm_mode_16_64 3
		.amdhsa_dx10_clamp 1
		.amdhsa_ieee_mode 1
		.amdhsa_fp16_overflow 0
		.amdhsa_workgroup_processor_mode 1
		.amdhsa_memory_ordered 1
		.amdhsa_forward_progress 1
		.amdhsa_shared_vgpr_count 0
		.amdhsa_exception_fp_ieee_invalid_op 0
		.amdhsa_exception_fp_denorm_src 0
		.amdhsa_exception_fp_ieee_div_zero 0
		.amdhsa_exception_fp_ieee_overflow 0
		.amdhsa_exception_fp_ieee_underflow 0
		.amdhsa_exception_fp_ieee_inexact 0
		.amdhsa_exception_int_div_zero 0
	.end_amdhsa_kernel
	.section	.text._ZN12_GLOBAL__N_135rocblas_gemm_batched_general_kernelI19rocblas_complex_numIdELi16ELi16ELi32ELi32ELi8ELi32ELi8ELi8ELi32ELc84ELc84EKPKS2_S5_KPS2_EEvlllT_PT11_llSA_llS8_PT12_llPT13_lli,"axG",@progbits,_ZN12_GLOBAL__N_135rocblas_gemm_batched_general_kernelI19rocblas_complex_numIdELi16ELi16ELi32ELi32ELi8ELi32ELi8ELi8ELi32ELc84ELc84EKPKS2_S5_KPS2_EEvlllT_PT11_llSA_llS8_PT12_llPT13_lli,comdat
.Lfunc_end272:
	.size	_ZN12_GLOBAL__N_135rocblas_gemm_batched_general_kernelI19rocblas_complex_numIdELi16ELi16ELi32ELi32ELi8ELi32ELi8ELi8ELi32ELc84ELc84EKPKS2_S5_KPS2_EEvlllT_PT11_llSA_llS8_PT12_llPT13_lli, .Lfunc_end272-_ZN12_GLOBAL__N_135rocblas_gemm_batched_general_kernelI19rocblas_complex_numIdELi16ELi16ELi32ELi32ELi8ELi32ELi8ELi8ELi32ELc84ELc84EKPKS2_S5_KPS2_EEvlllT_PT11_llSA_llS8_PT12_llPT13_lli
                                        ; -- End function
	.set _ZN12_GLOBAL__N_135rocblas_gemm_batched_general_kernelI19rocblas_complex_numIdELi16ELi16ELi32ELi32ELi8ELi32ELi8ELi8ELi32ELc84ELc84EKPKS2_S5_KPS2_EEvlllT_PT11_llSA_llS8_PT12_llPT13_lli.num_vgpr, 128
	.set _ZN12_GLOBAL__N_135rocblas_gemm_batched_general_kernelI19rocblas_complex_numIdELi16ELi16ELi32ELi32ELi8ELi32ELi8ELi8ELi32ELc84ELc84EKPKS2_S5_KPS2_EEvlllT_PT11_llSA_llS8_PT12_llPT13_lli.num_agpr, 0
	.set _ZN12_GLOBAL__N_135rocblas_gemm_batched_general_kernelI19rocblas_complex_numIdELi16ELi16ELi32ELi32ELi8ELi32ELi8ELi8ELi32ELc84ELc84EKPKS2_S5_KPS2_EEvlllT_PT11_llSA_llS8_PT12_llPT13_lli.numbered_sgpr, 52
	.set _ZN12_GLOBAL__N_135rocblas_gemm_batched_general_kernelI19rocblas_complex_numIdELi16ELi16ELi32ELi32ELi8ELi32ELi8ELi8ELi32ELc84ELc84EKPKS2_S5_KPS2_EEvlllT_PT11_llSA_llS8_PT12_llPT13_lli.num_named_barrier, 0
	.set _ZN12_GLOBAL__N_135rocblas_gemm_batched_general_kernelI19rocblas_complex_numIdELi16ELi16ELi32ELi32ELi8ELi32ELi8ELi8ELi32ELc84ELc84EKPKS2_S5_KPS2_EEvlllT_PT11_llSA_llS8_PT12_llPT13_lli.private_seg_size, 0
	.set _ZN12_GLOBAL__N_135rocblas_gemm_batched_general_kernelI19rocblas_complex_numIdELi16ELi16ELi32ELi32ELi8ELi32ELi8ELi8ELi32ELc84ELc84EKPKS2_S5_KPS2_EEvlllT_PT11_llSA_llS8_PT12_llPT13_lli.uses_vcc, 1
	.set _ZN12_GLOBAL__N_135rocblas_gemm_batched_general_kernelI19rocblas_complex_numIdELi16ELi16ELi32ELi32ELi8ELi32ELi8ELi8ELi32ELc84ELc84EKPKS2_S5_KPS2_EEvlllT_PT11_llSA_llS8_PT12_llPT13_lli.uses_flat_scratch, 0
	.set _ZN12_GLOBAL__N_135rocblas_gemm_batched_general_kernelI19rocblas_complex_numIdELi16ELi16ELi32ELi32ELi8ELi32ELi8ELi8ELi32ELc84ELc84EKPKS2_S5_KPS2_EEvlllT_PT11_llSA_llS8_PT12_llPT13_lli.has_dyn_sized_stack, 0
	.set _ZN12_GLOBAL__N_135rocblas_gemm_batched_general_kernelI19rocblas_complex_numIdELi16ELi16ELi32ELi32ELi8ELi32ELi8ELi8ELi32ELc84ELc84EKPKS2_S5_KPS2_EEvlllT_PT11_llSA_llS8_PT12_llPT13_lli.has_recursion, 0
	.set _ZN12_GLOBAL__N_135rocblas_gemm_batched_general_kernelI19rocblas_complex_numIdELi16ELi16ELi32ELi32ELi8ELi32ELi8ELi8ELi32ELc84ELc84EKPKS2_S5_KPS2_EEvlllT_PT11_llSA_llS8_PT12_llPT13_lli.has_indirect_call, 0
	.section	.AMDGPU.csdata,"",@progbits
; Kernel info:
; codeLenInByte = 4064
; TotalNumSgprs: 54
; NumVgprs: 128
; ScratchSize: 0
; MemoryBound: 0
; FloatMode: 240
; IeeeMode: 1
; LDSByteSize: 8192 bytes/workgroup (compile time only)
; SGPRBlocks: 0
; VGPRBlocks: 15
; NumSGPRsForWavesPerEU: 54
; NumVGPRsForWavesPerEU: 128
; Occupancy: 8
; WaveLimiterHint : 1
; COMPUTE_PGM_RSRC2:SCRATCH_EN: 0
; COMPUTE_PGM_RSRC2:USER_SGPR: 6
; COMPUTE_PGM_RSRC2:TRAP_HANDLER: 0
; COMPUTE_PGM_RSRC2:TGID_X_EN: 1
; COMPUTE_PGM_RSRC2:TGID_Y_EN: 1
; COMPUTE_PGM_RSRC2:TGID_Z_EN: 1
; COMPUTE_PGM_RSRC2:TIDIG_COMP_CNT: 1
	.section	.text._ZN12_GLOBAL__N_135rocblas_gemm_batched_general_kernelI19rocblas_complex_numIdELi16ELi16ELi32ELi32ELi8ELi32ELi8ELi8ELi32ELc67ELc67EKPKS2_S5_KPS2_EEvlllT_PT11_llSA_llS8_PT12_llPT13_lli,"axG",@progbits,_ZN12_GLOBAL__N_135rocblas_gemm_batched_general_kernelI19rocblas_complex_numIdELi16ELi16ELi32ELi32ELi8ELi32ELi8ELi8ELi32ELc67ELc67EKPKS2_S5_KPS2_EEvlllT_PT11_llSA_llS8_PT12_llPT13_lli,comdat
	.globl	_ZN12_GLOBAL__N_135rocblas_gemm_batched_general_kernelI19rocblas_complex_numIdELi16ELi16ELi32ELi32ELi8ELi32ELi8ELi8ELi32ELc67ELc67EKPKS2_S5_KPS2_EEvlllT_PT11_llSA_llS8_PT12_llPT13_lli ; -- Begin function _ZN12_GLOBAL__N_135rocblas_gemm_batched_general_kernelI19rocblas_complex_numIdELi16ELi16ELi32ELi32ELi8ELi32ELi8ELi8ELi32ELc67ELc67EKPKS2_S5_KPS2_EEvlllT_PT11_llSA_llS8_PT12_llPT13_lli
	.p2align	8
	.type	_ZN12_GLOBAL__N_135rocblas_gemm_batched_general_kernelI19rocblas_complex_numIdELi16ELi16ELi32ELi32ELi8ELi32ELi8ELi8ELi32ELc67ELc67EKPKS2_S5_KPS2_EEvlllT_PT11_llSA_llS8_PT12_llPT13_lli,@function
_ZN12_GLOBAL__N_135rocblas_gemm_batched_general_kernelI19rocblas_complex_numIdELi16ELi16ELi32ELi32ELi8ELi32ELi8ELi8ELi32ELc67ELc67EKPKS2_S5_KPS2_EEvlllT_PT11_llSA_llS8_PT12_llPT13_lli: ; @_ZN12_GLOBAL__N_135rocblas_gemm_batched_general_kernelI19rocblas_complex_numIdELi16ELi16ELi32ELi32ELi8ELi32ELi8ELi8ELi32ELc67ELc67EKPKS2_S5_KPS2_EEvlllT_PT11_llSA_llS8_PT12_llPT13_lli
; %bb.0:
	s_clause 0x2
	s_load_dwordx16 s[12:27], s[4:5], 0x40
	s_load_dwordx4 s[28:31], s[4:5], 0x80
	s_load_dwordx16 s[36:51], s[4:5], 0x0
	s_mov_b32 s9, 0
	s_load_dwordx2 s[2:3], s[4:5], 0x90
	s_lshl_b64 s[0:1], s[8:9], 3
	s_mov_b32 s34, s7
	s_waitcnt lgkmcnt(0)
	s_add_u32 s4, s22, s0
	s_addc_u32 s5, s23, s1
	s_add_u32 s8, s28, s0
	s_addc_u32 s9, s29, s1
	s_load_dwordx2 s[4:5], s[4:5], 0x0
	s_load_dwordx2 s[8:9], s[8:9], 0x0
	v_cmp_lt_i64_e64 s10, s[40:41], 1
	s_ashr_i32 s7, s6, 31
	s_ashr_i32 s35, s34, 31
	s_lshl_b64 s[6:7], s[6:7], 5
	s_and_b32 vcc_lo, exec_lo, s10
	s_lshl_b64 s[10:11], s[34:35], 5
	s_cbranch_vccnz .LBB273_7
; %bb.1:
	v_lshl_add_u32 v2, v1, 4, v0
	v_and_b32_e32 v30, 7, v0
	s_add_u32 s12, s12, s0
	s_addc_u32 s13, s13, s1
	v_mov_b32_e32 v3, s7
	v_and_b32_e32 v8, 31, v2
	v_mad_u64_u32 v[4:5], null, s14, v30, 0
	v_lshrrev_b32_e32 v9, 3, v2
	v_lshrrev_b32_e32 v31, 5, v2
	v_or_b32_e32 v2, s6, v8
	s_add_u32 s0, s46, s0
	s_addc_u32 s1, s47, s1
	s_load_dwordx2 s[12:13], s[12:13], 0x0
	s_load_dwordx2 s[22:23], s[0:1], 0x0
	v_add_co_u32 v6, s0, v9, s10
	v_add_co_ci_u32_e64 v7, null, 0, s11, s0
	v_cmp_gt_i64_e64 s0, s[36:37], v[2:3]
	v_mov_b32_e32 v2, v5
	v_lshlrev_b32_e32 v5, 4, v30
	v_cmp_gt_i64_e64 s1, s[38:39], v[6:7]
	v_add_co_u32 v6, s28, s6, v8
	v_mad_u64_u32 v[2:3], null, s15, v30, v[2:3]
	v_lshl_or_b32 v3, v9, 7, v5
	v_add_co_ci_u32_e64 v7, null, s7, 0, s28
	v_lshlrev_b32_e32 v10, 4, v8
	v_mul_lo_u32 v8, s49, v6
	v_add_nc_u32_e32 v33, 0x1000, v3
	v_mov_b32_e32 v5, v2
	v_mul_lo_u32 v7, s48, v7
	v_mad_u64_u32 v[2:3], null, s48, v6, 0
	s_lshl_b64 s[28:29], s[34:35], 9
	v_lshlrev_b64 v[4:5], 4, v[4:5]
	s_lshl_b64 s[16:17], s[16:17], 4
	v_lshlrev_b32_e32 v6, 4, v9
	s_add_u32 s16, s16, s28
	s_addc_u32 s17, s17, s29
	v_add3_u32 v3, v3, v7, v8
	v_add_co_u32 v4, vcc_lo, s16, v4
	v_add_co_ci_u32_e64 v5, null, s17, v5, vcc_lo
	v_lshlrev_b64 v[2:3], 4, v[2:3]
	v_add_co_u32 v4, vcc_lo, v4, v6
	s_lshl_b64 s[16:17], s[50:51], 4
	v_add_co_ci_u32_e64 v5, null, 0, v5, vcc_lo
	v_add_co_u32 v2, vcc_lo, v2, s16
	v_lshlrev_b32_e32 v6, 4, v31
	v_add_co_ci_u32_e64 v3, null, s17, v3, vcc_lo
	s_waitcnt lgkmcnt(0)
	v_add_co_u32 v26, vcc_lo, s12, v4
	v_add_co_ci_u32_e64 v27, null, s13, v5, vcc_lo
	v_add_co_u32 v2, vcc_lo, v2, v6
	v_add_co_ci_u32_e64 v3, null, 0, v3, vcc_lo
	v_lshl_or_b32 v32, v31, 9, v10
	v_add_co_u32 v28, vcc_lo, s22, v2
	v_mov_b32_e32 v12, 0
	v_mov_b32_e32 v10, 0
	;; [unrolled: 1-line block ×8, first 2 shown]
	v_lshlrev_b32_e32 v34, 4, v0
	v_lshl_add_u32 v35, v1, 7, 0x1000
	v_mov_b32_e32 v13, 0
	v_mov_b32_e32 v11, 0
	;; [unrolled: 1-line block ×8, first 2 shown]
	v_add_co_ci_u32_e64 v29, null, s23, v3, vcc_lo
	s_lshl_b64 s[12:13], s[14:15], 7
	s_mov_b64 s[14:15], 0
	s_branch .LBB273_3
.LBB273_2:                              ;   in Loop: Header=BB273_3 Depth=1
	s_or_b32 exec_lo, exec_lo, s16
	ds_write_b128 v33, v[6:9]
	s_waitcnt lgkmcnt(0)
	s_barrier
	buffer_gl0_inv
	ds_read_b128 v[2:5], v35
	ds_read_b128 v[6:9], v34
	ds_read_b128 v[36:39], v34 offset:256
	ds_read_b128 v[40:43], v35 offset:2048
	;; [unrolled: 1-line block ×12, first 2 shown]
	s_add_u32 s14, s14, 8
	s_addc_u32 s15, s15, 0
	v_add_co_u32 v26, vcc_lo, v26, s12
	v_cmp_lt_i64_e64 s16, s[14:15], s[40:41]
	v_add_co_ci_u32_e64 v27, null, s13, v27, vcc_lo
	s_waitcnt lgkmcnt(12)
	v_mul_f64 v[84:85], v[4:5], v[8:9]
	v_mul_f64 v[86:87], v[2:3], v[8:9]
	s_waitcnt lgkmcnt(11)
	v_mul_f64 v[88:89], v[4:5], v[38:39]
	v_mul_f64 v[90:91], v[2:3], v[38:39]
	;; [unrolled: 3-line block ×3, first 2 shown]
	v_mul_f64 v[94:95], v[42:43], v[38:39]
	v_mul_f64 v[38:39], v[40:41], v[38:39]
	s_waitcnt lgkmcnt(8)
	v_mul_f64 v[96:97], v[46:47], v[50:51]
	v_mul_f64 v[98:99], v[44:45], v[50:51]
	s_waitcnt lgkmcnt(7)
	v_mul_f64 v[100:101], v[46:47], v[54:55]
	v_mul_f64 v[102:103], v[44:45], v[54:55]
	s_waitcnt lgkmcnt(6)
	v_mul_f64 v[104:105], v[58:59], v[50:51]
	v_mul_f64 v[50:51], v[56:57], v[50:51]
	;; [unrolled: 1-line block ×4, first 2 shown]
	s_waitcnt lgkmcnt(4)
	v_mul_f64 v[108:109], v[62:63], v[66:67]
	v_mul_f64 v[110:111], v[60:61], v[66:67]
	s_waitcnt lgkmcnt(3)
	v_mul_f64 v[112:113], v[62:63], v[70:71]
	v_mul_f64 v[114:115], v[60:61], v[70:71]
	s_waitcnt lgkmcnt(2)
	v_mul_f64 v[116:117], v[74:75], v[66:67]
	v_mul_f64 v[66:67], v[72:73], v[66:67]
	v_fma_f64 v[84:85], v[2:3], v[6:7], -v[84:85]
	v_fma_f64 v[86:87], v[4:5], v[6:7], v[86:87]
	v_fma_f64 v[88:89], v[2:3], v[36:37], -v[88:89]
	v_fma_f64 v[90:91], v[4:5], v[36:37], v[90:91]
	;; [unrolled: 2-line block ×4, first 2 shown]
	v_mul_f64 v[122:123], v[74:75], v[70:71]
	v_mul_f64 v[70:71], v[72:73], v[70:71]
	ds_read_b128 v[2:5], v34 offset:1536
	ds_read_b128 v[6:9], v34 offset:1792
	v_fma_f64 v[96:97], v[44:45], v[48:49], -v[96:97]
	v_fma_f64 v[98:99], v[46:47], v[48:49], v[98:99]
	v_fma_f64 v[100:101], v[44:45], v[52:53], -v[100:101]
	v_fma_f64 v[102:103], v[46:47], v[52:53], v[102:103]
	;; [unrolled: 2-line block ×7, first 2 shown]
	v_add_f64 v[22:23], v[22:23], v[84:85]
	v_add_f64 v[24:25], v[86:87], v[24:25]
	;; [unrolled: 1-line block ×4, first 2 shown]
	s_waitcnt lgkmcnt(1)
	v_mul_f64 v[108:109], v[78:79], v[4:5]
	v_mul_f64 v[110:111], v[76:77], v[4:5]
	s_waitcnt lgkmcnt(0)
	v_mul_f64 v[66:67], v[78:79], v[8:9]
	v_mul_f64 v[112:113], v[76:77], v[8:9]
	v_fma_f64 v[72:73], v[72:73], v[68:69], -v[122:123]
	v_mul_f64 v[114:115], v[82:83], v[4:5]
	v_mul_f64 v[4:5], v[80:81], v[4:5]
	v_fma_f64 v[68:69], v[74:75], v[68:69], v[70:71]
	v_add_f64 v[70:71], v[14:15], v[92:93]
	v_add_f64 v[16:17], v[118:119], v[16:17]
	;; [unrolled: 1-line block ×4, first 2 shown]
	ds_read_b128 v[36:39], v35 offset:64
	ds_read_b128 v[40:43], v34 offset:2048
	;; [unrolled: 1-line block ×5, first 2 shown]
	v_mul_f64 v[86:87], v[82:83], v[8:9]
	v_mul_f64 v[92:93], v[80:81], v[8:9]
	v_add_f64 v[22:23], v[22:23], v[96:97]
	v_add_f64 v[24:25], v[98:99], v[24:25]
	v_add_f64 v[96:97], v[18:19], v[100:101]
	v_add_f64 v[20:21], v[102:103], v[20:21]
	v_fma_f64 v[88:89], v[76:77], v[2:3], -v[108:109]
	v_fma_f64 v[90:91], v[78:79], v[2:3], v[110:111]
	v_fma_f64 v[66:67], v[76:77], v[6:7], -v[66:67]
	v_fma_f64 v[78:79], v[78:79], v[6:7], v[112:113]
	ds_read_b128 v[8:11], v35 offset:80
	v_add_co_u32 v28, vcc_lo, 0x80, v28
	v_add_co_ci_u32_e64 v29, null, 0, v29, vcc_lo
	v_add_f64 v[70:71], v[70:71], v[104:105]
	s_waitcnt lgkmcnt(4)
	v_mul_f64 v[76:77], v[38:39], v[42:43]
	v_mul_f64 v[94:95], v[36:37], v[42:43]
	s_waitcnt lgkmcnt(2)
	v_mul_f64 v[112:113], v[50:51], v[42:43]
	v_mul_f64 v[42:43], v[48:49], v[42:43]
	v_add_f64 v[98:99], v[124:125], v[16:17]
	v_add_f64 v[56:57], v[74:75], v[56:57]
	;; [unrolled: 1-line block ×3, first 2 shown]
	v_fma_f64 v[74:75], v[80:81], v[2:3], -v[114:115]
	v_fma_f64 v[84:85], v[82:83], v[2:3], v[4:5]
	ds_read_b128 v[2:5], v34 offset:2560
	v_mul_f64 v[108:109], v[38:39], v[46:47]
	v_mul_f64 v[110:111], v[36:37], v[46:47]
	v_fma_f64 v[80:81], v[80:81], v[6:7], -v[86:87]
	v_fma_f64 v[82:83], v[82:83], v[6:7], v[92:93]
	ds_read_b128 v[16:19], v34 offset:2816
	s_and_b32 vcc_lo, exec_lo, s16
	v_fma_f64 v[76:77], v[36:37], v[40:41], -v[76:77]
	v_fma_f64 v[86:87], v[38:39], v[40:41], v[94:95]
	v_add_f64 v[64:65], v[64:65], v[98:99]
	v_add_f64 v[56:57], v[56:57], v[72:73]
	;; [unrolled: 1-line block ×3, first 2 shown]
	s_waitcnt lgkmcnt(1)
	v_mul_f64 v[68:69], v[10:11], v[4:5]
	v_mul_f64 v[98:99], v[14:15], v[4:5]
	v_mul_f64 v[100:101], v[12:13], v[4:5]
	v_fma_f64 v[92:93], v[36:37], v[44:45], -v[108:109]
	v_fma_f64 v[94:95], v[38:39], v[44:45], v[110:111]
	v_mul_f64 v[36:37], v[50:51], v[46:47]
	v_mul_f64 v[38:39], v[48:49], v[46:47]
	v_fma_f64 v[46:47], v[48:49], v[40:41], -v[112:113]
	v_fma_f64 v[40:41], v[50:51], v[40:41], v[42:43]
	v_add_f64 v[42:43], v[22:23], v[54:55]
	v_add_f64 v[54:55], v[58:59], v[24:25]
	;; [unrolled: 1-line block ×5, first 2 shown]
	v_mul_f64 v[70:71], v[8:9], v[4:5]
	s_waitcnt lgkmcnt(0)
	v_mul_f64 v[72:73], v[10:11], v[18:19]
	v_mul_f64 v[96:97], v[8:9], v[18:19]
	v_mul_f64 v[102:103], v[14:15], v[18:19]
	v_mul_f64 v[104:105], v[12:13], v[18:19]
	ds_read_b128 v[4:7], v35 offset:96
	ds_read_b128 v[18:21], v34 offset:3072
	v_add_f64 v[56:57], v[56:57], v[80:81]
	v_add_f64 v[52:53], v[82:83], v[52:53]
	v_fma_f64 v[48:49], v[48:49], v[44:45], -v[36:37]
	v_fma_f64 v[44:45], v[50:51], v[44:45], v[38:39]
	ds_read_b128 v[22:25], v34 offset:3328
	ds_read_b128 v[36:39], v35 offset:2144
	v_add_f64 v[42:43], v[42:43], v[88:89]
	v_add_f64 v[50:51], v[90:91], v[54:55]
	;; [unrolled: 1-line block ×6, first 2 shown]
	v_fma_f64 v[64:65], v[8:9], v[2:3], -v[68:69]
	v_fma_f64 v[66:67], v[10:11], v[2:3], v[70:71]
	v_fma_f64 v[68:69], v[8:9], v[16:17], -v[72:73]
	v_fma_f64 v[70:71], v[10:11], v[16:17], v[96:97]
	v_fma_f64 v[72:73], v[12:13], v[2:3], -v[98:99]
	v_fma_f64 v[2:3], v[14:15], v[2:3], v[100:101]
	v_fma_f64 v[74:75], v[12:13], v[16:17], -v[102:103]
	s_waitcnt lgkmcnt(2)
	v_mul_f64 v[78:79], v[6:7], v[20:21]
	v_fma_f64 v[16:17], v[14:15], v[16:17], v[104:105]
	v_mul_f64 v[80:81], v[4:5], v[20:21]
	ds_read_b128 v[8:11], v35 offset:112
	ds_read_b128 v[12:15], v35 offset:2160
	s_waitcnt lgkmcnt(3)
	v_mul_f64 v[82:83], v[6:7], v[24:25]
	v_mul_f64 v[84:85], v[4:5], v[24:25]
	s_waitcnt lgkmcnt(2)
	v_mul_f64 v[88:89], v[38:39], v[20:21]
	v_mul_f64 v[20:21], v[36:37], v[20:21]
	v_add_f64 v[76:77], v[42:43], v[76:77]
	v_add_f64 v[50:51], v[86:87], v[50:51]
	;; [unrolled: 1-line block ×8, first 2 shown]
	v_mul_f64 v[56:57], v[38:39], v[24:25]
	v_mul_f64 v[24:25], v[36:37], v[24:25]
	ds_read_b128 v[40:43], v34 offset:3584
	ds_read_b128 v[44:47], v34 offset:3840
	s_waitcnt lgkmcnt(0)
	s_barrier
	v_fma_f64 v[78:79], v[4:5], v[18:19], -v[78:79]
	buffer_gl0_inv
	v_fma_f64 v[80:81], v[6:7], v[18:19], v[80:81]
	v_fma_f64 v[4:5], v[4:5], v[22:23], -v[82:83]
	v_fma_f64 v[6:7], v[6:7], v[22:23], v[84:85]
	v_fma_f64 v[82:83], v[36:37], v[18:19], -v[88:89]
	v_fma_f64 v[18:19], v[38:39], v[18:19], v[20:21]
	v_add_f64 v[20:21], v[76:77], v[64:65]
	v_add_f64 v[50:51], v[66:67], v[50:51]
	;; [unrolled: 1-line block ×8, first 2 shown]
	v_fma_f64 v[36:37], v[36:37], v[22:23], -v[56:57]
	v_fma_f64 v[22:23], v[38:39], v[22:23], v[24:25]
	v_mul_f64 v[24:25], v[10:11], v[42:43]
	v_mul_f64 v[38:39], v[8:9], v[42:43]
	;; [unrolled: 1-line block ×8, first 2 shown]
	v_add_f64 v[20:21], v[20:21], v[78:79]
	v_add_f64 v[50:51], v[80:81], v[50:51]
	;; [unrolled: 1-line block ×8, first 2 shown]
	v_fma_f64 v[16:17], v[8:9], v[40:41], -v[24:25]
	v_fma_f64 v[18:19], v[10:11], v[40:41], v[38:39]
	v_fma_f64 v[8:9], v[8:9], v[44:45], -v[52:53]
	v_fma_f64 v[10:11], v[10:11], v[44:45], v[56:57]
	;; [unrolled: 2-line block ×4, first 2 shown]
	v_add_f64 v[22:23], v[20:21], v[16:17]
	v_add_f64 v[24:25], v[18:19], v[50:51]
	;; [unrolled: 1-line block ×8, first 2 shown]
	s_cbranch_vccz .LBB273_8
.LBB273_3:                              ; =>This Inner Loop Header: Depth=1
	v_add_co_u32 v2, s16, v31, s14
	v_add_co_ci_u32_e64 v3, null, 0, s15, s16
	v_mov_b32_e32 v4, 0
	v_mov_b32_e32 v5, 0
	v_cmp_gt_i64_e32 vcc_lo, s[40:41], v[2:3]
	v_mov_b32_e32 v2, 0
	v_mov_b32_e32 v3, 0
	s_and_b32 s17, s0, vcc_lo
	s_and_saveexec_b32 s16, s17
	s_cbranch_execz .LBB273_5
; %bb.4:                                ;   in Loop: Header=BB273_3 Depth=1
	flat_load_dwordx4 v[2:5], v[28:29]
	s_waitcnt vmcnt(0) lgkmcnt(0)
	v_xor_b32_e32 v5, 0x80000000, v5
.LBB273_5:                              ;   in Loop: Header=BB273_3 Depth=1
	s_or_b32 exec_lo, exec_lo, s16
	v_add_co_u32 v6, s16, v30, s14
	v_add_co_ci_u32_e64 v7, null, 0, s15, s16
	v_mov_b32_e32 v8, 0
	v_mov_b32_e32 v9, 0
	ds_write_b128 v32, v[2:5]
	v_cmp_gt_i64_e32 vcc_lo, s[40:41], v[6:7]
	v_mov_b32_e32 v6, 0
	v_mov_b32_e32 v7, 0
	s_and_b32 s17, vcc_lo, s1
	s_and_saveexec_b32 s16, s17
	s_cbranch_execz .LBB273_2
; %bb.6:                                ;   in Loop: Header=BB273_3 Depth=1
	flat_load_dwordx4 v[6:9], v[26:27]
	s_waitcnt vmcnt(0) lgkmcnt(0)
	v_xor_b32_e32 v9, 0x80000000, v9
	s_branch .LBB273_2
.LBB273_7:
	v_mov_b32_e32 v22, 0
	v_mov_b32_e32 v24, 0
	;; [unrolled: 1-line block ×16, first 2 shown]
.LBB273_8:
	v_cmp_neq_f64_e64 s12, s[18:19], 0
	v_cmp_neq_f64_e64 s13, s[20:21], 0
	s_lshl_b64 s[0:1], s[2:3], 4
	v_add_co_u32 v1, s2, s10, v1
	v_add_co_ci_u32_e64 v2, null, s11, 0, s2
	s_waitcnt lgkmcnt(0)
	s_add_u32 s3, s8, s0
	s_addc_u32 s8, s9, s1
	v_cmp_gt_i64_e64 s0, s[38:39], v[1:2]
	s_or_b32 s1, s12, s13
	s_and_b32 vcc_lo, exec_lo, s1
	s_mov_b32 s1, -1
	s_cbranch_vccnz .LBB273_20
; %bb.9:
	s_and_saveexec_b32 s9, s0
	s_cbranch_execz .LBB273_19
; %bb.10:
	v_mul_lo_u32 v5, v2, s30
	v_mul_lo_u32 v6, v1, s31
	v_mad_u64_u32 v[3:4], null, v1, s30, 0
	v_add3_u32 v4, v4, v6, v5
	v_add_co_u32 v5, s1, s6, v0
	v_add_co_ci_u32_e64 v6, null, s7, 0, s1
	v_lshlrev_b64 v[7:8], 4, v[3:4]
	v_cmp_gt_i64_e32 vcc_lo, s[36:37], v[5:6]
	v_lshlrev_b64 v[3:4], 4, v[5:6]
	v_add_co_u32 v7, s1, s3, v7
	v_add_co_ci_u32_e64 v8, null, s8, v8, s1
	s_and_saveexec_b32 s2, vcc_lo
	s_cbranch_execz .LBB273_12
; %bb.11:
	v_mul_f64 v[26:27], s[44:45], v[24:25]
	v_mul_f64 v[28:29], s[42:43], v[24:25]
	v_add_co_u32 v30, s1, v7, v3
	v_add_co_ci_u32_e64 v31, null, v8, v4, s1
	v_fma_f64 v[26:27], s[42:43], v[22:23], -v[26:27]
	v_fma_f64 v[28:29], s[44:45], v[22:23], v[28:29]
	flat_store_dwordx4 v[30:31], v[26:29]
.LBB273_12:
	s_or_b32 exec_lo, exec_lo, s2
	v_add_co_u32 v5, s1, v5, 16
	v_add_co_ci_u32_e64 v6, null, 0, v6, s1
	v_cmp_gt_i64_e64 s1, s[36:37], v[5:6]
	s_and_saveexec_b32 s10, s1
	s_cbranch_execz .LBB273_14
; %bb.13:
	v_mul_f64 v[5:6], s[44:45], v[20:21]
	v_mul_f64 v[28:29], s[42:43], v[20:21]
	v_fma_f64 v[26:27], s[42:43], v[18:19], -v[5:6]
	v_fma_f64 v[28:29], s[44:45], v[18:19], v[28:29]
	v_add_co_u32 v5, s2, v7, v3
	v_add_co_ci_u32_e64 v6, null, v8, v4, s2
	flat_store_dwordx4 v[5:6], v[26:29] offset:256
.LBB273_14:
	s_or_b32 exec_lo, exec_lo, s10
	v_add_co_u32 v5, s2, v1, 16
	v_add_co_ci_u32_e64 v6, null, 0, v2, s2
	v_cmp_gt_i64_e64 s2, s[38:39], v[5:6]
	s_and_b32 exec_lo, exec_lo, s2
	s_cbranch_execz .LBB273_19
; %bb.15:
	s_lshl_b64 s[10:11], s[30:31], 8
	v_add_co_u32 v5, s2, v7, s10
	v_add_co_ci_u32_e64 v6, null, s11, v8, s2
	v_add_co_u32 v3, s2, v5, v3
	v_add_co_ci_u32_e64 v4, null, v6, v4, s2
	s_and_saveexec_b32 s2, vcc_lo
	s_cbranch_execz .LBB273_17
; %bb.16:
	v_mul_f64 v[5:6], s[44:45], v[16:17]
	v_mul_f64 v[7:8], s[42:43], v[16:17]
	v_fma_f64 v[5:6], s[42:43], v[14:15], -v[5:6]
	v_fma_f64 v[7:8], s[44:45], v[14:15], v[7:8]
	flat_store_dwordx4 v[3:4], v[5:8]
.LBB273_17:
	s_or_b32 exec_lo, exec_lo, s2
	s_and_b32 exec_lo, exec_lo, s1
	s_cbranch_execz .LBB273_19
; %bb.18:
	v_mul_f64 v[5:6], s[44:45], v[12:13]
	v_mul_f64 v[7:8], s[42:43], v[12:13]
	v_fma_f64 v[5:6], s[42:43], v[10:11], -v[5:6]
	v_fma_f64 v[7:8], s[44:45], v[10:11], v[7:8]
	flat_store_dwordx4 v[3:4], v[5:8] offset:256
.LBB273_19:
	s_or_b32 exec_lo, exec_lo, s9
	s_mov_b32 s1, 0
.LBB273_20:
	s_andn2_b32 vcc_lo, exec_lo, s1
	s_cbranch_vccnz .LBB273_31
; %bb.21:
	s_and_saveexec_b32 s1, s0
	s_cbranch_execz .LBB273_31
; %bb.22:
	v_mul_lo_u32 v5, v2, s24
	v_mul_lo_u32 v6, v1, s25
	v_mad_u64_u32 v[3:4], null, v1, s24, 0
	v_mul_lo_u32 v9, v2, s30
	v_mul_lo_u32 v26, v1, s31
	v_mad_u64_u32 v[7:8], null, v1, s30, 0
	s_lshl_b64 s[0:1], s[26:27], 4
	v_add3_u32 v4, v4, v6, v5
	v_add_co_u32 v5, s2, s6, v0
	v_add_co_ci_u32_e64 v6, null, s7, 0, s2
	v_add3_u32 v8, v8, v26, v9
	v_lshlrev_b64 v[3:4], 4, v[3:4]
	s_add_u32 s0, s4, s0
	s_addc_u32 s1, s5, s1
	v_cmp_gt_i64_e32 vcc_lo, s[36:37], v[5:6]
	v_lshlrev_b64 v[8:9], 4, v[7:8]
	v_add_co_u32 v0, s0, s0, v3
	v_add_co_ci_u32_e64 v7, null, s1, v4, s0
	v_add_co_u32 v8, s0, s3, v8
	v_lshlrev_b64 v[3:4], 4, v[5:6]
	v_add_co_ci_u32_e64 v9, null, s8, v9, s0
	s_and_saveexec_b32 s1, vcc_lo
	s_cbranch_execz .LBB273_24
; %bb.23:
	v_add_co_u32 v26, s0, v0, v3
	v_add_co_ci_u32_e64 v27, null, v7, v4, s0
	v_mul_f64 v[30:31], s[44:45], v[24:25]
	v_mul_f64 v[24:25], s[42:43], v[24:25]
	flat_load_dwordx4 v[26:29], v[26:27]
	v_fma_f64 v[30:31], s[42:43], v[22:23], -v[30:31]
	v_fma_f64 v[24:25], s[44:45], v[22:23], v[24:25]
	s_waitcnt vmcnt(0) lgkmcnt(0)
	v_mul_f64 v[32:33], s[20:21], v[28:29]
	v_mul_f64 v[28:29], s[18:19], v[28:29]
	v_fma_f64 v[22:23], s[18:19], v[26:27], -v[32:33]
	v_fma_f64 v[26:27], s[20:21], v[26:27], v[28:29]
	v_add_f64 v[22:23], v[30:31], v[22:23]
	v_add_f64 v[24:25], v[24:25], v[26:27]
	v_add_co_u32 v26, s0, v8, v3
	v_add_co_ci_u32_e64 v27, null, v9, v4, s0
	flat_store_dwordx4 v[26:27], v[22:25]
.LBB273_24:
	s_or_b32 exec_lo, exec_lo, s1
	v_add_co_u32 v5, s0, v5, 16
	v_add_co_ci_u32_e64 v6, null, 0, v6, s0
	v_cmp_gt_i64_e64 s0, s[36:37], v[5:6]
	s_and_saveexec_b32 s2, s0
	s_cbranch_execz .LBB273_26
; %bb.25:
	v_add_co_u32 v5, s1, v0, v3
	v_add_co_ci_u32_e64 v6, null, v7, v4, s1
	flat_load_dwordx4 v[22:25], v[5:6] offset:256
	v_mul_f64 v[5:6], s[44:45], v[20:21]
	v_mul_f64 v[20:21], s[42:43], v[20:21]
	v_fma_f64 v[5:6], s[42:43], v[18:19], -v[5:6]
	v_fma_f64 v[20:21], s[44:45], v[18:19], v[20:21]
	s_waitcnt vmcnt(0) lgkmcnt(0)
	v_mul_f64 v[26:27], s[20:21], v[24:25]
	v_mul_f64 v[24:25], s[18:19], v[24:25]
	v_fma_f64 v[18:19], s[18:19], v[22:23], -v[26:27]
	v_fma_f64 v[22:23], s[20:21], v[22:23], v[24:25]
	v_add_f64 v[18:19], v[5:6], v[18:19]
	v_add_f64 v[20:21], v[20:21], v[22:23]
	v_add_co_u32 v5, s1, v8, v3
	v_add_co_ci_u32_e64 v6, null, v9, v4, s1
	flat_store_dwordx4 v[5:6], v[18:21] offset:256
.LBB273_26:
	s_or_b32 exec_lo, exec_lo, s2
	v_add_co_u32 v1, s1, v1, 16
	v_add_co_ci_u32_e64 v2, null, 0, v2, s1
	v_cmp_gt_i64_e64 s1, s[38:39], v[1:2]
	s_and_b32 exec_lo, exec_lo, s1
	s_cbranch_execz .LBB273_31
; %bb.27:
	s_lshl_b64 s[2:3], s[24:25], 8
	v_add_co_u32 v0, s1, v0, s2
	v_add_co_ci_u32_e64 v1, null, s3, v7, s1
	s_lshl_b64 s[2:3], s[30:31], 8
	v_add_co_u32 v2, s1, v8, s2
	v_add_co_ci_u32_e64 v7, null, s3, v9, s1
	v_add_co_u32 v5, s1, v0, v3
	v_add_co_ci_u32_e64 v6, null, v1, v4, s1
	;; [unrolled: 2-line block ×3, first 2 shown]
	s_and_saveexec_b32 s1, vcc_lo
	s_cbranch_execz .LBB273_29
; %bb.28:
	flat_load_dwordx4 v[18:21], v[5:6]
	v_mul_f64 v[2:3], s[44:45], v[16:17]
	v_mul_f64 v[7:8], s[42:43], v[16:17]
	v_fma_f64 v[2:3], s[42:43], v[14:15], -v[2:3]
	v_fma_f64 v[7:8], s[44:45], v[14:15], v[7:8]
	s_waitcnt vmcnt(0) lgkmcnt(0)
	v_mul_f64 v[16:17], s[20:21], v[20:21]
	v_mul_f64 v[20:21], s[18:19], v[20:21]
	v_fma_f64 v[14:15], s[18:19], v[18:19], -v[16:17]
	v_fma_f64 v[16:17], s[20:21], v[18:19], v[20:21]
	v_add_f64 v[14:15], v[2:3], v[14:15]
	v_add_f64 v[16:17], v[7:8], v[16:17]
	flat_store_dwordx4 v[0:1], v[14:17]
.LBB273_29:
	s_or_b32 exec_lo, exec_lo, s1
	s_and_b32 exec_lo, exec_lo, s0
	s_cbranch_execz .LBB273_31
; %bb.30:
	flat_load_dwordx4 v[2:5], v[5:6] offset:256
	v_mul_f64 v[6:7], s[44:45], v[12:13]
	v_mul_f64 v[8:9], s[42:43], v[12:13]
	v_fma_f64 v[6:7], s[42:43], v[10:11], -v[6:7]
	v_fma_f64 v[8:9], s[44:45], v[10:11], v[8:9]
	s_waitcnt vmcnt(0) lgkmcnt(0)
	v_mul_f64 v[12:13], s[20:21], v[4:5]
	v_mul_f64 v[4:5], s[18:19], v[4:5]
	v_fma_f64 v[10:11], s[18:19], v[2:3], -v[12:13]
	v_fma_f64 v[4:5], s[20:21], v[2:3], v[4:5]
	v_add_f64 v[2:3], v[6:7], v[10:11]
	v_add_f64 v[4:5], v[8:9], v[4:5]
	flat_store_dwordx4 v[0:1], v[2:5] offset:256
.LBB273_31:
	s_endpgm
	.section	.rodata,"a",@progbits
	.p2align	6, 0x0
	.amdhsa_kernel _ZN12_GLOBAL__N_135rocblas_gemm_batched_general_kernelI19rocblas_complex_numIdELi16ELi16ELi32ELi32ELi8ELi32ELi8ELi8ELi32ELc67ELc67EKPKS2_S5_KPS2_EEvlllT_PT11_llSA_llS8_PT12_llPT13_lli
		.amdhsa_group_segment_fixed_size 8192
		.amdhsa_private_segment_fixed_size 0
		.amdhsa_kernarg_size 156
		.amdhsa_user_sgpr_count 6
		.amdhsa_user_sgpr_private_segment_buffer 1
		.amdhsa_user_sgpr_dispatch_ptr 0
		.amdhsa_user_sgpr_queue_ptr 0
		.amdhsa_user_sgpr_kernarg_segment_ptr 1
		.amdhsa_user_sgpr_dispatch_id 0
		.amdhsa_user_sgpr_flat_scratch_init 0
		.amdhsa_user_sgpr_private_segment_size 0
		.amdhsa_wavefront_size32 1
		.amdhsa_uses_dynamic_stack 0
		.amdhsa_system_sgpr_private_segment_wavefront_offset 0
		.amdhsa_system_sgpr_workgroup_id_x 1
		.amdhsa_system_sgpr_workgroup_id_y 1
		.amdhsa_system_sgpr_workgroup_id_z 1
		.amdhsa_system_sgpr_workgroup_info 0
		.amdhsa_system_vgpr_workitem_id 1
		.amdhsa_next_free_vgpr 126
		.amdhsa_next_free_sgpr 52
		.amdhsa_reserve_vcc 1
		.amdhsa_reserve_flat_scratch 0
		.amdhsa_float_round_mode_32 0
		.amdhsa_float_round_mode_16_64 0
		.amdhsa_float_denorm_mode_32 3
		.amdhsa_float_denorm_mode_16_64 3
		.amdhsa_dx10_clamp 1
		.amdhsa_ieee_mode 1
		.amdhsa_fp16_overflow 0
		.amdhsa_workgroup_processor_mode 1
		.amdhsa_memory_ordered 1
		.amdhsa_forward_progress 1
		.amdhsa_shared_vgpr_count 0
		.amdhsa_exception_fp_ieee_invalid_op 0
		.amdhsa_exception_fp_denorm_src 0
		.amdhsa_exception_fp_ieee_div_zero 0
		.amdhsa_exception_fp_ieee_overflow 0
		.amdhsa_exception_fp_ieee_underflow 0
		.amdhsa_exception_fp_ieee_inexact 0
		.amdhsa_exception_int_div_zero 0
	.end_amdhsa_kernel
	.section	.text._ZN12_GLOBAL__N_135rocblas_gemm_batched_general_kernelI19rocblas_complex_numIdELi16ELi16ELi32ELi32ELi8ELi32ELi8ELi8ELi32ELc67ELc67EKPKS2_S5_KPS2_EEvlllT_PT11_llSA_llS8_PT12_llPT13_lli,"axG",@progbits,_ZN12_GLOBAL__N_135rocblas_gemm_batched_general_kernelI19rocblas_complex_numIdELi16ELi16ELi32ELi32ELi8ELi32ELi8ELi8ELi32ELc67ELc67EKPKS2_S5_KPS2_EEvlllT_PT11_llSA_llS8_PT12_llPT13_lli,comdat
.Lfunc_end273:
	.size	_ZN12_GLOBAL__N_135rocblas_gemm_batched_general_kernelI19rocblas_complex_numIdELi16ELi16ELi32ELi32ELi8ELi32ELi8ELi8ELi32ELc67ELc67EKPKS2_S5_KPS2_EEvlllT_PT11_llSA_llS8_PT12_llPT13_lli, .Lfunc_end273-_ZN12_GLOBAL__N_135rocblas_gemm_batched_general_kernelI19rocblas_complex_numIdELi16ELi16ELi32ELi32ELi8ELi32ELi8ELi8ELi32ELc67ELc67EKPKS2_S5_KPS2_EEvlllT_PT11_llSA_llS8_PT12_llPT13_lli
                                        ; -- End function
	.set _ZN12_GLOBAL__N_135rocblas_gemm_batched_general_kernelI19rocblas_complex_numIdELi16ELi16ELi32ELi32ELi8ELi32ELi8ELi8ELi32ELc67ELc67EKPKS2_S5_KPS2_EEvlllT_PT11_llSA_llS8_PT12_llPT13_lli.num_vgpr, 126
	.set _ZN12_GLOBAL__N_135rocblas_gemm_batched_general_kernelI19rocblas_complex_numIdELi16ELi16ELi32ELi32ELi8ELi32ELi8ELi8ELi32ELc67ELc67EKPKS2_S5_KPS2_EEvlllT_PT11_llSA_llS8_PT12_llPT13_lli.num_agpr, 0
	.set _ZN12_GLOBAL__N_135rocblas_gemm_batched_general_kernelI19rocblas_complex_numIdELi16ELi16ELi32ELi32ELi8ELi32ELi8ELi8ELi32ELc67ELc67EKPKS2_S5_KPS2_EEvlllT_PT11_llSA_llS8_PT12_llPT13_lli.numbered_sgpr, 52
	.set _ZN12_GLOBAL__N_135rocblas_gemm_batched_general_kernelI19rocblas_complex_numIdELi16ELi16ELi32ELi32ELi8ELi32ELi8ELi8ELi32ELc67ELc67EKPKS2_S5_KPS2_EEvlllT_PT11_llSA_llS8_PT12_llPT13_lli.num_named_barrier, 0
	.set _ZN12_GLOBAL__N_135rocblas_gemm_batched_general_kernelI19rocblas_complex_numIdELi16ELi16ELi32ELi32ELi8ELi32ELi8ELi8ELi32ELc67ELc67EKPKS2_S5_KPS2_EEvlllT_PT11_llSA_llS8_PT12_llPT13_lli.private_seg_size, 0
	.set _ZN12_GLOBAL__N_135rocblas_gemm_batched_general_kernelI19rocblas_complex_numIdELi16ELi16ELi32ELi32ELi8ELi32ELi8ELi8ELi32ELc67ELc67EKPKS2_S5_KPS2_EEvlllT_PT11_llSA_llS8_PT12_llPT13_lli.uses_vcc, 1
	.set _ZN12_GLOBAL__N_135rocblas_gemm_batched_general_kernelI19rocblas_complex_numIdELi16ELi16ELi32ELi32ELi8ELi32ELi8ELi8ELi32ELc67ELc67EKPKS2_S5_KPS2_EEvlllT_PT11_llSA_llS8_PT12_llPT13_lli.uses_flat_scratch, 0
	.set _ZN12_GLOBAL__N_135rocblas_gemm_batched_general_kernelI19rocblas_complex_numIdELi16ELi16ELi32ELi32ELi8ELi32ELi8ELi8ELi32ELc67ELc67EKPKS2_S5_KPS2_EEvlllT_PT11_llSA_llS8_PT12_llPT13_lli.has_dyn_sized_stack, 0
	.set _ZN12_GLOBAL__N_135rocblas_gemm_batched_general_kernelI19rocblas_complex_numIdELi16ELi16ELi32ELi32ELi8ELi32ELi8ELi8ELi32ELc67ELc67EKPKS2_S5_KPS2_EEvlllT_PT11_llSA_llS8_PT12_llPT13_lli.has_recursion, 0
	.set _ZN12_GLOBAL__N_135rocblas_gemm_batched_general_kernelI19rocblas_complex_numIdELi16ELi16ELi32ELi32ELi8ELi32ELi8ELi8ELi32ELc67ELc67EKPKS2_S5_KPS2_EEvlllT_PT11_llSA_llS8_PT12_llPT13_lli.has_indirect_call, 0
	.section	.AMDGPU.csdata,"",@progbits
; Kernel info:
; codeLenInByte = 4044
; TotalNumSgprs: 54
; NumVgprs: 126
; ScratchSize: 0
; MemoryBound: 1
; FloatMode: 240
; IeeeMode: 1
; LDSByteSize: 8192 bytes/workgroup (compile time only)
; SGPRBlocks: 0
; VGPRBlocks: 15
; NumSGPRsForWavesPerEU: 54
; NumVGPRsForWavesPerEU: 126
; Occupancy: 8
; WaveLimiterHint : 1
; COMPUTE_PGM_RSRC2:SCRATCH_EN: 0
; COMPUTE_PGM_RSRC2:USER_SGPR: 6
; COMPUTE_PGM_RSRC2:TRAP_HANDLER: 0
; COMPUTE_PGM_RSRC2:TGID_X_EN: 1
; COMPUTE_PGM_RSRC2:TGID_Y_EN: 1
; COMPUTE_PGM_RSRC2:TGID_Z_EN: 1
; COMPUTE_PGM_RSRC2:TIDIG_COMP_CNT: 1
	.section	.text._ZN12_GLOBAL__N_135rocblas_gemm_batched_general_kernelI19rocblas_complex_numIdELi16ELi16ELi32ELi32ELi8ELi32ELi8ELi8ELi32ELc67ELc78EKPKS2_S5_KPS2_EEvlllT_PT11_llSA_llS8_PT12_llPT13_lli,"axG",@progbits,_ZN12_GLOBAL__N_135rocblas_gemm_batched_general_kernelI19rocblas_complex_numIdELi16ELi16ELi32ELi32ELi8ELi32ELi8ELi8ELi32ELc67ELc78EKPKS2_S5_KPS2_EEvlllT_PT11_llSA_llS8_PT12_llPT13_lli,comdat
	.globl	_ZN12_GLOBAL__N_135rocblas_gemm_batched_general_kernelI19rocblas_complex_numIdELi16ELi16ELi32ELi32ELi8ELi32ELi8ELi8ELi32ELc67ELc78EKPKS2_S5_KPS2_EEvlllT_PT11_llSA_llS8_PT12_llPT13_lli ; -- Begin function _ZN12_GLOBAL__N_135rocblas_gemm_batched_general_kernelI19rocblas_complex_numIdELi16ELi16ELi32ELi32ELi8ELi32ELi8ELi8ELi32ELc67ELc78EKPKS2_S5_KPS2_EEvlllT_PT11_llSA_llS8_PT12_llPT13_lli
	.p2align	8
	.type	_ZN12_GLOBAL__N_135rocblas_gemm_batched_general_kernelI19rocblas_complex_numIdELi16ELi16ELi32ELi32ELi8ELi32ELi8ELi8ELi32ELc67ELc78EKPKS2_S5_KPS2_EEvlllT_PT11_llSA_llS8_PT12_llPT13_lli,@function
_ZN12_GLOBAL__N_135rocblas_gemm_batched_general_kernelI19rocblas_complex_numIdELi16ELi16ELi32ELi32ELi8ELi32ELi8ELi8ELi32ELc67ELc78EKPKS2_S5_KPS2_EEvlllT_PT11_llSA_llS8_PT12_llPT13_lli: ; @_ZN12_GLOBAL__N_135rocblas_gemm_batched_general_kernelI19rocblas_complex_numIdELi16ELi16ELi32ELi32ELi8ELi32ELi8ELi8ELi32ELc67ELc78EKPKS2_S5_KPS2_EEvlllT_PT11_llSA_llS8_PT12_llPT13_lli
; %bb.0:
	s_clause 0x2
	s_load_dwordx16 s[12:27], s[4:5], 0x40
	s_load_dwordx4 s[28:31], s[4:5], 0x80
	s_load_dwordx16 s[36:51], s[4:5], 0x0
	s_mov_b32 s9, 0
	s_load_dwordx2 s[2:3], s[4:5], 0x90
	s_lshl_b64 s[0:1], s[8:9], 3
	s_mov_b32 s10, s7
	v_mov_b32_e32 v2, 0
	s_waitcnt lgkmcnt(0)
	s_add_u32 s4, s22, s0
	s_addc_u32 s5, s23, s1
	s_add_u32 s8, s28, s0
	s_addc_u32 s9, s29, s1
	s_load_dwordx2 s[4:5], s[4:5], 0x0
	s_load_dwordx2 s[8:9], s[8:9], 0x0
	v_cmp_lt_i64_e64 s22, s[40:41], 1
	s_ashr_i32 s7, s6, 31
	s_ashr_i32 s11, s10, 31
	s_lshl_b64 s[6:7], s[6:7], 5
	s_lshl_b64 s[10:11], s[10:11], 5
	s_and_b32 vcc_lo, exec_lo, s22
	s_cbranch_vccnz .LBB274_9
; %bb.1:
	v_lshl_add_u32 v3, v1, 4, v0
	v_mov_b32_e32 v4, s7
	s_add_u32 s12, s12, s0
	s_addc_u32 s13, s13, s1
	v_and_b32_e32 v27, 7, v0
	v_lshrrev_b32_e32 v8, 3, v3
	v_and_b32_e32 v7, 31, v3
	v_lshrrev_b32_e32 v28, 5, v3
	s_add_u32 s0, s46, s0
	s_addc_u32 s1, s47, s1
	v_add_co_u32 v5, s22, v8, s10
	v_or_b32_e32 v3, s6, v7
	v_add_co_ci_u32_e64 v6, null, 0, s11, s22
	s_load_dwordx2 s[12:13], s[12:13], 0x0
	s_load_dwordx2 s[22:23], s[0:1], 0x0
	v_mul_lo_u32 v9, s15, v5
	v_cmp_gt_i64_e64 s0, s[36:37], v[3:4]
	v_mul_lo_u32 v10, s14, v6
	v_mad_u64_u32 v[3:4], null, s14, v5, 0
	v_add_co_u32 v12, s1, s6, v7
	v_lshlrev_b32_e32 v11, 4, v27
	v_add_co_ci_u32_e64 v13, null, s7, 0, s1
	v_lshlrev_b32_e32 v14, 4, v7
	v_add3_u32 v4, v4, v10, v9
	v_lshl_or_b32 v15, v8, 7, v11
	v_mul_lo_u32 v9, s49, v12
	v_mul_lo_u32 v10, s48, v13
	v_mad_u64_u32 v[7:8], null, s48, v12, 0
	v_lshlrev_b64 v[3:4], 4, v[3:4]
	s_lshl_b64 s[14:15], s[16:17], 4
	v_cmp_gt_i64_e32 vcc_lo, s[38:39], v[5:6]
	v_lshl_or_b32 v29, v28, 9, v14
	v_add_nc_u32_e32 v30, 0x1000, v15
	v_mov_b32_e32 v13, 0
	v_add3_u32 v8, v8, v10, v9
	v_add_co_u32 v5, s1, v3, s14
	v_add_co_ci_u32_e64 v6, null, s15, v4, s1
	v_lshlrev_b64 v[3:4], 4, v[7:8]
	v_add_co_u32 v5, s1, v5, v11
	s_lshl_b64 s[14:15], s[50:51], 4
	v_add_co_ci_u32_e64 v6, null, 0, v6, s1
	v_add_co_u32 v3, s1, v3, s14
	v_lshlrev_b32_e32 v7, 4, v28
	v_add_co_ci_u32_e64 v4, null, s15, v4, s1
	s_waitcnt lgkmcnt(0)
	v_add_co_u32 v23, s1, s12, v5
	v_add_co_ci_u32_e64 v24, null, s13, v6, s1
	v_add_co_u32 v3, s1, v3, v7
	v_add_co_ci_u32_e64 v4, null, 0, v4, s1
	v_mov_b32_e32 v9, 0
	v_add_co_u32 v25, s1, s22, v3
	v_mov_b32_e32 v7, 0
	v_mov_b32_e32 v11, 0
	;; [unrolled: 1-line block ×6, first 2 shown]
	v_lshlrev_b32_e32 v31, 4, v0
	v_lshl_add_u32 v32, v1, 7, 0x1000
	v_mov_b32_e32 v10, 0
	v_mov_b32_e32 v8, 0
	;; [unrolled: 1-line block ×8, first 2 shown]
	v_add_co_ci_u32_e64 v26, null, s23, v4, s1
	s_mov_b64 s[12:13], 0
	s_xor_b32 s1, vcc_lo, -1
	s_branch .LBB274_3
.LBB274_2:                              ;   in Loop: Header=BB274_3 Depth=1
	s_or_b32 exec_lo, exec_lo, s14
	s_waitcnt lgkmcnt(0)
	s_barrier
	buffer_gl0_inv
	ds_read_b128 v[3:6], v32
	ds_read_b128 v[33:36], v31
	ds_read_b128 v[37:40], v31 offset:256
	ds_read_b128 v[41:44], v32 offset:2048
	ds_read_b128 v[45:48], v32 offset:16
	ds_read_b128 v[49:52], v31 offset:512
	ds_read_b128 v[53:56], v31 offset:768
	ds_read_b128 v[57:60], v32 offset:2064
	ds_read_b128 v[61:64], v32 offset:32
	ds_read_b128 v[65:68], v31 offset:1024
	ds_read_b128 v[69:72], v31 offset:1280
	ds_read_b128 v[73:76], v32 offset:2080
	ds_read_b128 v[77:80], v32 offset:48
	ds_read_b128 v[81:84], v32 offset:2096
	s_add_u32 s12, s12, 8
	s_addc_u32 s13, s13, 0
	v_add_co_u32 v23, vcc_lo, 0x80, v23
	v_cmp_lt_i64_e64 s14, s[12:13], s[40:41]
	v_add_co_ci_u32_e64 v24, null, 0, v24, vcc_lo
	s_waitcnt lgkmcnt(12)
	v_mul_f64 v[85:86], v[5:6], v[35:36]
	v_mul_f64 v[87:88], v[3:4], v[35:36]
	s_waitcnt lgkmcnt(11)
	v_mul_f64 v[89:90], v[5:6], v[39:40]
	v_mul_f64 v[91:92], v[3:4], v[39:40]
	;; [unrolled: 3-line block ×3, first 2 shown]
	v_mul_f64 v[95:96], v[43:44], v[39:40]
	v_mul_f64 v[39:40], v[41:42], v[39:40]
	s_waitcnt lgkmcnt(8)
	v_mul_f64 v[97:98], v[47:48], v[51:52]
	v_mul_f64 v[99:100], v[45:46], v[51:52]
	s_waitcnt lgkmcnt(7)
	;; [unrolled: 3-line block ×3, first 2 shown]
	v_mul_f64 v[105:106], v[59:60], v[51:52]
	v_mul_f64 v[51:52], v[57:58], v[51:52]
	;; [unrolled: 1-line block ×4, first 2 shown]
	s_waitcnt lgkmcnt(4)
	v_mul_f64 v[109:110], v[63:64], v[67:68]
	v_mul_f64 v[111:112], v[61:62], v[67:68]
	s_waitcnt lgkmcnt(3)
	v_mul_f64 v[113:114], v[63:64], v[71:72]
	v_mul_f64 v[115:116], v[61:62], v[71:72]
	s_waitcnt lgkmcnt(2)
	v_mul_f64 v[117:118], v[75:76], v[67:68]
	v_mul_f64 v[67:68], v[73:74], v[67:68]
	v_fma_f64 v[85:86], v[3:4], v[33:34], -v[85:86]
	v_fma_f64 v[87:88], v[5:6], v[33:34], v[87:88]
	v_fma_f64 v[89:90], v[3:4], v[37:38], -v[89:90]
	v_fma_f64 v[91:92], v[5:6], v[37:38], v[91:92]
	;; [unrolled: 2-line block ×4, first 2 shown]
	v_mul_f64 v[123:124], v[75:76], v[71:72]
	v_mul_f64 v[71:72], v[73:74], v[71:72]
	ds_read_b128 v[3:6], v31 offset:1536
	ds_read_b128 v[33:36], v31 offset:1792
	v_fma_f64 v[97:98], v[45:46], v[49:50], -v[97:98]
	v_fma_f64 v[99:100], v[47:48], v[49:50], v[99:100]
	v_fma_f64 v[101:102], v[45:46], v[53:54], -v[101:102]
	v_fma_f64 v[103:104], v[47:48], v[53:54], v[103:104]
	;; [unrolled: 2-line block ×7, first 2 shown]
	v_add_f64 v[19:20], v[19:20], v[85:86]
	v_add_f64 v[21:22], v[87:88], v[21:22]
	;; [unrolled: 1-line block ×4, first 2 shown]
	s_waitcnt lgkmcnt(1)
	v_mul_f64 v[109:110], v[79:80], v[5:6]
	s_waitcnt lgkmcnt(0)
	v_mul_f64 v[67:68], v[79:80], v[35:36]
	v_fma_f64 v[73:74], v[73:74], v[69:70], -v[123:124]
	v_fma_f64 v[69:70], v[75:76], v[69:70], v[71:72]
	v_add_f64 v[71:72], v[11:12], v[93:94]
	v_add_f64 v[13:14], v[119:120], v[13:14]
	;; [unrolled: 1-line block ×4, first 2 shown]
	ds_read_b128 v[37:40], v32 offset:64
	ds_read_b128 v[41:44], v31 offset:2048
	;; [unrolled: 1-line block ×3, first 2 shown]
	v_mul_f64 v[111:112], v[77:78], v[5:6]
	v_mul_f64 v[113:114], v[77:78], v[35:36]
	;; [unrolled: 1-line block ×6, first 2 shown]
	ds_read_b128 v[49:52], v32 offset:2112
	ds_read_b128 v[9:12], v32 offset:2128
	v_add_f64 v[97:98], v[19:20], v[97:98]
	v_add_f64 v[21:22], v[99:100], v[21:22]
	;; [unrolled: 1-line block ×4, first 2 shown]
	v_fma_f64 v[89:90], v[77:78], v[3:4], -v[109:110]
	v_fma_f64 v[67:68], v[77:78], v[33:34], -v[67:68]
	ds_read_b128 v[5:8], v32 offset:80
	ds_read_b128 v[17:20], v31 offset:2816
	v_add_f64 v[71:72], v[71:72], v[105:106]
	v_add_f64 v[103:104], v[125:126], v[13:14]
	s_waitcnt lgkmcnt(5)
	v_mul_f64 v[77:78], v[39:40], v[43:44]
	v_mul_f64 v[93:94], v[37:38], v[43:44]
	v_add_f64 v[57:58], v[75:76], v[57:58]
	v_add_f64 v[53:54], v[53:54], v[85:86]
	ds_read_b128 v[13:16], v31 offset:2560
	s_waitcnt lgkmcnt(5)
	v_mul_f64 v[95:96], v[39:40], v[47:48]
	v_mul_f64 v[109:110], v[37:38], v[47:48]
	v_fma_f64 v[91:92], v[79:80], v[3:4], v[111:112]
	v_fma_f64 v[79:80], v[79:80], v[33:34], v[113:114]
	s_waitcnt lgkmcnt(4)
	v_mul_f64 v[111:112], v[51:52], v[43:44]
	v_mul_f64 v[43:44], v[49:50], v[43:44]
	v_fma_f64 v[75:76], v[81:82], v[3:4], -v[115:116]
	v_fma_f64 v[3:4], v[83:84], v[3:4], v[117:118]
	v_fma_f64 v[81:82], v[81:82], v[33:34], -v[87:88]
	v_fma_f64 v[83:84], v[83:84], v[33:34], v[35:36]
	v_add_f64 v[55:56], v[97:98], v[55:56]
	v_add_f64 v[59:60], v[59:60], v[21:22]
	;; [unrolled: 1-line block ×4, first 2 shown]
	s_waitcnt lgkmcnt(1)
	v_mul_f64 v[97:98], v[7:8], v[19:20]
	v_add_f64 v[71:72], v[71:72], v[107:108]
	v_add_f64 v[65:66], v[65:66], v[103:104]
	v_fma_f64 v[77:78], v[37:38], v[41:42], -v[77:78]
	v_fma_f64 v[85:86], v[39:40], v[41:42], v[93:94]
	v_add_f64 v[57:58], v[57:58], v[73:74]
	v_add_f64 v[53:54], v[69:70], v[53:54]
	s_waitcnt lgkmcnt(0)
	v_mul_f64 v[69:70], v[7:8], v[15:16]
	v_fma_f64 v[87:88], v[37:38], v[45:46], -v[95:96]
	v_fma_f64 v[93:94], v[39:40], v[45:46], v[109:110]
	v_mul_f64 v[37:38], v[51:52], v[47:48]
	v_mul_f64 v[39:40], v[49:50], v[47:48]
	v_fma_f64 v[47:48], v[49:50], v[41:42], -v[111:112]
	v_fma_f64 v[95:96], v[51:52], v[41:42], v[43:44]
	v_mul_f64 v[73:74], v[5:6], v[15:16]
	v_mul_f64 v[99:100], v[5:6], v[19:20]
	;; [unrolled: 1-line block ×6, first 2 shown]
	ds_read_b128 v[19:22], v32 offset:96
	ds_read_b128 v[33:36], v31 offset:3072
	v_add_co_u32 v25, vcc_lo, 0x80, v25
	v_add_co_ci_u32_e64 v26, null, 0, v26, vcc_lo
	v_add_f64 v[65:66], v[3:4], v[65:66]
	s_and_b32 vcc_lo, exec_lo, s14
	v_add_f64 v[57:58], v[57:58], v[81:82]
	v_add_f64 v[53:54], v[83:84], v[53:54]
	v_fma_f64 v[49:50], v[49:50], v[45:46], -v[37:38]
	v_fma_f64 v[45:46], v[51:52], v[45:46], v[39:40]
	v_add_f64 v[51:52], v[55:56], v[89:90]
	v_add_f64 v[55:56], v[91:92], v[59:60]
	;; [unrolled: 1-line block ×5, first 2 shown]
	ds_read_b128 v[37:40], v31 offset:3328
	ds_read_b128 v[41:44], v32 offset:2144
	v_fma_f64 v[67:68], v[5:6], v[13:14], -v[69:70]
	v_fma_f64 v[69:70], v[7:8], v[13:14], v[73:74]
	v_fma_f64 v[71:72], v[5:6], v[17:18], -v[97:98]
	v_fma_f64 v[73:74], v[7:8], v[17:18], v[99:100]
	v_fma_f64 v[75:76], v[9:10], v[13:14], -v[101:102]
	v_fma_f64 v[79:80], v[11:12], v[13:14], v[15:16]
	v_fma_f64 v[81:82], v[9:10], v[17:18], -v[103:104]
	s_waitcnt lgkmcnt(2)
	v_mul_f64 v[83:84], v[21:22], v[35:36]
	v_fma_f64 v[89:90], v[11:12], v[17:18], v[105:106]
	v_mul_f64 v[91:92], v[19:20], v[35:36]
	ds_read_b128 v[3:6], v32 offset:112
	ds_read_b128 v[7:10], v32 offset:2160
	;; [unrolled: 1-line block ×4, first 2 shown]
	s_waitcnt lgkmcnt(0)
	v_add_f64 v[49:50], v[57:58], v[49:50]
	v_add_f64 v[45:46], v[45:46], v[53:54]
	;; [unrolled: 1-line block ×4, first 2 shown]
	v_mul_f64 v[97:98], v[21:22], v[39:40]
	v_mul_f64 v[99:100], v[19:20], v[39:40]
	;; [unrolled: 1-line block ×4, first 2 shown]
	v_add_f64 v[59:60], v[59:60], v[87:88]
	v_add_f64 v[61:62], v[93:94], v[61:62]
	;; [unrolled: 1-line block ×4, first 2 shown]
	v_mul_f64 v[53:54], v[43:44], v[39:40]
	v_mul_f64 v[39:40], v[41:42], v[39:40]
	s_barrier
	v_fma_f64 v[57:58], v[19:20], v[33:34], -v[83:84]
	buffer_gl0_inv
	v_fma_f64 v[65:66], v[21:22], v[33:34], v[91:92]
	v_add_f64 v[49:50], v[49:50], v[81:82]
	v_add_f64 v[45:46], v[89:90], v[45:46]
	v_fma_f64 v[19:20], v[19:20], v[37:38], -v[97:98]
	v_fma_f64 v[21:22], v[21:22], v[37:38], v[99:100]
	v_fma_f64 v[77:78], v[41:42], v[33:34], -v[101:102]
	v_fma_f64 v[33:34], v[43:44], v[33:34], v[35:36]
	v_add_f64 v[35:36], v[51:52], v[67:68]
	v_add_f64 v[51:52], v[69:70], v[55:56]
	;; [unrolled: 1-line block ×6, first 2 shown]
	v_fma_f64 v[41:42], v[41:42], v[37:38], -v[53:54]
	v_fma_f64 v[37:38], v[43:44], v[37:38], v[39:40]
	v_mul_f64 v[39:40], v[5:6], v[13:14]
	v_mul_f64 v[43:44], v[3:4], v[13:14]
	;; [unrolled: 1-line block ×8, first 2 shown]
	v_add_f64 v[35:36], v[35:36], v[57:58]
	v_add_f64 v[51:52], v[65:66], v[51:52]
	;; [unrolled: 1-line block ×8, first 2 shown]
	v_fma_f64 v[19:20], v[3:4], v[11:12], -v[39:40]
	v_fma_f64 v[21:22], v[5:6], v[11:12], v[43:44]
	v_fma_f64 v[3:4], v[3:4], v[15:16], -v[53:54]
	v_fma_f64 v[5:6], v[5:6], v[15:16], v[63:64]
	;; [unrolled: 2-line block ×4, first 2 shown]
	v_add_f64 v[19:20], v[35:36], v[19:20]
	v_add_f64 v[21:22], v[21:22], v[51:52]
	;; [unrolled: 1-line block ×8, first 2 shown]
	s_cbranch_vccz .LBB274_10
.LBB274_3:                              ; =>This Inner Loop Header: Depth=1
	v_add_co_u32 v3, s14, v28, s12
	v_add_co_ci_u32_e64 v4, null, 0, s13, s14
	v_mov_b32_e32 v5, 0
	v_mov_b32_e32 v6, 0
	v_cmp_gt_i64_e32 vcc_lo, s[40:41], v[3:4]
	v_mov_b32_e32 v3, 0
	v_mov_b32_e32 v4, 0
	s_and_b32 s15, s0, vcc_lo
	s_and_saveexec_b32 s14, s15
	s_cbranch_execz .LBB274_5
; %bb.4:                                ;   in Loop: Header=BB274_3 Depth=1
	flat_load_dwordx4 v[3:6], v[25:26]
	s_waitcnt vmcnt(0) lgkmcnt(0)
	v_xor_b32_e32 v6, 0x80000000, v6
.LBB274_5:                              ;   in Loop: Header=BB274_3 Depth=1
	s_or_b32 exec_lo, exec_lo, s14
	v_add_co_u32 v33, s14, v27, s12
	v_add_co_ci_u32_e64 v34, null, 0, s13, s14
	ds_write_b128 v29, v[3:6]
	v_cmp_le_i64_e32 vcc_lo, s[40:41], v[33:34]
	s_or_b32 s14, vcc_lo, s1
	s_and_saveexec_b32 s15, s14
	s_xor_b32 s14, exec_lo, s15
	s_cbranch_execz .LBB274_7
; %bb.6:                                ;   in Loop: Header=BB274_3 Depth=1
	v_mov_b32_e32 v3, v2
	v_mov_b32_e32 v4, v2
	;; [unrolled: 1-line block ×3, first 2 shown]
	ds_write_b128 v30, v[2:5]
.LBB274_7:                              ;   in Loop: Header=BB274_3 Depth=1
	s_andn2_saveexec_b32 s14, s14
	s_cbranch_execz .LBB274_2
; %bb.8:                                ;   in Loop: Header=BB274_3 Depth=1
	flat_load_dwordx4 v[3:6], v[23:24]
	s_waitcnt vmcnt(0) lgkmcnt(0)
	ds_write2_b64 v30, v[3:4], v[5:6] offset1:1
	s_branch .LBB274_2
.LBB274_9:
	v_mov_b32_e32 v19, 0
	v_mov_b32_e32 v21, 0
	v_mov_b32_e32 v15, 0
	v_mov_b32_e32 v17, 0
	v_mov_b32_e32 v11, 0
	v_mov_b32_e32 v13, 0
	v_mov_b32_e32 v7, 0
	v_mov_b32_e32 v9, 0
	v_mov_b32_e32 v20, 0
	v_mov_b32_e32 v22, 0
	v_mov_b32_e32 v16, 0
	v_mov_b32_e32 v18, 0
	v_mov_b32_e32 v12, 0
	v_mov_b32_e32 v14, 0
	v_mov_b32_e32 v8, 0
	v_mov_b32_e32 v10, 0
.LBB274_10:
	v_cmp_neq_f64_e64 s12, s[18:19], 0
	v_cmp_neq_f64_e64 s13, s[20:21], 0
	s_lshl_b64 s[0:1], s[2:3], 4
	v_add_co_u32 v1, s2, s10, v1
	v_add_co_ci_u32_e64 v2, null, s11, 0, s2
	s_waitcnt lgkmcnt(0)
	s_add_u32 s3, s8, s0
	s_addc_u32 s8, s9, s1
	v_cmp_gt_i64_e64 s0, s[38:39], v[1:2]
	s_or_b32 s1, s12, s13
	s_and_b32 vcc_lo, exec_lo, s1
	s_mov_b32 s1, -1
	s_cbranch_vccnz .LBB274_22
; %bb.11:
	s_and_saveexec_b32 s9, s0
	s_cbranch_execz .LBB274_21
; %bb.12:
	v_mul_lo_u32 v5, v2, s30
	v_mul_lo_u32 v6, v1, s31
	v_mad_u64_u32 v[3:4], null, v1, s30, 0
	v_add3_u32 v4, v4, v6, v5
	v_add_co_u32 v5, s1, s6, v0
	v_add_co_ci_u32_e64 v6, null, s7, 0, s1
	v_lshlrev_b64 v[23:24], 4, v[3:4]
	v_cmp_gt_i64_e32 vcc_lo, s[36:37], v[5:6]
	v_lshlrev_b64 v[3:4], 4, v[5:6]
	v_add_co_u32 v23, s1, s3, v23
	v_add_co_ci_u32_e64 v24, null, s8, v24, s1
	s_and_saveexec_b32 s2, vcc_lo
	s_cbranch_execz .LBB274_14
; %bb.13:
	v_mul_f64 v[25:26], s[44:45], v[21:22]
	v_mul_f64 v[27:28], s[42:43], v[21:22]
	v_add_co_u32 v29, s1, v23, v3
	v_add_co_ci_u32_e64 v30, null, v24, v4, s1
	v_fma_f64 v[25:26], s[42:43], v[19:20], -v[25:26]
	v_fma_f64 v[27:28], s[44:45], v[19:20], v[27:28]
	flat_store_dwordx4 v[29:30], v[25:28]
.LBB274_14:
	s_or_b32 exec_lo, exec_lo, s2
	v_add_co_u32 v5, s1, v5, 16
	v_add_co_ci_u32_e64 v6, null, 0, v6, s1
	v_cmp_gt_i64_e64 s1, s[36:37], v[5:6]
	s_and_saveexec_b32 s10, s1
	s_cbranch_execz .LBB274_16
; %bb.15:
	v_mul_f64 v[5:6], s[44:45], v[17:18]
	v_mul_f64 v[27:28], s[42:43], v[17:18]
	v_fma_f64 v[25:26], s[42:43], v[15:16], -v[5:6]
	v_fma_f64 v[27:28], s[44:45], v[15:16], v[27:28]
	v_add_co_u32 v5, s2, v23, v3
	v_add_co_ci_u32_e64 v6, null, v24, v4, s2
	flat_store_dwordx4 v[5:6], v[25:28] offset:256
.LBB274_16:
	s_or_b32 exec_lo, exec_lo, s10
	v_add_co_u32 v5, s2, v1, 16
	v_add_co_ci_u32_e64 v6, null, 0, v2, s2
	v_cmp_gt_i64_e64 s2, s[38:39], v[5:6]
	s_and_b32 exec_lo, exec_lo, s2
	s_cbranch_execz .LBB274_21
; %bb.17:
	s_lshl_b64 s[10:11], s[30:31], 8
	v_add_co_u32 v5, s2, v23, s10
	v_add_co_ci_u32_e64 v6, null, s11, v24, s2
	v_add_co_u32 v3, s2, v5, v3
	v_add_co_ci_u32_e64 v4, null, v6, v4, s2
	s_and_saveexec_b32 s2, vcc_lo
	s_cbranch_execz .LBB274_19
; %bb.18:
	v_mul_f64 v[5:6], s[44:45], v[13:14]
	v_mul_f64 v[25:26], s[42:43], v[13:14]
	v_fma_f64 v[23:24], s[42:43], v[11:12], -v[5:6]
	v_fma_f64 v[25:26], s[44:45], v[11:12], v[25:26]
	flat_store_dwordx4 v[3:4], v[23:26]
.LBB274_19:
	s_or_b32 exec_lo, exec_lo, s2
	s_and_b32 exec_lo, exec_lo, s1
	s_cbranch_execz .LBB274_21
; %bb.20:
	v_mul_f64 v[5:6], s[44:45], v[9:10]
	v_mul_f64 v[25:26], s[42:43], v[9:10]
	v_fma_f64 v[23:24], s[42:43], v[7:8], -v[5:6]
	v_fma_f64 v[25:26], s[44:45], v[7:8], v[25:26]
	flat_store_dwordx4 v[3:4], v[23:26] offset:256
.LBB274_21:
	s_or_b32 exec_lo, exec_lo, s9
	s_mov_b32 s1, 0
.LBB274_22:
	s_andn2_b32 vcc_lo, exec_lo, s1
	s_cbranch_vccnz .LBB274_33
; %bb.23:
	s_and_saveexec_b32 s1, s0
	s_cbranch_execz .LBB274_33
; %bb.24:
	v_mul_lo_u32 v5, v2, s24
	v_mul_lo_u32 v6, v1, s25
	v_mad_u64_u32 v[3:4], null, v1, s24, 0
	v_mul_lo_u32 v25, v2, s30
	v_mul_lo_u32 v26, v1, s31
	v_mad_u64_u32 v[23:24], null, v1, s30, 0
	s_lshl_b64 s[0:1], s[26:27], 4
	v_add3_u32 v4, v4, v6, v5
	v_add_co_u32 v5, s2, s6, v0
	v_add_co_ci_u32_e64 v6, null, s7, 0, s2
	v_add3_u32 v24, v24, v26, v25
	v_lshlrev_b64 v[3:4], 4, v[3:4]
	s_add_u32 s0, s4, s0
	s_addc_u32 s1, s5, s1
	v_cmp_gt_i64_e32 vcc_lo, s[36:37], v[5:6]
	v_lshlrev_b64 v[24:25], 4, v[23:24]
	v_add_co_u32 v0, s0, s0, v3
	v_add_co_ci_u32_e64 v23, null, s1, v4, s0
	v_add_co_u32 v24, s0, s3, v24
	v_lshlrev_b64 v[3:4], 4, v[5:6]
	v_add_co_ci_u32_e64 v25, null, s8, v25, s0
	s_and_saveexec_b32 s1, vcc_lo
	s_cbranch_execz .LBB274_26
; %bb.25:
	v_add_co_u32 v26, s0, v0, v3
	v_add_co_ci_u32_e64 v27, null, v23, v4, s0
	v_mul_f64 v[30:31], s[44:45], v[21:22]
	v_mul_f64 v[21:22], s[42:43], v[21:22]
	flat_load_dwordx4 v[26:29], v[26:27]
	v_fma_f64 v[30:31], s[42:43], v[19:20], -v[30:31]
	v_fma_f64 v[21:22], s[44:45], v[19:20], v[21:22]
	s_waitcnt vmcnt(0) lgkmcnt(0)
	v_mul_f64 v[32:33], s[20:21], v[28:29]
	v_mul_f64 v[28:29], s[18:19], v[28:29]
	v_fma_f64 v[19:20], s[18:19], v[26:27], -v[32:33]
	v_fma_f64 v[26:27], s[20:21], v[26:27], v[28:29]
	v_add_f64 v[19:20], v[30:31], v[19:20]
	v_add_f64 v[21:22], v[21:22], v[26:27]
	v_add_co_u32 v26, s0, v24, v3
	v_add_co_ci_u32_e64 v27, null, v25, v4, s0
	flat_store_dwordx4 v[26:27], v[19:22]
.LBB274_26:
	s_or_b32 exec_lo, exec_lo, s1
	v_add_co_u32 v5, s0, v5, 16
	v_add_co_ci_u32_e64 v6, null, 0, v6, s0
	v_cmp_gt_i64_e64 s0, s[36:37], v[5:6]
	s_and_saveexec_b32 s2, s0
	s_cbranch_execz .LBB274_28
; %bb.27:
	v_add_co_u32 v5, s1, v0, v3
	v_add_co_ci_u32_e64 v6, null, v23, v4, s1
	flat_load_dwordx4 v[19:22], v[5:6] offset:256
	v_mul_f64 v[5:6], s[44:45], v[17:18]
	v_mul_f64 v[17:18], s[42:43], v[17:18]
	v_fma_f64 v[5:6], s[42:43], v[15:16], -v[5:6]
	v_fma_f64 v[17:18], s[44:45], v[15:16], v[17:18]
	s_waitcnt vmcnt(0) lgkmcnt(0)
	v_mul_f64 v[26:27], s[20:21], v[21:22]
	v_mul_f64 v[21:22], s[18:19], v[21:22]
	v_fma_f64 v[15:16], s[18:19], v[19:20], -v[26:27]
	v_fma_f64 v[19:20], s[20:21], v[19:20], v[21:22]
	v_add_f64 v[15:16], v[5:6], v[15:16]
	v_add_f64 v[17:18], v[17:18], v[19:20]
	v_add_co_u32 v5, s1, v24, v3
	v_add_co_ci_u32_e64 v6, null, v25, v4, s1
	flat_store_dwordx4 v[5:6], v[15:18] offset:256
.LBB274_28:
	s_or_b32 exec_lo, exec_lo, s2
	v_add_co_u32 v1, s1, v1, 16
	v_add_co_ci_u32_e64 v2, null, 0, v2, s1
	v_cmp_gt_i64_e64 s1, s[38:39], v[1:2]
	s_and_b32 exec_lo, exec_lo, s1
	s_cbranch_execz .LBB274_33
; %bb.29:
	s_lshl_b64 s[2:3], s[24:25], 8
	v_add_co_u32 v0, s1, v0, s2
	v_add_co_ci_u32_e64 v1, null, s3, v23, s1
	s_lshl_b64 s[2:3], s[30:31], 8
	v_add_co_u32 v2, s1, v24, s2
	v_add_co_ci_u32_e64 v15, null, s3, v25, s1
	v_add_co_u32 v5, s1, v0, v3
	v_add_co_ci_u32_e64 v6, null, v1, v4, s1
	;; [unrolled: 2-line block ×3, first 2 shown]
	s_and_saveexec_b32 s1, vcc_lo
	s_cbranch_execz .LBB274_31
; %bb.30:
	flat_load_dwordx4 v[15:18], v[5:6]
	v_mul_f64 v[2:3], s[44:45], v[13:14]
	v_mul_f64 v[13:14], s[42:43], v[13:14]
	v_fma_f64 v[2:3], s[42:43], v[11:12], -v[2:3]
	v_fma_f64 v[13:14], s[44:45], v[11:12], v[13:14]
	s_waitcnt vmcnt(0) lgkmcnt(0)
	v_mul_f64 v[19:20], s[20:21], v[17:18]
	v_mul_f64 v[17:18], s[18:19], v[17:18]
	v_fma_f64 v[11:12], s[18:19], v[15:16], -v[19:20]
	v_fma_f64 v[15:16], s[20:21], v[15:16], v[17:18]
	v_add_f64 v[11:12], v[2:3], v[11:12]
	v_add_f64 v[13:14], v[13:14], v[15:16]
	flat_store_dwordx4 v[0:1], v[11:14]
.LBB274_31:
	s_or_b32 exec_lo, exec_lo, s1
	s_and_b32 exec_lo, exec_lo, s0
	s_cbranch_execz .LBB274_33
; %bb.32:
	flat_load_dwordx4 v[2:5], v[5:6] offset:256
	v_mul_f64 v[11:12], s[44:45], v[9:10]
	v_mul_f64 v[9:10], s[42:43], v[9:10]
	v_fma_f64 v[11:12], s[42:43], v[7:8], -v[11:12]
	v_fma_f64 v[6:7], s[44:45], v[7:8], v[9:10]
	s_waitcnt vmcnt(0) lgkmcnt(0)
	v_mul_f64 v[13:14], s[20:21], v[4:5]
	v_mul_f64 v[4:5], s[18:19], v[4:5]
	v_fma_f64 v[8:9], s[18:19], v[2:3], -v[13:14]
	v_fma_f64 v[4:5], s[20:21], v[2:3], v[4:5]
	v_add_f64 v[2:3], v[11:12], v[8:9]
	v_add_f64 v[4:5], v[6:7], v[4:5]
	flat_store_dwordx4 v[0:1], v[2:5] offset:256
.LBB274_33:
	s_endpgm
	.section	.rodata,"a",@progbits
	.p2align	6, 0x0
	.amdhsa_kernel _ZN12_GLOBAL__N_135rocblas_gemm_batched_general_kernelI19rocblas_complex_numIdELi16ELi16ELi32ELi32ELi8ELi32ELi8ELi8ELi32ELc67ELc78EKPKS2_S5_KPS2_EEvlllT_PT11_llSA_llS8_PT12_llPT13_lli
		.amdhsa_group_segment_fixed_size 8192
		.amdhsa_private_segment_fixed_size 0
		.amdhsa_kernarg_size 156
		.amdhsa_user_sgpr_count 6
		.amdhsa_user_sgpr_private_segment_buffer 1
		.amdhsa_user_sgpr_dispatch_ptr 0
		.amdhsa_user_sgpr_queue_ptr 0
		.amdhsa_user_sgpr_kernarg_segment_ptr 1
		.amdhsa_user_sgpr_dispatch_id 0
		.amdhsa_user_sgpr_flat_scratch_init 0
		.amdhsa_user_sgpr_private_segment_size 0
		.amdhsa_wavefront_size32 1
		.amdhsa_uses_dynamic_stack 0
		.amdhsa_system_sgpr_private_segment_wavefront_offset 0
		.amdhsa_system_sgpr_workgroup_id_x 1
		.amdhsa_system_sgpr_workgroup_id_y 1
		.amdhsa_system_sgpr_workgroup_id_z 1
		.amdhsa_system_sgpr_workgroup_info 0
		.amdhsa_system_vgpr_workitem_id 1
		.amdhsa_next_free_vgpr 127
		.amdhsa_next_free_sgpr 52
		.amdhsa_reserve_vcc 1
		.amdhsa_reserve_flat_scratch 0
		.amdhsa_float_round_mode_32 0
		.amdhsa_float_round_mode_16_64 0
		.amdhsa_float_denorm_mode_32 3
		.amdhsa_float_denorm_mode_16_64 3
		.amdhsa_dx10_clamp 1
		.amdhsa_ieee_mode 1
		.amdhsa_fp16_overflow 0
		.amdhsa_workgroup_processor_mode 1
		.amdhsa_memory_ordered 1
		.amdhsa_forward_progress 1
		.amdhsa_shared_vgpr_count 0
		.amdhsa_exception_fp_ieee_invalid_op 0
		.amdhsa_exception_fp_denorm_src 0
		.amdhsa_exception_fp_ieee_div_zero 0
		.amdhsa_exception_fp_ieee_overflow 0
		.amdhsa_exception_fp_ieee_underflow 0
		.amdhsa_exception_fp_ieee_inexact 0
		.amdhsa_exception_int_div_zero 0
	.end_amdhsa_kernel
	.section	.text._ZN12_GLOBAL__N_135rocblas_gemm_batched_general_kernelI19rocblas_complex_numIdELi16ELi16ELi32ELi32ELi8ELi32ELi8ELi8ELi32ELc67ELc78EKPKS2_S5_KPS2_EEvlllT_PT11_llSA_llS8_PT12_llPT13_lli,"axG",@progbits,_ZN12_GLOBAL__N_135rocblas_gemm_batched_general_kernelI19rocblas_complex_numIdELi16ELi16ELi32ELi32ELi8ELi32ELi8ELi8ELi32ELc67ELc78EKPKS2_S5_KPS2_EEvlllT_PT11_llSA_llS8_PT12_llPT13_lli,comdat
.Lfunc_end274:
	.size	_ZN12_GLOBAL__N_135rocblas_gemm_batched_general_kernelI19rocblas_complex_numIdELi16ELi16ELi32ELi32ELi8ELi32ELi8ELi8ELi32ELc67ELc78EKPKS2_S5_KPS2_EEvlllT_PT11_llSA_llS8_PT12_llPT13_lli, .Lfunc_end274-_ZN12_GLOBAL__N_135rocblas_gemm_batched_general_kernelI19rocblas_complex_numIdELi16ELi16ELi32ELi32ELi8ELi32ELi8ELi8ELi32ELc67ELc78EKPKS2_S5_KPS2_EEvlllT_PT11_llSA_llS8_PT12_llPT13_lli
                                        ; -- End function
	.set _ZN12_GLOBAL__N_135rocblas_gemm_batched_general_kernelI19rocblas_complex_numIdELi16ELi16ELi32ELi32ELi8ELi32ELi8ELi8ELi32ELc67ELc78EKPKS2_S5_KPS2_EEvlllT_PT11_llSA_llS8_PT12_llPT13_lli.num_vgpr, 127
	.set _ZN12_GLOBAL__N_135rocblas_gemm_batched_general_kernelI19rocblas_complex_numIdELi16ELi16ELi32ELi32ELi8ELi32ELi8ELi8ELi32ELc67ELc78EKPKS2_S5_KPS2_EEvlllT_PT11_llSA_llS8_PT12_llPT13_lli.num_agpr, 0
	.set _ZN12_GLOBAL__N_135rocblas_gemm_batched_general_kernelI19rocblas_complex_numIdELi16ELi16ELi32ELi32ELi8ELi32ELi8ELi8ELi32ELc67ELc78EKPKS2_S5_KPS2_EEvlllT_PT11_llSA_llS8_PT12_llPT13_lli.numbered_sgpr, 52
	.set _ZN12_GLOBAL__N_135rocblas_gemm_batched_general_kernelI19rocblas_complex_numIdELi16ELi16ELi32ELi32ELi8ELi32ELi8ELi8ELi32ELc67ELc78EKPKS2_S5_KPS2_EEvlllT_PT11_llSA_llS8_PT12_llPT13_lli.num_named_barrier, 0
	.set _ZN12_GLOBAL__N_135rocblas_gemm_batched_general_kernelI19rocblas_complex_numIdELi16ELi16ELi32ELi32ELi8ELi32ELi8ELi8ELi32ELc67ELc78EKPKS2_S5_KPS2_EEvlllT_PT11_llSA_llS8_PT12_llPT13_lli.private_seg_size, 0
	.set _ZN12_GLOBAL__N_135rocblas_gemm_batched_general_kernelI19rocblas_complex_numIdELi16ELi16ELi32ELi32ELi8ELi32ELi8ELi8ELi32ELc67ELc78EKPKS2_S5_KPS2_EEvlllT_PT11_llSA_llS8_PT12_llPT13_lli.uses_vcc, 1
	.set _ZN12_GLOBAL__N_135rocblas_gemm_batched_general_kernelI19rocblas_complex_numIdELi16ELi16ELi32ELi32ELi8ELi32ELi8ELi8ELi32ELc67ELc78EKPKS2_S5_KPS2_EEvlllT_PT11_llSA_llS8_PT12_llPT13_lli.uses_flat_scratch, 0
	.set _ZN12_GLOBAL__N_135rocblas_gemm_batched_general_kernelI19rocblas_complex_numIdELi16ELi16ELi32ELi32ELi8ELi32ELi8ELi8ELi32ELc67ELc78EKPKS2_S5_KPS2_EEvlllT_PT11_llSA_llS8_PT12_llPT13_lli.has_dyn_sized_stack, 0
	.set _ZN12_GLOBAL__N_135rocblas_gemm_batched_general_kernelI19rocblas_complex_numIdELi16ELi16ELi32ELi32ELi8ELi32ELi8ELi8ELi32ELc67ELc78EKPKS2_S5_KPS2_EEvlllT_PT11_llSA_llS8_PT12_llPT13_lli.has_recursion, 0
	.set _ZN12_GLOBAL__N_135rocblas_gemm_batched_general_kernelI19rocblas_complex_numIdELi16ELi16ELi32ELi32ELi8ELi32ELi8ELi8ELi32ELc67ELc78EKPKS2_S5_KPS2_EEvlllT_PT11_llSA_llS8_PT12_llPT13_lli.has_indirect_call, 0
	.section	.AMDGPU.csdata,"",@progbits
; Kernel info:
; codeLenInByte = 4044
; TotalNumSgprs: 54
; NumVgprs: 127
; ScratchSize: 0
; MemoryBound: 1
; FloatMode: 240
; IeeeMode: 1
; LDSByteSize: 8192 bytes/workgroup (compile time only)
; SGPRBlocks: 0
; VGPRBlocks: 15
; NumSGPRsForWavesPerEU: 54
; NumVGPRsForWavesPerEU: 127
; Occupancy: 8
; WaveLimiterHint : 1
; COMPUTE_PGM_RSRC2:SCRATCH_EN: 0
; COMPUTE_PGM_RSRC2:USER_SGPR: 6
; COMPUTE_PGM_RSRC2:TRAP_HANDLER: 0
; COMPUTE_PGM_RSRC2:TGID_X_EN: 1
; COMPUTE_PGM_RSRC2:TGID_Y_EN: 1
; COMPUTE_PGM_RSRC2:TGID_Z_EN: 1
; COMPUTE_PGM_RSRC2:TIDIG_COMP_CNT: 1
	.section	.text._ZN12_GLOBAL__N_135rocblas_gemm_batched_general_kernelI19rocblas_complex_numIdELi16ELi16ELi32ELi32ELi8ELi32ELi8ELi8ELi32ELc67ELc84EKPKS2_S5_KPS2_EEvlllT_PT11_llSA_llS8_PT12_llPT13_lli,"axG",@progbits,_ZN12_GLOBAL__N_135rocblas_gemm_batched_general_kernelI19rocblas_complex_numIdELi16ELi16ELi32ELi32ELi8ELi32ELi8ELi8ELi32ELc67ELc84EKPKS2_S5_KPS2_EEvlllT_PT11_llSA_llS8_PT12_llPT13_lli,comdat
	.globl	_ZN12_GLOBAL__N_135rocblas_gemm_batched_general_kernelI19rocblas_complex_numIdELi16ELi16ELi32ELi32ELi8ELi32ELi8ELi8ELi32ELc67ELc84EKPKS2_S5_KPS2_EEvlllT_PT11_llSA_llS8_PT12_llPT13_lli ; -- Begin function _ZN12_GLOBAL__N_135rocblas_gemm_batched_general_kernelI19rocblas_complex_numIdELi16ELi16ELi32ELi32ELi8ELi32ELi8ELi8ELi32ELc67ELc84EKPKS2_S5_KPS2_EEvlllT_PT11_llSA_llS8_PT12_llPT13_lli
	.p2align	8
	.type	_ZN12_GLOBAL__N_135rocblas_gemm_batched_general_kernelI19rocblas_complex_numIdELi16ELi16ELi32ELi32ELi8ELi32ELi8ELi8ELi32ELc67ELc84EKPKS2_S5_KPS2_EEvlllT_PT11_llSA_llS8_PT12_llPT13_lli,@function
_ZN12_GLOBAL__N_135rocblas_gemm_batched_general_kernelI19rocblas_complex_numIdELi16ELi16ELi32ELi32ELi8ELi32ELi8ELi8ELi32ELc67ELc84EKPKS2_S5_KPS2_EEvlllT_PT11_llSA_llS8_PT12_llPT13_lli: ; @_ZN12_GLOBAL__N_135rocblas_gemm_batched_general_kernelI19rocblas_complex_numIdELi16ELi16ELi32ELi32ELi8ELi32ELi8ELi8ELi32ELc67ELc84EKPKS2_S5_KPS2_EEvlllT_PT11_llSA_llS8_PT12_llPT13_lli
; %bb.0:
	s_clause 0x2
	s_load_dwordx16 s[12:27], s[4:5], 0x40
	s_load_dwordx4 s[28:31], s[4:5], 0x80
	s_load_dwordx16 s[36:51], s[4:5], 0x0
	s_mov_b32 s9, 0
	s_load_dwordx2 s[2:3], s[4:5], 0x90
	s_lshl_b64 s[0:1], s[8:9], 3
	s_mov_b32 s34, s7
	v_mov_b32_e32 v2, 0
	s_waitcnt lgkmcnt(0)
	s_add_u32 s4, s22, s0
	s_addc_u32 s5, s23, s1
	s_add_u32 s8, s28, s0
	s_addc_u32 s9, s29, s1
	s_load_dwordx2 s[4:5], s[4:5], 0x0
	s_load_dwordx2 s[8:9], s[8:9], 0x0
	v_cmp_lt_i64_e64 s10, s[40:41], 1
	s_ashr_i32 s7, s6, 31
	s_ashr_i32 s35, s34, 31
	s_lshl_b64 s[6:7], s[6:7], 5
	s_and_b32 vcc_lo, exec_lo, s10
	s_lshl_b64 s[10:11], s[34:35], 5
	s_cbranch_vccnz .LBB275_9
; %bb.1:
	v_lshl_add_u32 v3, v1, 4, v0
	v_and_b32_e32 v27, 7, v0
	s_add_u32 s12, s12, s0
	s_addc_u32 s13, s13, s1
	v_mov_b32_e32 v4, s7
	v_and_b32_e32 v9, 31, v3
	v_mad_u64_u32 v[5:6], null, s14, v27, 0
	v_lshrrev_b32_e32 v10, 3, v3
	v_lshrrev_b32_e32 v28, 5, v3
	v_or_b32_e32 v3, s6, v9
	s_add_u32 s0, s46, s0
	s_addc_u32 s1, s47, s1
	s_load_dwordx2 s[12:13], s[12:13], 0x0
	s_load_dwordx2 s[22:23], s[0:1], 0x0
	v_add_co_u32 v7, s0, v10, s10
	v_add_co_ci_u32_e64 v8, null, 0, s11, s0
	v_cmp_gt_i64_e64 s0, s[36:37], v[3:4]
	v_mov_b32_e32 v3, v6
	v_lshlrev_b32_e32 v6, 4, v27
	v_cmp_gt_i64_e32 vcc_lo, s[38:39], v[7:8]
	v_add_co_u32 v7, s1, s6, v9
	v_mad_u64_u32 v[3:4], null, s15, v27, v[3:4]
	v_lshl_or_b32 v4, v10, 7, v6
	v_add_co_ci_u32_e64 v8, null, s7, 0, s1
	v_lshlrev_b32_e32 v11, 4, v9
	v_mul_lo_u32 v9, s49, v7
	v_add_nc_u32_e32 v30, 0x1000, v4
	v_mov_b32_e32 v6, v3
	v_mul_lo_u32 v8, s48, v8
	v_mad_u64_u32 v[3:4], null, s48, v7, 0
	s_lshl_b64 s[28:29], s[34:35], 9
	v_lshlrev_b64 v[5:6], 4, v[5:6]
	s_lshl_b64 s[16:17], s[16:17], 4
	v_lshlrev_b32_e32 v7, 4, v10
	s_add_u32 s1, s16, s28
	s_addc_u32 s16, s17, s29
	v_add3_u32 v4, v4, v8, v9
	v_add_co_u32 v5, s1, s1, v5
	v_add_co_ci_u32_e64 v6, null, s16, v6, s1
	v_lshlrev_b64 v[3:4], 4, v[3:4]
	v_add_co_u32 v5, s1, v5, v7
	s_lshl_b64 s[16:17], s[50:51], 4
	v_add_co_ci_u32_e64 v6, null, 0, v6, s1
	v_add_co_u32 v3, s1, v3, s16
	v_lshlrev_b32_e32 v7, 4, v28
	v_add_co_ci_u32_e64 v4, null, s17, v4, s1
	s_waitcnt lgkmcnt(0)
	v_add_co_u32 v23, s1, s12, v5
	v_add_co_ci_u32_e64 v24, null, s13, v6, s1
	v_add_co_u32 v3, s1, v3, v7
	v_add_co_ci_u32_e64 v4, null, 0, v4, s1
	v_lshl_or_b32 v29, v28, 9, v11
	v_add_co_u32 v25, s1, s22, v3
	v_mov_b32_e32 v9, 0
	v_mov_b32_e32 v7, 0
	;; [unrolled: 1-line block ×8, first 2 shown]
	v_lshlrev_b32_e32 v31, 4, v0
	v_lshl_add_u32 v32, v1, 7, 0x1000
	v_mov_b32_e32 v10, 0
	v_mov_b32_e32 v8, 0
	;; [unrolled: 1-line block ×8, first 2 shown]
	v_add_co_ci_u32_e64 v26, null, s23, v4, s1
	s_lshl_b64 s[12:13], s[14:15], 7
	s_mov_b64 s[14:15], 0
	s_xor_b32 s1, vcc_lo, -1
	s_branch .LBB275_3
.LBB275_2:                              ;   in Loop: Header=BB275_3 Depth=1
	s_or_b32 exec_lo, exec_lo, s16
	s_waitcnt lgkmcnt(0)
	s_barrier
	buffer_gl0_inv
	ds_read_b128 v[3:6], v32
	ds_read_b128 v[33:36], v31
	ds_read_b128 v[37:40], v31 offset:256
	ds_read_b128 v[41:44], v32 offset:2048
	;; [unrolled: 1-line block ×12, first 2 shown]
	s_add_u32 s14, s14, 8
	s_addc_u32 s15, s15, 0
	v_add_co_u32 v23, vcc_lo, v23, s12
	v_cmp_lt_i64_e64 s16, s[14:15], s[40:41]
	v_add_co_ci_u32_e64 v24, null, s13, v24, vcc_lo
	s_waitcnt lgkmcnt(12)
	v_mul_f64 v[85:86], v[5:6], v[35:36]
	v_mul_f64 v[87:88], v[3:4], v[35:36]
	s_waitcnt lgkmcnt(11)
	v_mul_f64 v[89:90], v[5:6], v[39:40]
	v_mul_f64 v[91:92], v[3:4], v[39:40]
	;; [unrolled: 3-line block ×3, first 2 shown]
	v_mul_f64 v[95:96], v[43:44], v[39:40]
	v_mul_f64 v[39:40], v[41:42], v[39:40]
	s_waitcnt lgkmcnt(8)
	v_mul_f64 v[97:98], v[47:48], v[51:52]
	v_mul_f64 v[99:100], v[45:46], v[51:52]
	s_waitcnt lgkmcnt(7)
	;; [unrolled: 3-line block ×3, first 2 shown]
	v_mul_f64 v[105:106], v[59:60], v[51:52]
	v_mul_f64 v[51:52], v[57:58], v[51:52]
	;; [unrolled: 1-line block ×4, first 2 shown]
	s_waitcnt lgkmcnt(4)
	v_mul_f64 v[109:110], v[63:64], v[67:68]
	v_mul_f64 v[111:112], v[61:62], v[67:68]
	s_waitcnt lgkmcnt(3)
	v_mul_f64 v[113:114], v[63:64], v[71:72]
	v_mul_f64 v[115:116], v[61:62], v[71:72]
	;; [unrolled: 3-line block ×3, first 2 shown]
	v_fma_f64 v[85:86], v[3:4], v[33:34], -v[85:86]
	v_fma_f64 v[87:88], v[5:6], v[33:34], v[87:88]
	v_fma_f64 v[89:90], v[3:4], v[37:38], -v[89:90]
	v_fma_f64 v[91:92], v[5:6], v[37:38], v[91:92]
	;; [unrolled: 2-line block ×4, first 2 shown]
	v_mul_f64 v[123:124], v[75:76], v[71:72]
	v_mul_f64 v[71:72], v[73:74], v[71:72]
	ds_read_b128 v[3:6], v31 offset:1536
	ds_read_b128 v[33:36], v31 offset:1792
	v_fma_f64 v[97:98], v[45:46], v[49:50], -v[97:98]
	v_fma_f64 v[99:100], v[47:48], v[49:50], v[99:100]
	v_fma_f64 v[101:102], v[45:46], v[53:54], -v[101:102]
	v_fma_f64 v[103:104], v[47:48], v[53:54], v[103:104]
	;; [unrolled: 2-line block ×7, first 2 shown]
	v_add_f64 v[19:20], v[19:20], v[85:86]
	v_add_f64 v[21:22], v[87:88], v[21:22]
	;; [unrolled: 1-line block ×4, first 2 shown]
	s_waitcnt lgkmcnt(1)
	v_mul_f64 v[109:110], v[79:80], v[5:6]
	s_waitcnt lgkmcnt(0)
	v_mul_f64 v[67:68], v[79:80], v[35:36]
	v_fma_f64 v[73:74], v[73:74], v[69:70], -v[123:124]
	v_fma_f64 v[69:70], v[75:76], v[69:70], v[71:72]
	v_add_f64 v[71:72], v[11:12], v[93:94]
	v_add_f64 v[13:14], v[119:120], v[13:14]
	;; [unrolled: 1-line block ×4, first 2 shown]
	ds_read_b128 v[37:40], v32 offset:64
	ds_read_b128 v[41:44], v31 offset:2048
	;; [unrolled: 1-line block ×3, first 2 shown]
	v_mul_f64 v[111:112], v[77:78], v[5:6]
	v_mul_f64 v[113:114], v[77:78], v[35:36]
	v_mul_f64 v[115:116], v[83:84], v[5:6]
	v_mul_f64 v[117:118], v[81:82], v[5:6]
	v_mul_f64 v[87:88], v[83:84], v[35:36]
	v_mul_f64 v[35:36], v[81:82], v[35:36]
	ds_read_b128 v[49:52], v32 offset:2112
	ds_read_b128 v[9:12], v32 offset:2128
	v_add_f64 v[97:98], v[19:20], v[97:98]
	v_add_f64 v[21:22], v[99:100], v[21:22]
	v_add_f64 v[99:100], v[15:16], v[101:102]
	v_add_f64 v[101:102], v[103:104], v[17:18]
	v_fma_f64 v[89:90], v[77:78], v[3:4], -v[109:110]
	v_fma_f64 v[67:68], v[77:78], v[33:34], -v[67:68]
	ds_read_b128 v[5:8], v32 offset:80
	ds_read_b128 v[17:20], v31 offset:2816
	v_add_f64 v[71:72], v[71:72], v[105:106]
	v_add_f64 v[103:104], v[125:126], v[13:14]
	s_waitcnt lgkmcnt(5)
	v_mul_f64 v[77:78], v[39:40], v[43:44]
	v_mul_f64 v[93:94], v[37:38], v[43:44]
	v_add_f64 v[57:58], v[75:76], v[57:58]
	v_add_f64 v[53:54], v[53:54], v[85:86]
	ds_read_b128 v[13:16], v31 offset:2560
	s_waitcnt lgkmcnt(5)
	v_mul_f64 v[95:96], v[39:40], v[47:48]
	v_mul_f64 v[109:110], v[37:38], v[47:48]
	v_fma_f64 v[91:92], v[79:80], v[3:4], v[111:112]
	v_fma_f64 v[79:80], v[79:80], v[33:34], v[113:114]
	s_waitcnt lgkmcnt(4)
	v_mul_f64 v[111:112], v[51:52], v[43:44]
	v_mul_f64 v[43:44], v[49:50], v[43:44]
	v_fma_f64 v[75:76], v[81:82], v[3:4], -v[115:116]
	v_fma_f64 v[3:4], v[83:84], v[3:4], v[117:118]
	v_fma_f64 v[81:82], v[81:82], v[33:34], -v[87:88]
	v_fma_f64 v[83:84], v[83:84], v[33:34], v[35:36]
	v_add_f64 v[55:56], v[97:98], v[55:56]
	v_add_f64 v[59:60], v[59:60], v[21:22]
	;; [unrolled: 1-line block ×4, first 2 shown]
	s_waitcnt lgkmcnt(1)
	v_mul_f64 v[97:98], v[7:8], v[19:20]
	v_add_f64 v[71:72], v[71:72], v[107:108]
	v_add_f64 v[65:66], v[65:66], v[103:104]
	v_fma_f64 v[77:78], v[37:38], v[41:42], -v[77:78]
	v_fma_f64 v[85:86], v[39:40], v[41:42], v[93:94]
	v_add_f64 v[57:58], v[57:58], v[73:74]
	v_add_f64 v[53:54], v[69:70], v[53:54]
	s_waitcnt lgkmcnt(0)
	v_mul_f64 v[69:70], v[7:8], v[15:16]
	v_fma_f64 v[87:88], v[37:38], v[45:46], -v[95:96]
	v_fma_f64 v[93:94], v[39:40], v[45:46], v[109:110]
	v_mul_f64 v[37:38], v[51:52], v[47:48]
	v_mul_f64 v[39:40], v[49:50], v[47:48]
	v_fma_f64 v[47:48], v[49:50], v[41:42], -v[111:112]
	v_fma_f64 v[95:96], v[51:52], v[41:42], v[43:44]
	v_mul_f64 v[73:74], v[5:6], v[15:16]
	v_mul_f64 v[99:100], v[5:6], v[19:20]
	;; [unrolled: 1-line block ×6, first 2 shown]
	ds_read_b128 v[19:22], v32 offset:96
	ds_read_b128 v[33:36], v31 offset:3072
	v_add_co_u32 v25, vcc_lo, 0x80, v25
	v_add_co_ci_u32_e64 v26, null, 0, v26, vcc_lo
	v_add_f64 v[65:66], v[3:4], v[65:66]
	s_and_b32 vcc_lo, exec_lo, s16
	v_add_f64 v[57:58], v[57:58], v[81:82]
	v_add_f64 v[53:54], v[83:84], v[53:54]
	v_fma_f64 v[49:50], v[49:50], v[45:46], -v[37:38]
	v_fma_f64 v[45:46], v[51:52], v[45:46], v[39:40]
	v_add_f64 v[51:52], v[55:56], v[89:90]
	v_add_f64 v[55:56], v[91:92], v[59:60]
	;; [unrolled: 1-line block ×5, first 2 shown]
	ds_read_b128 v[37:40], v31 offset:3328
	ds_read_b128 v[41:44], v32 offset:2144
	v_fma_f64 v[67:68], v[5:6], v[13:14], -v[69:70]
	v_fma_f64 v[69:70], v[7:8], v[13:14], v[73:74]
	v_fma_f64 v[71:72], v[5:6], v[17:18], -v[97:98]
	v_fma_f64 v[73:74], v[7:8], v[17:18], v[99:100]
	;; [unrolled: 2-line block ×3, first 2 shown]
	v_fma_f64 v[81:82], v[9:10], v[17:18], -v[103:104]
	s_waitcnt lgkmcnt(2)
	v_mul_f64 v[83:84], v[21:22], v[35:36]
	v_fma_f64 v[89:90], v[11:12], v[17:18], v[105:106]
	v_mul_f64 v[91:92], v[19:20], v[35:36]
	ds_read_b128 v[3:6], v32 offset:112
	ds_read_b128 v[7:10], v32 offset:2160
	;; [unrolled: 1-line block ×4, first 2 shown]
	s_waitcnt lgkmcnt(0)
	v_add_f64 v[49:50], v[57:58], v[49:50]
	v_add_f64 v[45:46], v[45:46], v[53:54]
	v_add_f64 v[51:52], v[51:52], v[77:78]
	v_add_f64 v[55:56], v[85:86], v[55:56]
	v_mul_f64 v[97:98], v[21:22], v[39:40]
	v_mul_f64 v[99:100], v[19:20], v[39:40]
	;; [unrolled: 1-line block ×4, first 2 shown]
	v_add_f64 v[59:60], v[59:60], v[87:88]
	v_add_f64 v[61:62], v[93:94], v[61:62]
	;; [unrolled: 1-line block ×4, first 2 shown]
	v_mul_f64 v[53:54], v[43:44], v[39:40]
	v_mul_f64 v[39:40], v[41:42], v[39:40]
	s_barrier
	v_fma_f64 v[57:58], v[19:20], v[33:34], -v[83:84]
	buffer_gl0_inv
	v_fma_f64 v[65:66], v[21:22], v[33:34], v[91:92]
	v_add_f64 v[49:50], v[49:50], v[81:82]
	v_add_f64 v[45:46], v[89:90], v[45:46]
	v_fma_f64 v[19:20], v[19:20], v[37:38], -v[97:98]
	v_fma_f64 v[21:22], v[21:22], v[37:38], v[99:100]
	v_fma_f64 v[77:78], v[41:42], v[33:34], -v[101:102]
	v_fma_f64 v[33:34], v[43:44], v[33:34], v[35:36]
	v_add_f64 v[35:36], v[51:52], v[67:68]
	v_add_f64 v[51:52], v[69:70], v[55:56]
	v_add_f64 v[55:56], v[59:60], v[71:72]
	v_add_f64 v[59:60], v[73:74], v[61:62]
	v_add_f64 v[47:48], v[47:48], v[75:76]
	v_add_f64 v[61:62], v[79:80], v[63:64]
	v_fma_f64 v[41:42], v[41:42], v[37:38], -v[53:54]
	v_fma_f64 v[37:38], v[43:44], v[37:38], v[39:40]
	v_mul_f64 v[39:40], v[5:6], v[13:14]
	v_mul_f64 v[43:44], v[3:4], v[13:14]
	;; [unrolled: 1-line block ×8, first 2 shown]
	v_add_f64 v[35:36], v[35:36], v[57:58]
	v_add_f64 v[51:52], v[65:66], v[51:52]
	;; [unrolled: 1-line block ×8, first 2 shown]
	v_fma_f64 v[19:20], v[3:4], v[11:12], -v[39:40]
	v_fma_f64 v[21:22], v[5:6], v[11:12], v[43:44]
	v_fma_f64 v[3:4], v[3:4], v[15:16], -v[53:54]
	v_fma_f64 v[5:6], v[5:6], v[15:16], v[63:64]
	;; [unrolled: 2-line block ×4, first 2 shown]
	v_add_f64 v[19:20], v[35:36], v[19:20]
	v_add_f64 v[21:22], v[21:22], v[51:52]
	;; [unrolled: 1-line block ×8, first 2 shown]
	s_cbranch_vccz .LBB275_10
.LBB275_3:                              ; =>This Inner Loop Header: Depth=1
	v_add_co_u32 v3, s16, v28, s14
	v_add_co_ci_u32_e64 v4, null, 0, s15, s16
	v_mov_b32_e32 v5, 0
	v_mov_b32_e32 v6, 0
	v_cmp_gt_i64_e32 vcc_lo, s[40:41], v[3:4]
	v_mov_b32_e32 v3, 0
	v_mov_b32_e32 v4, 0
	s_and_b32 s17, s0, vcc_lo
	s_and_saveexec_b32 s16, s17
	s_cbranch_execz .LBB275_5
; %bb.4:                                ;   in Loop: Header=BB275_3 Depth=1
	flat_load_dwordx4 v[3:6], v[25:26]
	s_waitcnt vmcnt(0) lgkmcnt(0)
	v_xor_b32_e32 v6, 0x80000000, v6
.LBB275_5:                              ;   in Loop: Header=BB275_3 Depth=1
	s_or_b32 exec_lo, exec_lo, s16
	v_add_co_u32 v33, s16, v27, s14
	v_add_co_ci_u32_e64 v34, null, 0, s15, s16
	ds_write_b128 v29, v[3:6]
	v_cmp_le_i64_e32 vcc_lo, s[40:41], v[33:34]
	s_or_b32 s16, vcc_lo, s1
	s_and_saveexec_b32 s17, s16
	s_xor_b32 s16, exec_lo, s17
	s_cbranch_execz .LBB275_7
; %bb.6:                                ;   in Loop: Header=BB275_3 Depth=1
	v_mov_b32_e32 v3, v2
	v_mov_b32_e32 v4, v2
	;; [unrolled: 1-line block ×3, first 2 shown]
	ds_write_b128 v30, v[2:5]
.LBB275_7:                              ;   in Loop: Header=BB275_3 Depth=1
	s_andn2_saveexec_b32 s16, s16
	s_cbranch_execz .LBB275_2
; %bb.8:                                ;   in Loop: Header=BB275_3 Depth=1
	flat_load_dwordx4 v[3:6], v[23:24]
	s_waitcnt vmcnt(0) lgkmcnt(0)
	ds_write2_b64 v30, v[3:4], v[5:6] offset1:1
	s_branch .LBB275_2
.LBB275_9:
	v_mov_b32_e32 v19, 0
	v_mov_b32_e32 v21, 0
	;; [unrolled: 1-line block ×16, first 2 shown]
.LBB275_10:
	v_cmp_neq_f64_e64 s12, s[18:19], 0
	v_cmp_neq_f64_e64 s13, s[20:21], 0
	s_lshl_b64 s[0:1], s[2:3], 4
	v_add_co_u32 v1, s2, s10, v1
	v_add_co_ci_u32_e64 v2, null, s11, 0, s2
	s_waitcnt lgkmcnt(0)
	s_add_u32 s3, s8, s0
	s_addc_u32 s8, s9, s1
	v_cmp_gt_i64_e64 s0, s[38:39], v[1:2]
	s_or_b32 s1, s12, s13
	s_and_b32 vcc_lo, exec_lo, s1
	s_mov_b32 s1, -1
	s_cbranch_vccnz .LBB275_22
; %bb.11:
	s_and_saveexec_b32 s9, s0
	s_cbranch_execz .LBB275_21
; %bb.12:
	v_mul_lo_u32 v5, v2, s30
	v_mul_lo_u32 v6, v1, s31
	v_mad_u64_u32 v[3:4], null, v1, s30, 0
	v_add3_u32 v4, v4, v6, v5
	v_add_co_u32 v5, s1, s6, v0
	v_add_co_ci_u32_e64 v6, null, s7, 0, s1
	v_lshlrev_b64 v[23:24], 4, v[3:4]
	v_cmp_gt_i64_e32 vcc_lo, s[36:37], v[5:6]
	v_lshlrev_b64 v[3:4], 4, v[5:6]
	v_add_co_u32 v23, s1, s3, v23
	v_add_co_ci_u32_e64 v24, null, s8, v24, s1
	s_and_saveexec_b32 s2, vcc_lo
	s_cbranch_execz .LBB275_14
; %bb.13:
	v_mul_f64 v[25:26], s[44:45], v[21:22]
	v_mul_f64 v[27:28], s[42:43], v[21:22]
	v_add_co_u32 v29, s1, v23, v3
	v_add_co_ci_u32_e64 v30, null, v24, v4, s1
	v_fma_f64 v[25:26], s[42:43], v[19:20], -v[25:26]
	v_fma_f64 v[27:28], s[44:45], v[19:20], v[27:28]
	flat_store_dwordx4 v[29:30], v[25:28]
.LBB275_14:
	s_or_b32 exec_lo, exec_lo, s2
	v_add_co_u32 v5, s1, v5, 16
	v_add_co_ci_u32_e64 v6, null, 0, v6, s1
	v_cmp_gt_i64_e64 s1, s[36:37], v[5:6]
	s_and_saveexec_b32 s10, s1
	s_cbranch_execz .LBB275_16
; %bb.15:
	v_mul_f64 v[5:6], s[44:45], v[17:18]
	v_mul_f64 v[27:28], s[42:43], v[17:18]
	v_fma_f64 v[25:26], s[42:43], v[15:16], -v[5:6]
	v_fma_f64 v[27:28], s[44:45], v[15:16], v[27:28]
	v_add_co_u32 v5, s2, v23, v3
	v_add_co_ci_u32_e64 v6, null, v24, v4, s2
	flat_store_dwordx4 v[5:6], v[25:28] offset:256
.LBB275_16:
	s_or_b32 exec_lo, exec_lo, s10
	v_add_co_u32 v5, s2, v1, 16
	v_add_co_ci_u32_e64 v6, null, 0, v2, s2
	v_cmp_gt_i64_e64 s2, s[38:39], v[5:6]
	s_and_b32 exec_lo, exec_lo, s2
	s_cbranch_execz .LBB275_21
; %bb.17:
	s_lshl_b64 s[10:11], s[30:31], 8
	v_add_co_u32 v5, s2, v23, s10
	v_add_co_ci_u32_e64 v6, null, s11, v24, s2
	v_add_co_u32 v3, s2, v5, v3
	v_add_co_ci_u32_e64 v4, null, v6, v4, s2
	s_and_saveexec_b32 s2, vcc_lo
	s_cbranch_execz .LBB275_19
; %bb.18:
	v_mul_f64 v[5:6], s[44:45], v[13:14]
	v_mul_f64 v[25:26], s[42:43], v[13:14]
	v_fma_f64 v[23:24], s[42:43], v[11:12], -v[5:6]
	v_fma_f64 v[25:26], s[44:45], v[11:12], v[25:26]
	flat_store_dwordx4 v[3:4], v[23:26]
.LBB275_19:
	s_or_b32 exec_lo, exec_lo, s2
	s_and_b32 exec_lo, exec_lo, s1
	s_cbranch_execz .LBB275_21
; %bb.20:
	v_mul_f64 v[5:6], s[44:45], v[9:10]
	v_mul_f64 v[25:26], s[42:43], v[9:10]
	v_fma_f64 v[23:24], s[42:43], v[7:8], -v[5:6]
	v_fma_f64 v[25:26], s[44:45], v[7:8], v[25:26]
	flat_store_dwordx4 v[3:4], v[23:26] offset:256
.LBB275_21:
	s_or_b32 exec_lo, exec_lo, s9
	s_mov_b32 s1, 0
.LBB275_22:
	s_andn2_b32 vcc_lo, exec_lo, s1
	s_cbranch_vccnz .LBB275_33
; %bb.23:
	s_and_saveexec_b32 s1, s0
	s_cbranch_execz .LBB275_33
; %bb.24:
	v_mul_lo_u32 v5, v2, s24
	v_mul_lo_u32 v6, v1, s25
	v_mad_u64_u32 v[3:4], null, v1, s24, 0
	v_mul_lo_u32 v25, v2, s30
	v_mul_lo_u32 v26, v1, s31
	v_mad_u64_u32 v[23:24], null, v1, s30, 0
	s_lshl_b64 s[0:1], s[26:27], 4
	v_add3_u32 v4, v4, v6, v5
	v_add_co_u32 v5, s2, s6, v0
	v_add_co_ci_u32_e64 v6, null, s7, 0, s2
	v_add3_u32 v24, v24, v26, v25
	v_lshlrev_b64 v[3:4], 4, v[3:4]
	s_add_u32 s0, s4, s0
	s_addc_u32 s1, s5, s1
	v_cmp_gt_i64_e32 vcc_lo, s[36:37], v[5:6]
	v_lshlrev_b64 v[24:25], 4, v[23:24]
	v_add_co_u32 v0, s0, s0, v3
	v_add_co_ci_u32_e64 v23, null, s1, v4, s0
	v_add_co_u32 v24, s0, s3, v24
	v_lshlrev_b64 v[3:4], 4, v[5:6]
	v_add_co_ci_u32_e64 v25, null, s8, v25, s0
	s_and_saveexec_b32 s1, vcc_lo
	s_cbranch_execz .LBB275_26
; %bb.25:
	v_add_co_u32 v26, s0, v0, v3
	v_add_co_ci_u32_e64 v27, null, v23, v4, s0
	v_mul_f64 v[30:31], s[44:45], v[21:22]
	v_mul_f64 v[21:22], s[42:43], v[21:22]
	flat_load_dwordx4 v[26:29], v[26:27]
	v_fma_f64 v[30:31], s[42:43], v[19:20], -v[30:31]
	v_fma_f64 v[21:22], s[44:45], v[19:20], v[21:22]
	s_waitcnt vmcnt(0) lgkmcnt(0)
	v_mul_f64 v[32:33], s[20:21], v[28:29]
	v_mul_f64 v[28:29], s[18:19], v[28:29]
	v_fma_f64 v[19:20], s[18:19], v[26:27], -v[32:33]
	v_fma_f64 v[26:27], s[20:21], v[26:27], v[28:29]
	v_add_f64 v[19:20], v[30:31], v[19:20]
	v_add_f64 v[21:22], v[21:22], v[26:27]
	v_add_co_u32 v26, s0, v24, v3
	v_add_co_ci_u32_e64 v27, null, v25, v4, s0
	flat_store_dwordx4 v[26:27], v[19:22]
.LBB275_26:
	s_or_b32 exec_lo, exec_lo, s1
	v_add_co_u32 v5, s0, v5, 16
	v_add_co_ci_u32_e64 v6, null, 0, v6, s0
	v_cmp_gt_i64_e64 s0, s[36:37], v[5:6]
	s_and_saveexec_b32 s2, s0
	s_cbranch_execz .LBB275_28
; %bb.27:
	v_add_co_u32 v5, s1, v0, v3
	v_add_co_ci_u32_e64 v6, null, v23, v4, s1
	flat_load_dwordx4 v[19:22], v[5:6] offset:256
	v_mul_f64 v[5:6], s[44:45], v[17:18]
	v_mul_f64 v[17:18], s[42:43], v[17:18]
	v_fma_f64 v[5:6], s[42:43], v[15:16], -v[5:6]
	v_fma_f64 v[17:18], s[44:45], v[15:16], v[17:18]
	s_waitcnt vmcnt(0) lgkmcnt(0)
	v_mul_f64 v[26:27], s[20:21], v[21:22]
	v_mul_f64 v[21:22], s[18:19], v[21:22]
	v_fma_f64 v[15:16], s[18:19], v[19:20], -v[26:27]
	v_fma_f64 v[19:20], s[20:21], v[19:20], v[21:22]
	v_add_f64 v[15:16], v[5:6], v[15:16]
	v_add_f64 v[17:18], v[17:18], v[19:20]
	v_add_co_u32 v5, s1, v24, v3
	v_add_co_ci_u32_e64 v6, null, v25, v4, s1
	flat_store_dwordx4 v[5:6], v[15:18] offset:256
.LBB275_28:
	s_or_b32 exec_lo, exec_lo, s2
	v_add_co_u32 v1, s1, v1, 16
	v_add_co_ci_u32_e64 v2, null, 0, v2, s1
	v_cmp_gt_i64_e64 s1, s[38:39], v[1:2]
	s_and_b32 exec_lo, exec_lo, s1
	s_cbranch_execz .LBB275_33
; %bb.29:
	s_lshl_b64 s[2:3], s[24:25], 8
	v_add_co_u32 v0, s1, v0, s2
	v_add_co_ci_u32_e64 v1, null, s3, v23, s1
	s_lshl_b64 s[2:3], s[30:31], 8
	v_add_co_u32 v2, s1, v24, s2
	v_add_co_ci_u32_e64 v15, null, s3, v25, s1
	v_add_co_u32 v5, s1, v0, v3
	v_add_co_ci_u32_e64 v6, null, v1, v4, s1
	;; [unrolled: 2-line block ×3, first 2 shown]
	s_and_saveexec_b32 s1, vcc_lo
	s_cbranch_execz .LBB275_31
; %bb.30:
	flat_load_dwordx4 v[15:18], v[5:6]
	v_mul_f64 v[2:3], s[44:45], v[13:14]
	v_mul_f64 v[13:14], s[42:43], v[13:14]
	v_fma_f64 v[2:3], s[42:43], v[11:12], -v[2:3]
	v_fma_f64 v[13:14], s[44:45], v[11:12], v[13:14]
	s_waitcnt vmcnt(0) lgkmcnt(0)
	v_mul_f64 v[19:20], s[20:21], v[17:18]
	v_mul_f64 v[17:18], s[18:19], v[17:18]
	v_fma_f64 v[11:12], s[18:19], v[15:16], -v[19:20]
	v_fma_f64 v[15:16], s[20:21], v[15:16], v[17:18]
	v_add_f64 v[11:12], v[2:3], v[11:12]
	v_add_f64 v[13:14], v[13:14], v[15:16]
	flat_store_dwordx4 v[0:1], v[11:14]
.LBB275_31:
	s_or_b32 exec_lo, exec_lo, s1
	s_and_b32 exec_lo, exec_lo, s0
	s_cbranch_execz .LBB275_33
; %bb.32:
	flat_load_dwordx4 v[2:5], v[5:6] offset:256
	v_mul_f64 v[11:12], s[44:45], v[9:10]
	v_mul_f64 v[9:10], s[42:43], v[9:10]
	v_fma_f64 v[11:12], s[42:43], v[7:8], -v[11:12]
	v_fma_f64 v[6:7], s[44:45], v[7:8], v[9:10]
	s_waitcnt vmcnt(0) lgkmcnt(0)
	v_mul_f64 v[13:14], s[20:21], v[4:5]
	v_mul_f64 v[4:5], s[18:19], v[4:5]
	v_fma_f64 v[8:9], s[18:19], v[2:3], -v[13:14]
	v_fma_f64 v[4:5], s[20:21], v[2:3], v[4:5]
	v_add_f64 v[2:3], v[11:12], v[8:9]
	v_add_f64 v[4:5], v[6:7], v[4:5]
	flat_store_dwordx4 v[0:1], v[2:5] offset:256
.LBB275_33:
	s_endpgm
	.section	.rodata,"a",@progbits
	.p2align	6, 0x0
	.amdhsa_kernel _ZN12_GLOBAL__N_135rocblas_gemm_batched_general_kernelI19rocblas_complex_numIdELi16ELi16ELi32ELi32ELi8ELi32ELi8ELi8ELi32ELc67ELc84EKPKS2_S5_KPS2_EEvlllT_PT11_llSA_llS8_PT12_llPT13_lli
		.amdhsa_group_segment_fixed_size 8192
		.amdhsa_private_segment_fixed_size 0
		.amdhsa_kernarg_size 156
		.amdhsa_user_sgpr_count 6
		.amdhsa_user_sgpr_private_segment_buffer 1
		.amdhsa_user_sgpr_dispatch_ptr 0
		.amdhsa_user_sgpr_queue_ptr 0
		.amdhsa_user_sgpr_kernarg_segment_ptr 1
		.amdhsa_user_sgpr_dispatch_id 0
		.amdhsa_user_sgpr_flat_scratch_init 0
		.amdhsa_user_sgpr_private_segment_size 0
		.amdhsa_wavefront_size32 1
		.amdhsa_uses_dynamic_stack 0
		.amdhsa_system_sgpr_private_segment_wavefront_offset 0
		.amdhsa_system_sgpr_workgroup_id_x 1
		.amdhsa_system_sgpr_workgroup_id_y 1
		.amdhsa_system_sgpr_workgroup_id_z 1
		.amdhsa_system_sgpr_workgroup_info 0
		.amdhsa_system_vgpr_workitem_id 1
		.amdhsa_next_free_vgpr 127
		.amdhsa_next_free_sgpr 52
		.amdhsa_reserve_vcc 1
		.amdhsa_reserve_flat_scratch 0
		.amdhsa_float_round_mode_32 0
		.amdhsa_float_round_mode_16_64 0
		.amdhsa_float_denorm_mode_32 3
		.amdhsa_float_denorm_mode_16_64 3
		.amdhsa_dx10_clamp 1
		.amdhsa_ieee_mode 1
		.amdhsa_fp16_overflow 0
		.amdhsa_workgroup_processor_mode 1
		.amdhsa_memory_ordered 1
		.amdhsa_forward_progress 1
		.amdhsa_shared_vgpr_count 0
		.amdhsa_exception_fp_ieee_invalid_op 0
		.amdhsa_exception_fp_denorm_src 0
		.amdhsa_exception_fp_ieee_div_zero 0
		.amdhsa_exception_fp_ieee_overflow 0
		.amdhsa_exception_fp_ieee_underflow 0
		.amdhsa_exception_fp_ieee_inexact 0
		.amdhsa_exception_int_div_zero 0
	.end_amdhsa_kernel
	.section	.text._ZN12_GLOBAL__N_135rocblas_gemm_batched_general_kernelI19rocblas_complex_numIdELi16ELi16ELi32ELi32ELi8ELi32ELi8ELi8ELi32ELc67ELc84EKPKS2_S5_KPS2_EEvlllT_PT11_llSA_llS8_PT12_llPT13_lli,"axG",@progbits,_ZN12_GLOBAL__N_135rocblas_gemm_batched_general_kernelI19rocblas_complex_numIdELi16ELi16ELi32ELi32ELi8ELi32ELi8ELi8ELi32ELc67ELc84EKPKS2_S5_KPS2_EEvlllT_PT11_llSA_llS8_PT12_llPT13_lli,comdat
.Lfunc_end275:
	.size	_ZN12_GLOBAL__N_135rocblas_gemm_batched_general_kernelI19rocblas_complex_numIdELi16ELi16ELi32ELi32ELi8ELi32ELi8ELi8ELi32ELc67ELc84EKPKS2_S5_KPS2_EEvlllT_PT11_llSA_llS8_PT12_llPT13_lli, .Lfunc_end275-_ZN12_GLOBAL__N_135rocblas_gemm_batched_general_kernelI19rocblas_complex_numIdELi16ELi16ELi32ELi32ELi8ELi32ELi8ELi8ELi32ELc67ELc84EKPKS2_S5_KPS2_EEvlllT_PT11_llSA_llS8_PT12_llPT13_lli
                                        ; -- End function
	.set _ZN12_GLOBAL__N_135rocblas_gemm_batched_general_kernelI19rocblas_complex_numIdELi16ELi16ELi32ELi32ELi8ELi32ELi8ELi8ELi32ELc67ELc84EKPKS2_S5_KPS2_EEvlllT_PT11_llSA_llS8_PT12_llPT13_lli.num_vgpr, 127
	.set _ZN12_GLOBAL__N_135rocblas_gemm_batched_general_kernelI19rocblas_complex_numIdELi16ELi16ELi32ELi32ELi8ELi32ELi8ELi8ELi32ELc67ELc84EKPKS2_S5_KPS2_EEvlllT_PT11_llSA_llS8_PT12_llPT13_lli.num_agpr, 0
	.set _ZN12_GLOBAL__N_135rocblas_gemm_batched_general_kernelI19rocblas_complex_numIdELi16ELi16ELi32ELi32ELi8ELi32ELi8ELi8ELi32ELc67ELc84EKPKS2_S5_KPS2_EEvlllT_PT11_llSA_llS8_PT12_llPT13_lli.numbered_sgpr, 52
	.set _ZN12_GLOBAL__N_135rocblas_gemm_batched_general_kernelI19rocblas_complex_numIdELi16ELi16ELi32ELi32ELi8ELi32ELi8ELi8ELi32ELc67ELc84EKPKS2_S5_KPS2_EEvlllT_PT11_llSA_llS8_PT12_llPT13_lli.num_named_barrier, 0
	.set _ZN12_GLOBAL__N_135rocblas_gemm_batched_general_kernelI19rocblas_complex_numIdELi16ELi16ELi32ELi32ELi8ELi32ELi8ELi8ELi32ELc67ELc84EKPKS2_S5_KPS2_EEvlllT_PT11_llSA_llS8_PT12_llPT13_lli.private_seg_size, 0
	.set _ZN12_GLOBAL__N_135rocblas_gemm_batched_general_kernelI19rocblas_complex_numIdELi16ELi16ELi32ELi32ELi8ELi32ELi8ELi8ELi32ELc67ELc84EKPKS2_S5_KPS2_EEvlllT_PT11_llSA_llS8_PT12_llPT13_lli.uses_vcc, 1
	.set _ZN12_GLOBAL__N_135rocblas_gemm_batched_general_kernelI19rocblas_complex_numIdELi16ELi16ELi32ELi32ELi8ELi32ELi8ELi8ELi32ELc67ELc84EKPKS2_S5_KPS2_EEvlllT_PT11_llSA_llS8_PT12_llPT13_lli.uses_flat_scratch, 0
	.set _ZN12_GLOBAL__N_135rocblas_gemm_batched_general_kernelI19rocblas_complex_numIdELi16ELi16ELi32ELi32ELi8ELi32ELi8ELi8ELi32ELc67ELc84EKPKS2_S5_KPS2_EEvlllT_PT11_llSA_llS8_PT12_llPT13_lli.has_dyn_sized_stack, 0
	.set _ZN12_GLOBAL__N_135rocblas_gemm_batched_general_kernelI19rocblas_complex_numIdELi16ELi16ELi32ELi32ELi8ELi32ELi8ELi8ELi32ELc67ELc84EKPKS2_S5_KPS2_EEvlllT_PT11_llSA_llS8_PT12_llPT13_lli.has_recursion, 0
	.set _ZN12_GLOBAL__N_135rocblas_gemm_batched_general_kernelI19rocblas_complex_numIdELi16ELi16ELi32ELi32ELi8ELi32ELi8ELi8ELi32ELc67ELc84EKPKS2_S5_KPS2_EEvlllT_PT11_llSA_llS8_PT12_llPT13_lli.has_indirect_call, 0
	.section	.AMDGPU.csdata,"",@progbits
; Kernel info:
; codeLenInByte = 4052
; TotalNumSgprs: 54
; NumVgprs: 127
; ScratchSize: 0
; MemoryBound: 1
; FloatMode: 240
; IeeeMode: 1
; LDSByteSize: 8192 bytes/workgroup (compile time only)
; SGPRBlocks: 0
; VGPRBlocks: 15
; NumSGPRsForWavesPerEU: 54
; NumVGPRsForWavesPerEU: 127
; Occupancy: 8
; WaveLimiterHint : 1
; COMPUTE_PGM_RSRC2:SCRATCH_EN: 0
; COMPUTE_PGM_RSRC2:USER_SGPR: 6
; COMPUTE_PGM_RSRC2:TRAP_HANDLER: 0
; COMPUTE_PGM_RSRC2:TGID_X_EN: 1
; COMPUTE_PGM_RSRC2:TGID_Y_EN: 1
; COMPUTE_PGM_RSRC2:TGID_Z_EN: 1
; COMPUTE_PGM_RSRC2:TIDIG_COMP_CNT: 1
	.section	.text._ZN12_GLOBAL__N_135rocblas_gemm_batched_general_kernelI19rocblas_complex_numIdELi16ELi16ELi32ELi32ELi8ELi32ELi8ELi8ELi32ELc78ELc67EKPKS2_S5_KPS2_EEvlllT_PT11_llSA_llS8_PT12_llPT13_lli,"axG",@progbits,_ZN12_GLOBAL__N_135rocblas_gemm_batched_general_kernelI19rocblas_complex_numIdELi16ELi16ELi32ELi32ELi8ELi32ELi8ELi8ELi32ELc78ELc67EKPKS2_S5_KPS2_EEvlllT_PT11_llSA_llS8_PT12_llPT13_lli,comdat
	.globl	_ZN12_GLOBAL__N_135rocblas_gemm_batched_general_kernelI19rocblas_complex_numIdELi16ELi16ELi32ELi32ELi8ELi32ELi8ELi8ELi32ELc78ELc67EKPKS2_S5_KPS2_EEvlllT_PT11_llSA_llS8_PT12_llPT13_lli ; -- Begin function _ZN12_GLOBAL__N_135rocblas_gemm_batched_general_kernelI19rocblas_complex_numIdELi16ELi16ELi32ELi32ELi8ELi32ELi8ELi8ELi32ELc78ELc67EKPKS2_S5_KPS2_EEvlllT_PT11_llSA_llS8_PT12_llPT13_lli
	.p2align	8
	.type	_ZN12_GLOBAL__N_135rocblas_gemm_batched_general_kernelI19rocblas_complex_numIdELi16ELi16ELi32ELi32ELi8ELi32ELi8ELi8ELi32ELc78ELc67EKPKS2_S5_KPS2_EEvlllT_PT11_llSA_llS8_PT12_llPT13_lli,@function
_ZN12_GLOBAL__N_135rocblas_gemm_batched_general_kernelI19rocblas_complex_numIdELi16ELi16ELi32ELi32ELi8ELi32ELi8ELi8ELi32ELc78ELc67EKPKS2_S5_KPS2_EEvlllT_PT11_llSA_llS8_PT12_llPT13_lli: ; @_ZN12_GLOBAL__N_135rocblas_gemm_batched_general_kernelI19rocblas_complex_numIdELi16ELi16ELi32ELi32ELi8ELi32ELi8ELi8ELi32ELc78ELc67EKPKS2_S5_KPS2_EEvlllT_PT11_llSA_llS8_PT12_llPT13_lli
; %bb.0:
	s_clause 0x2
	s_load_dwordx16 s[12:27], s[4:5], 0x40
	s_load_dwordx4 s[28:31], s[4:5], 0x80
	s_load_dwordx16 s[36:51], s[4:5], 0x0
	s_mov_b32 s9, 0
	s_load_dwordx2 s[2:3], s[4:5], 0x90
	s_lshl_b64 s[0:1], s[8:9], 3
	s_mov_b32 s34, s7
	v_mov_b32_e32 v2, 0
	s_waitcnt lgkmcnt(0)
	s_add_u32 s4, s22, s0
	s_addc_u32 s5, s23, s1
	s_add_u32 s8, s28, s0
	s_addc_u32 s9, s29, s1
	s_load_dwordx2 s[4:5], s[4:5], 0x0
	s_load_dwordx2 s[10:11], s[8:9], 0x0
	v_cmp_lt_i64_e64 s22, s[40:41], 1
	s_ashr_i32 s7, s6, 31
	s_ashr_i32 s35, s34, 31
	s_lshl_b64 s[8:9], s[6:7], 5
	s_and_b32 vcc_lo, exec_lo, s22
	s_lshl_b64 s[22:23], s[34:35], 5
	s_cbranch_vccnz .LBB276_9
; %bb.1:
	v_lshl_add_u32 v5, v1, 4, v0
	v_and_b32_e32 v27, 7, v0
	s_add_u32 s12, s12, s0
	s_addc_u32 s13, s13, s1
	s_add_u32 s0, s46, s0
	v_lshrrev_b32_e32 v12, 3, v5
	v_mad_u64_u32 v[3:4], null, s14, v27, 0
	s_addc_u32 s1, s47, s1
	v_lshrrev_b32_e32 v28, 5, v5
	s_load_dwordx2 s[12:13], s[12:13], 0x0
	s_load_dwordx2 s[28:29], s[0:1], 0x0
	v_and_b32_e32 v11, 31, v5
	v_add_co_u32 v5, s0, v12, s22
	v_add_co_ci_u32_e64 v6, null, 0, s23, s0
	v_or_b32_e32 v7, s8, v11
	v_mad_u64_u32 v[9:10], null, s15, v27, v[4:5]
	v_lshlrev_b32_e32 v14, 4, v11
	v_mad_u64_u32 v[10:11], null, s48, v28, 0
	v_cmp_gt_i64_e64 s0, s[38:39], v[5:6]
	s_lshl_b64 s[34:35], s[34:35], 9
	s_lshl_b64 s[16:17], s[16:17], 4
	v_mov_b32_e32 v4, v9
	s_add_u32 s1, s16, s34
	s_addc_u32 s16, s17, s35
	v_mov_b32_e32 v5, v11
	s_lshl_b64 s[34:35], s[50:51], 4
	v_lshlrev_b64 v[3:4], 4, v[3:4]
	v_lshlrev_b32_e32 v13, 4, v27
	v_mov_b32_e32 v8, s9
	v_mad_u64_u32 v[5:6], null, s49, v28, v[5:6]
	v_lshlrev_b32_e32 v6, 4, v12
	v_add_co_u32 v3, s1, s1, v3
	v_add_co_ci_u32_e64 v4, null, s16, v4, s1
	s_lshl_b64 s[16:17], s[6:7], 9
	v_mov_b32_e32 v11, v5
	v_add_co_u32 v5, s1, v3, v6
	v_add_co_ci_u32_e64 v6, null, 0, v4, s1
	v_lshlrev_b64 v[3:4], 4, v[10:11]
	s_lshl_b64 s[6:7], s[14:15], 7
	s_add_u32 s1, s34, s16
	s_addc_u32 s14, s35, s17
	v_lshl_or_b32 v13, v12, 7, v13
	v_cmp_gt_i64_e32 vcc_lo, s[36:37], v[7:8]
	v_add_co_u32 v3, s1, s1, v3
	v_add_co_ci_u32_e64 v4, null, s14, v4, s1
	s_waitcnt lgkmcnt(0)
	v_add_co_u32 v23, s1, s12, v5
	v_add_co_ci_u32_e64 v24, null, s13, v6, s1
	v_add_co_u32 v3, s1, v3, v14
	v_add_co_ci_u32_e64 v4, null, 0, v4, s1
	v_lshl_or_b32 v29, v28, 9, v14
	v_add_co_u32 v25, s1, s28, v3
	v_add_nc_u32_e32 v30, 0x1000, v13
	v_mov_b32_e32 v9, 0
	v_mov_b32_e32 v7, 0
	;; [unrolled: 1-line block ×8, first 2 shown]
	v_lshlrev_b32_e32 v31, 4, v0
	v_lshl_add_u32 v32, v1, 7, 0x1000
	v_mov_b32_e32 v10, 0
	v_mov_b32_e32 v8, 0
	;; [unrolled: 1-line block ×8, first 2 shown]
	v_add_co_ci_u32_e64 v26, null, s29, v4, s1
	s_lshl_b64 s[12:13], s[48:49], 7
	s_mov_b64 s[14:15], 0
	s_xor_b32 s1, vcc_lo, -1
	s_branch .LBB276_3
.LBB276_2:                              ;   in Loop: Header=BB276_3 Depth=1
	s_or_b32 exec_lo, exec_lo, s16
	ds_write_b128 v30, v[3:6]
	s_waitcnt lgkmcnt(0)
	s_barrier
	buffer_gl0_inv
	ds_read_b128 v[3:6], v32
	ds_read_b128 v[33:36], v31
	ds_read_b128 v[37:40], v31 offset:256
	ds_read_b128 v[41:44], v32 offset:2048
	ds_read_b128 v[45:48], v32 offset:16
	ds_read_b128 v[49:52], v31 offset:512
	ds_read_b128 v[53:56], v31 offset:768
	ds_read_b128 v[57:60], v32 offset:2064
	ds_read_b128 v[61:64], v32 offset:32
	ds_read_b128 v[65:68], v31 offset:1024
	ds_read_b128 v[69:72], v31 offset:1280
	ds_read_b128 v[73:76], v32 offset:2080
	ds_read_b128 v[77:80], v32 offset:48
	ds_read_b128 v[81:84], v32 offset:2096
	s_add_u32 s14, s14, 8
	s_addc_u32 s15, s15, 0
	v_add_co_u32 v23, vcc_lo, v23, s6
	v_cmp_lt_i64_e64 s16, s[14:15], s[40:41]
	v_add_co_ci_u32_e64 v24, null, s7, v24, vcc_lo
	s_waitcnt lgkmcnt(12)
	v_mul_f64 v[85:86], v[5:6], v[35:36]
	v_mul_f64 v[87:88], v[3:4], v[35:36]
	s_waitcnt lgkmcnt(11)
	v_mul_f64 v[89:90], v[5:6], v[39:40]
	v_mul_f64 v[91:92], v[3:4], v[39:40]
	;; [unrolled: 3-line block ×3, first 2 shown]
	v_mul_f64 v[95:96], v[43:44], v[39:40]
	v_mul_f64 v[39:40], v[41:42], v[39:40]
	s_waitcnt lgkmcnt(8)
	v_mul_f64 v[97:98], v[47:48], v[51:52]
	v_mul_f64 v[99:100], v[45:46], v[51:52]
	s_waitcnt lgkmcnt(7)
	;; [unrolled: 3-line block ×3, first 2 shown]
	v_mul_f64 v[105:106], v[59:60], v[51:52]
	v_mul_f64 v[51:52], v[57:58], v[51:52]
	;; [unrolled: 1-line block ×4, first 2 shown]
	s_waitcnt lgkmcnt(4)
	v_mul_f64 v[109:110], v[63:64], v[67:68]
	v_mul_f64 v[111:112], v[61:62], v[67:68]
	s_waitcnt lgkmcnt(3)
	v_mul_f64 v[113:114], v[63:64], v[71:72]
	v_mul_f64 v[115:116], v[61:62], v[71:72]
	s_waitcnt lgkmcnt(2)
	v_mul_f64 v[117:118], v[75:76], v[67:68]
	v_mul_f64 v[67:68], v[73:74], v[67:68]
	v_fma_f64 v[85:86], v[3:4], v[33:34], -v[85:86]
	v_fma_f64 v[87:88], v[5:6], v[33:34], v[87:88]
	v_fma_f64 v[89:90], v[3:4], v[37:38], -v[89:90]
	v_fma_f64 v[91:92], v[5:6], v[37:38], v[91:92]
	;; [unrolled: 2-line block ×4, first 2 shown]
	v_mul_f64 v[123:124], v[75:76], v[71:72]
	v_mul_f64 v[71:72], v[73:74], v[71:72]
	ds_read_b128 v[3:6], v31 offset:1536
	ds_read_b128 v[33:36], v31 offset:1792
	v_fma_f64 v[97:98], v[45:46], v[49:50], -v[97:98]
	v_fma_f64 v[99:100], v[47:48], v[49:50], v[99:100]
	v_fma_f64 v[101:102], v[45:46], v[53:54], -v[101:102]
	v_fma_f64 v[103:104], v[47:48], v[53:54], v[103:104]
	;; [unrolled: 2-line block ×7, first 2 shown]
	v_add_f64 v[19:20], v[19:20], v[85:86]
	v_add_f64 v[21:22], v[87:88], v[21:22]
	;; [unrolled: 1-line block ×4, first 2 shown]
	s_waitcnt lgkmcnt(1)
	v_mul_f64 v[109:110], v[79:80], v[5:6]
	s_waitcnt lgkmcnt(0)
	v_mul_f64 v[67:68], v[79:80], v[35:36]
	v_fma_f64 v[73:74], v[73:74], v[69:70], -v[123:124]
	v_fma_f64 v[69:70], v[75:76], v[69:70], v[71:72]
	v_add_f64 v[71:72], v[11:12], v[93:94]
	v_add_f64 v[13:14], v[119:120], v[13:14]
	;; [unrolled: 1-line block ×4, first 2 shown]
	ds_read_b128 v[37:40], v32 offset:64
	ds_read_b128 v[41:44], v31 offset:2048
	;; [unrolled: 1-line block ×3, first 2 shown]
	v_mul_f64 v[111:112], v[77:78], v[5:6]
	v_mul_f64 v[113:114], v[77:78], v[35:36]
	;; [unrolled: 1-line block ×6, first 2 shown]
	ds_read_b128 v[49:52], v32 offset:2112
	ds_read_b128 v[9:12], v32 offset:2128
	v_add_f64 v[97:98], v[19:20], v[97:98]
	v_add_f64 v[21:22], v[99:100], v[21:22]
	;; [unrolled: 1-line block ×4, first 2 shown]
	v_fma_f64 v[89:90], v[77:78], v[3:4], -v[109:110]
	v_fma_f64 v[67:68], v[77:78], v[33:34], -v[67:68]
	ds_read_b128 v[5:8], v32 offset:80
	ds_read_b128 v[17:20], v31 offset:2816
	v_add_f64 v[71:72], v[71:72], v[105:106]
	v_add_f64 v[103:104], v[125:126], v[13:14]
	s_waitcnt lgkmcnt(5)
	v_mul_f64 v[77:78], v[39:40], v[43:44]
	v_mul_f64 v[93:94], v[37:38], v[43:44]
	v_add_f64 v[57:58], v[75:76], v[57:58]
	v_add_f64 v[53:54], v[53:54], v[85:86]
	ds_read_b128 v[13:16], v31 offset:2560
	s_waitcnt lgkmcnt(5)
	v_mul_f64 v[95:96], v[39:40], v[47:48]
	v_mul_f64 v[109:110], v[37:38], v[47:48]
	v_fma_f64 v[91:92], v[79:80], v[3:4], v[111:112]
	v_fma_f64 v[79:80], v[79:80], v[33:34], v[113:114]
	s_waitcnt lgkmcnt(4)
	v_mul_f64 v[111:112], v[51:52], v[43:44]
	v_mul_f64 v[43:44], v[49:50], v[43:44]
	v_fma_f64 v[75:76], v[81:82], v[3:4], -v[115:116]
	v_fma_f64 v[3:4], v[83:84], v[3:4], v[117:118]
	v_fma_f64 v[81:82], v[81:82], v[33:34], -v[87:88]
	v_fma_f64 v[83:84], v[83:84], v[33:34], v[35:36]
	v_add_f64 v[55:56], v[97:98], v[55:56]
	v_add_f64 v[59:60], v[59:60], v[21:22]
	;; [unrolled: 1-line block ×4, first 2 shown]
	s_waitcnt lgkmcnt(1)
	v_mul_f64 v[97:98], v[7:8], v[19:20]
	v_add_f64 v[71:72], v[71:72], v[107:108]
	v_add_f64 v[65:66], v[65:66], v[103:104]
	v_fma_f64 v[77:78], v[37:38], v[41:42], -v[77:78]
	v_fma_f64 v[85:86], v[39:40], v[41:42], v[93:94]
	v_add_f64 v[57:58], v[57:58], v[73:74]
	v_add_f64 v[53:54], v[69:70], v[53:54]
	s_waitcnt lgkmcnt(0)
	v_mul_f64 v[69:70], v[7:8], v[15:16]
	v_fma_f64 v[87:88], v[37:38], v[45:46], -v[95:96]
	v_fma_f64 v[93:94], v[39:40], v[45:46], v[109:110]
	v_mul_f64 v[37:38], v[51:52], v[47:48]
	v_mul_f64 v[39:40], v[49:50], v[47:48]
	v_fma_f64 v[47:48], v[49:50], v[41:42], -v[111:112]
	v_fma_f64 v[95:96], v[51:52], v[41:42], v[43:44]
	v_mul_f64 v[73:74], v[5:6], v[15:16]
	v_mul_f64 v[99:100], v[5:6], v[19:20]
	;; [unrolled: 1-line block ×6, first 2 shown]
	ds_read_b128 v[19:22], v32 offset:96
	ds_read_b128 v[33:36], v31 offset:3072
	v_add_co_u32 v25, vcc_lo, v25, s12
	v_add_co_ci_u32_e64 v26, null, s13, v26, vcc_lo
	v_add_f64 v[65:66], v[3:4], v[65:66]
	s_and_b32 vcc_lo, exec_lo, s16
	v_add_f64 v[57:58], v[57:58], v[81:82]
	v_add_f64 v[53:54], v[83:84], v[53:54]
	v_fma_f64 v[49:50], v[49:50], v[45:46], -v[37:38]
	v_fma_f64 v[45:46], v[51:52], v[45:46], v[39:40]
	v_add_f64 v[51:52], v[55:56], v[89:90]
	v_add_f64 v[55:56], v[91:92], v[59:60]
	;; [unrolled: 1-line block ×5, first 2 shown]
	ds_read_b128 v[37:40], v31 offset:3328
	ds_read_b128 v[41:44], v32 offset:2144
	v_fma_f64 v[67:68], v[5:6], v[13:14], -v[69:70]
	v_fma_f64 v[69:70], v[7:8], v[13:14], v[73:74]
	v_fma_f64 v[71:72], v[5:6], v[17:18], -v[97:98]
	v_fma_f64 v[73:74], v[7:8], v[17:18], v[99:100]
	;; [unrolled: 2-line block ×3, first 2 shown]
	v_fma_f64 v[81:82], v[9:10], v[17:18], -v[103:104]
	s_waitcnt lgkmcnt(2)
	v_mul_f64 v[83:84], v[21:22], v[35:36]
	v_fma_f64 v[89:90], v[11:12], v[17:18], v[105:106]
	v_mul_f64 v[91:92], v[19:20], v[35:36]
	ds_read_b128 v[3:6], v32 offset:112
	ds_read_b128 v[7:10], v32 offset:2160
	;; [unrolled: 1-line block ×4, first 2 shown]
	s_waitcnt lgkmcnt(0)
	v_add_f64 v[49:50], v[57:58], v[49:50]
	v_add_f64 v[45:46], v[45:46], v[53:54]
	;; [unrolled: 1-line block ×4, first 2 shown]
	v_mul_f64 v[97:98], v[21:22], v[39:40]
	v_mul_f64 v[99:100], v[19:20], v[39:40]
	;; [unrolled: 1-line block ×4, first 2 shown]
	v_add_f64 v[59:60], v[59:60], v[87:88]
	v_add_f64 v[61:62], v[93:94], v[61:62]
	;; [unrolled: 1-line block ×4, first 2 shown]
	v_mul_f64 v[53:54], v[43:44], v[39:40]
	v_mul_f64 v[39:40], v[41:42], v[39:40]
	s_barrier
	v_fma_f64 v[57:58], v[19:20], v[33:34], -v[83:84]
	buffer_gl0_inv
	v_fma_f64 v[65:66], v[21:22], v[33:34], v[91:92]
	v_add_f64 v[49:50], v[49:50], v[81:82]
	v_add_f64 v[45:46], v[89:90], v[45:46]
	v_fma_f64 v[19:20], v[19:20], v[37:38], -v[97:98]
	v_fma_f64 v[21:22], v[21:22], v[37:38], v[99:100]
	v_fma_f64 v[77:78], v[41:42], v[33:34], -v[101:102]
	v_fma_f64 v[33:34], v[43:44], v[33:34], v[35:36]
	v_add_f64 v[35:36], v[51:52], v[67:68]
	v_add_f64 v[51:52], v[69:70], v[55:56]
	v_add_f64 v[55:56], v[59:60], v[71:72]
	v_add_f64 v[59:60], v[73:74], v[61:62]
	v_add_f64 v[47:48], v[47:48], v[75:76]
	v_add_f64 v[61:62], v[79:80], v[63:64]
	v_fma_f64 v[41:42], v[41:42], v[37:38], -v[53:54]
	v_fma_f64 v[37:38], v[43:44], v[37:38], v[39:40]
	v_mul_f64 v[39:40], v[5:6], v[13:14]
	v_mul_f64 v[43:44], v[3:4], v[13:14]
	;; [unrolled: 1-line block ×8, first 2 shown]
	v_add_f64 v[35:36], v[35:36], v[57:58]
	v_add_f64 v[51:52], v[65:66], v[51:52]
	v_add_f64 v[55:56], v[55:56], v[19:20]
	v_add_f64 v[57:58], v[21:22], v[59:60]
	v_add_f64 v[47:48], v[47:48], v[77:78]
	v_add_f64 v[33:34], v[33:34], v[61:62]
	v_add_f64 v[41:42], v[49:50], v[41:42]
	v_add_f64 v[37:38], v[37:38], v[45:46]
	v_fma_f64 v[19:20], v[3:4], v[11:12], -v[39:40]
	v_fma_f64 v[21:22], v[5:6], v[11:12], v[43:44]
	v_fma_f64 v[3:4], v[3:4], v[15:16], -v[53:54]
	v_fma_f64 v[5:6], v[5:6], v[15:16], v[63:64]
	;; [unrolled: 2-line block ×4, first 2 shown]
	v_add_f64 v[19:20], v[35:36], v[19:20]
	v_add_f64 v[21:22], v[21:22], v[51:52]
	;; [unrolled: 1-line block ×8, first 2 shown]
	s_cbranch_vccz .LBB276_10
.LBB276_3:                              ; =>This Inner Loop Header: Depth=1
	v_add_co_u32 v3, s16, v28, s14
	v_add_co_ci_u32_e64 v4, null, 0, s15, s16
	v_cmp_le_i64_e32 vcc_lo, s[40:41], v[3:4]
	s_or_b32 s16, s1, vcc_lo
	s_and_saveexec_b32 s17, s16
	s_xor_b32 s16, exec_lo, s17
	s_cbranch_execz .LBB276_5
; %bb.4:                                ;   in Loop: Header=BB276_3 Depth=1
	v_mov_b32_e32 v3, v2
	v_mov_b32_e32 v4, v2
	v_mov_b32_e32 v5, v2
	ds_write_b128 v29, v[2:5]
.LBB276_5:                              ;   in Loop: Header=BB276_3 Depth=1
	s_andn2_saveexec_b32 s16, s16
	s_cbranch_execz .LBB276_7
; %bb.6:                                ;   in Loop: Header=BB276_3 Depth=1
	flat_load_dwordx4 v[3:6], v[25:26]
	s_waitcnt vmcnt(0) lgkmcnt(0)
	ds_write2_b64 v29, v[3:4], v[5:6] offset1:1
.LBB276_7:                              ;   in Loop: Header=BB276_3 Depth=1
	s_or_b32 exec_lo, exec_lo, s16
	v_add_co_u32 v3, s16, v27, s14
	v_add_co_ci_u32_e64 v4, null, 0, s15, s16
	v_mov_b32_e32 v5, 0
	v_mov_b32_e32 v6, 0
	v_cmp_gt_i64_e32 vcc_lo, s[40:41], v[3:4]
	v_mov_b32_e32 v3, 0
	v_mov_b32_e32 v4, 0
	s_and_b32 s17, vcc_lo, s0
	s_and_saveexec_b32 s16, s17
	s_cbranch_execz .LBB276_2
; %bb.8:                                ;   in Loop: Header=BB276_3 Depth=1
	flat_load_dwordx4 v[3:6], v[23:24]
	s_waitcnt vmcnt(0) lgkmcnt(0)
	v_xor_b32_e32 v6, 0x80000000, v6
	s_branch .LBB276_2
.LBB276_9:
	v_mov_b32_e32 v19, 0
	v_mov_b32_e32 v21, 0
	;; [unrolled: 1-line block ×16, first 2 shown]
.LBB276_10:
	v_cmp_neq_f64_e64 s7, s[18:19], 0
	v_cmp_neq_f64_e64 s12, s[20:21], 0
	s_lshl_b64 s[0:1], s[2:3], 4
	v_add_co_u32 v1, s2, s22, v1
	v_add_co_ci_u32_e64 v2, null, s23, 0, s2
	s_waitcnt lgkmcnt(0)
	s_add_u32 s3, s10, s0
	s_addc_u32 s6, s11, s1
	v_cmp_gt_i64_e64 s0, s[38:39], v[1:2]
	s_or_b32 s1, s7, s12
	s_and_b32 vcc_lo, exec_lo, s1
	s_mov_b32 s1, -1
	s_cbranch_vccnz .LBB276_22
; %bb.11:
	s_and_saveexec_b32 s7, s0
	s_cbranch_execz .LBB276_21
; %bb.12:
	v_mul_lo_u32 v5, v2, s30
	v_mul_lo_u32 v6, v1, s31
	v_mad_u64_u32 v[3:4], null, v1, s30, 0
	v_add3_u32 v4, v4, v6, v5
	v_add_co_u32 v5, s1, s8, v0
	v_add_co_ci_u32_e64 v6, null, s9, 0, s1
	v_lshlrev_b64 v[23:24], 4, v[3:4]
	v_cmp_gt_i64_e32 vcc_lo, s[36:37], v[5:6]
	v_lshlrev_b64 v[3:4], 4, v[5:6]
	v_add_co_u32 v23, s1, s3, v23
	v_add_co_ci_u32_e64 v24, null, s6, v24, s1
	s_and_saveexec_b32 s2, vcc_lo
	s_cbranch_execz .LBB276_14
; %bb.13:
	v_mul_f64 v[25:26], s[44:45], v[21:22]
	v_mul_f64 v[27:28], s[42:43], v[21:22]
	v_add_co_u32 v29, s1, v23, v3
	v_add_co_ci_u32_e64 v30, null, v24, v4, s1
	v_fma_f64 v[25:26], s[42:43], v[19:20], -v[25:26]
	v_fma_f64 v[27:28], s[44:45], v[19:20], v[27:28]
	flat_store_dwordx4 v[29:30], v[25:28]
.LBB276_14:
	s_or_b32 exec_lo, exec_lo, s2
	v_add_co_u32 v5, s1, v5, 16
	v_add_co_ci_u32_e64 v6, null, 0, v6, s1
	v_cmp_gt_i64_e64 s1, s[36:37], v[5:6]
	s_and_saveexec_b32 s10, s1
	s_cbranch_execz .LBB276_16
; %bb.15:
	v_mul_f64 v[5:6], s[44:45], v[17:18]
	v_mul_f64 v[27:28], s[42:43], v[17:18]
	v_fma_f64 v[25:26], s[42:43], v[15:16], -v[5:6]
	v_fma_f64 v[27:28], s[44:45], v[15:16], v[27:28]
	v_add_co_u32 v5, s2, v23, v3
	v_add_co_ci_u32_e64 v6, null, v24, v4, s2
	flat_store_dwordx4 v[5:6], v[25:28] offset:256
.LBB276_16:
	s_or_b32 exec_lo, exec_lo, s10
	v_add_co_u32 v5, s2, v1, 16
	v_add_co_ci_u32_e64 v6, null, 0, v2, s2
	v_cmp_gt_i64_e64 s2, s[38:39], v[5:6]
	s_and_b32 exec_lo, exec_lo, s2
	s_cbranch_execz .LBB276_21
; %bb.17:
	s_lshl_b64 s[10:11], s[30:31], 8
	v_add_co_u32 v5, s2, v23, s10
	v_add_co_ci_u32_e64 v6, null, s11, v24, s2
	v_add_co_u32 v3, s2, v5, v3
	v_add_co_ci_u32_e64 v4, null, v6, v4, s2
	s_and_saveexec_b32 s2, vcc_lo
	s_cbranch_execz .LBB276_19
; %bb.18:
	v_mul_f64 v[5:6], s[44:45], v[13:14]
	v_mul_f64 v[25:26], s[42:43], v[13:14]
	v_fma_f64 v[23:24], s[42:43], v[11:12], -v[5:6]
	v_fma_f64 v[25:26], s[44:45], v[11:12], v[25:26]
	flat_store_dwordx4 v[3:4], v[23:26]
.LBB276_19:
	s_or_b32 exec_lo, exec_lo, s2
	s_and_b32 exec_lo, exec_lo, s1
	s_cbranch_execz .LBB276_21
; %bb.20:
	v_mul_f64 v[5:6], s[44:45], v[9:10]
	v_mul_f64 v[25:26], s[42:43], v[9:10]
	v_fma_f64 v[23:24], s[42:43], v[7:8], -v[5:6]
	v_fma_f64 v[25:26], s[44:45], v[7:8], v[25:26]
	flat_store_dwordx4 v[3:4], v[23:26] offset:256
.LBB276_21:
	s_or_b32 exec_lo, exec_lo, s7
	s_mov_b32 s1, 0
.LBB276_22:
	s_andn2_b32 vcc_lo, exec_lo, s1
	s_cbranch_vccnz .LBB276_33
; %bb.23:
	s_and_saveexec_b32 s1, s0
	s_cbranch_execz .LBB276_33
; %bb.24:
	v_mul_lo_u32 v5, v2, s24
	v_mul_lo_u32 v6, v1, s25
	v_mad_u64_u32 v[3:4], null, v1, s24, 0
	v_mul_lo_u32 v25, v2, s30
	v_mul_lo_u32 v26, v1, s31
	v_mad_u64_u32 v[23:24], null, v1, s30, 0
	s_lshl_b64 s[0:1], s[26:27], 4
	v_add3_u32 v4, v4, v6, v5
	v_add_co_u32 v5, s2, s8, v0
	v_add_co_ci_u32_e64 v6, null, s9, 0, s2
	v_add3_u32 v24, v24, v26, v25
	v_lshlrev_b64 v[3:4], 4, v[3:4]
	s_add_u32 s0, s4, s0
	s_addc_u32 s1, s5, s1
	v_cmp_gt_i64_e32 vcc_lo, s[36:37], v[5:6]
	v_lshlrev_b64 v[24:25], 4, v[23:24]
	v_add_co_u32 v0, s0, s0, v3
	v_add_co_ci_u32_e64 v23, null, s1, v4, s0
	v_add_co_u32 v24, s0, s3, v24
	v_lshlrev_b64 v[3:4], 4, v[5:6]
	v_add_co_ci_u32_e64 v25, null, s6, v25, s0
	s_and_saveexec_b32 s1, vcc_lo
	s_cbranch_execz .LBB276_26
; %bb.25:
	v_add_co_u32 v26, s0, v0, v3
	v_add_co_ci_u32_e64 v27, null, v23, v4, s0
	v_mul_f64 v[30:31], s[44:45], v[21:22]
	v_mul_f64 v[21:22], s[42:43], v[21:22]
	flat_load_dwordx4 v[26:29], v[26:27]
	v_fma_f64 v[30:31], s[42:43], v[19:20], -v[30:31]
	v_fma_f64 v[21:22], s[44:45], v[19:20], v[21:22]
	s_waitcnt vmcnt(0) lgkmcnt(0)
	v_mul_f64 v[32:33], s[20:21], v[28:29]
	v_mul_f64 v[28:29], s[18:19], v[28:29]
	v_fma_f64 v[19:20], s[18:19], v[26:27], -v[32:33]
	v_fma_f64 v[26:27], s[20:21], v[26:27], v[28:29]
	v_add_f64 v[19:20], v[30:31], v[19:20]
	v_add_f64 v[21:22], v[21:22], v[26:27]
	v_add_co_u32 v26, s0, v24, v3
	v_add_co_ci_u32_e64 v27, null, v25, v4, s0
	flat_store_dwordx4 v[26:27], v[19:22]
.LBB276_26:
	s_or_b32 exec_lo, exec_lo, s1
	v_add_co_u32 v5, s0, v5, 16
	v_add_co_ci_u32_e64 v6, null, 0, v6, s0
	v_cmp_gt_i64_e64 s0, s[36:37], v[5:6]
	s_and_saveexec_b32 s2, s0
	s_cbranch_execz .LBB276_28
; %bb.27:
	v_add_co_u32 v5, s1, v0, v3
	v_add_co_ci_u32_e64 v6, null, v23, v4, s1
	flat_load_dwordx4 v[19:22], v[5:6] offset:256
	v_mul_f64 v[5:6], s[44:45], v[17:18]
	v_mul_f64 v[17:18], s[42:43], v[17:18]
	v_fma_f64 v[5:6], s[42:43], v[15:16], -v[5:6]
	v_fma_f64 v[17:18], s[44:45], v[15:16], v[17:18]
	s_waitcnt vmcnt(0) lgkmcnt(0)
	v_mul_f64 v[26:27], s[20:21], v[21:22]
	v_mul_f64 v[21:22], s[18:19], v[21:22]
	v_fma_f64 v[15:16], s[18:19], v[19:20], -v[26:27]
	v_fma_f64 v[19:20], s[20:21], v[19:20], v[21:22]
	v_add_f64 v[15:16], v[5:6], v[15:16]
	v_add_f64 v[17:18], v[17:18], v[19:20]
	v_add_co_u32 v5, s1, v24, v3
	v_add_co_ci_u32_e64 v6, null, v25, v4, s1
	flat_store_dwordx4 v[5:6], v[15:18] offset:256
.LBB276_28:
	s_or_b32 exec_lo, exec_lo, s2
	v_add_co_u32 v1, s1, v1, 16
	v_add_co_ci_u32_e64 v2, null, 0, v2, s1
	v_cmp_gt_i64_e64 s1, s[38:39], v[1:2]
	s_and_b32 exec_lo, exec_lo, s1
	s_cbranch_execz .LBB276_33
; %bb.29:
	s_lshl_b64 s[2:3], s[24:25], 8
	v_add_co_u32 v0, s1, v0, s2
	v_add_co_ci_u32_e64 v1, null, s3, v23, s1
	s_lshl_b64 s[2:3], s[30:31], 8
	v_add_co_u32 v2, s1, v24, s2
	v_add_co_ci_u32_e64 v15, null, s3, v25, s1
	v_add_co_u32 v5, s1, v0, v3
	v_add_co_ci_u32_e64 v6, null, v1, v4, s1
	;; [unrolled: 2-line block ×3, first 2 shown]
	s_and_saveexec_b32 s1, vcc_lo
	s_cbranch_execz .LBB276_31
; %bb.30:
	flat_load_dwordx4 v[15:18], v[5:6]
	v_mul_f64 v[2:3], s[44:45], v[13:14]
	v_mul_f64 v[13:14], s[42:43], v[13:14]
	v_fma_f64 v[2:3], s[42:43], v[11:12], -v[2:3]
	v_fma_f64 v[13:14], s[44:45], v[11:12], v[13:14]
	s_waitcnt vmcnt(0) lgkmcnt(0)
	v_mul_f64 v[19:20], s[20:21], v[17:18]
	v_mul_f64 v[17:18], s[18:19], v[17:18]
	v_fma_f64 v[11:12], s[18:19], v[15:16], -v[19:20]
	v_fma_f64 v[15:16], s[20:21], v[15:16], v[17:18]
	v_add_f64 v[11:12], v[2:3], v[11:12]
	v_add_f64 v[13:14], v[13:14], v[15:16]
	flat_store_dwordx4 v[0:1], v[11:14]
.LBB276_31:
	s_or_b32 exec_lo, exec_lo, s1
	s_and_b32 exec_lo, exec_lo, s0
	s_cbranch_execz .LBB276_33
; %bb.32:
	flat_load_dwordx4 v[2:5], v[5:6] offset:256
	v_mul_f64 v[11:12], s[44:45], v[9:10]
	v_mul_f64 v[9:10], s[42:43], v[9:10]
	v_fma_f64 v[11:12], s[42:43], v[7:8], -v[11:12]
	v_fma_f64 v[6:7], s[44:45], v[7:8], v[9:10]
	s_waitcnt vmcnt(0) lgkmcnt(0)
	v_mul_f64 v[13:14], s[20:21], v[4:5]
	v_mul_f64 v[4:5], s[18:19], v[4:5]
	v_fma_f64 v[8:9], s[18:19], v[2:3], -v[13:14]
	v_fma_f64 v[4:5], s[20:21], v[2:3], v[4:5]
	v_add_f64 v[2:3], v[11:12], v[8:9]
	v_add_f64 v[4:5], v[6:7], v[4:5]
	flat_store_dwordx4 v[0:1], v[2:5] offset:256
.LBB276_33:
	s_endpgm
	.section	.rodata,"a",@progbits
	.p2align	6, 0x0
	.amdhsa_kernel _ZN12_GLOBAL__N_135rocblas_gemm_batched_general_kernelI19rocblas_complex_numIdELi16ELi16ELi32ELi32ELi8ELi32ELi8ELi8ELi32ELc78ELc67EKPKS2_S5_KPS2_EEvlllT_PT11_llSA_llS8_PT12_llPT13_lli
		.amdhsa_group_segment_fixed_size 8192
		.amdhsa_private_segment_fixed_size 0
		.amdhsa_kernarg_size 156
		.amdhsa_user_sgpr_count 6
		.amdhsa_user_sgpr_private_segment_buffer 1
		.amdhsa_user_sgpr_dispatch_ptr 0
		.amdhsa_user_sgpr_queue_ptr 0
		.amdhsa_user_sgpr_kernarg_segment_ptr 1
		.amdhsa_user_sgpr_dispatch_id 0
		.amdhsa_user_sgpr_flat_scratch_init 0
		.amdhsa_user_sgpr_private_segment_size 0
		.amdhsa_wavefront_size32 1
		.amdhsa_uses_dynamic_stack 0
		.amdhsa_system_sgpr_private_segment_wavefront_offset 0
		.amdhsa_system_sgpr_workgroup_id_x 1
		.amdhsa_system_sgpr_workgroup_id_y 1
		.amdhsa_system_sgpr_workgroup_id_z 1
		.amdhsa_system_sgpr_workgroup_info 0
		.amdhsa_system_vgpr_workitem_id 1
		.amdhsa_next_free_vgpr 127
		.amdhsa_next_free_sgpr 52
		.amdhsa_reserve_vcc 1
		.amdhsa_reserve_flat_scratch 0
		.amdhsa_float_round_mode_32 0
		.amdhsa_float_round_mode_16_64 0
		.amdhsa_float_denorm_mode_32 3
		.amdhsa_float_denorm_mode_16_64 3
		.amdhsa_dx10_clamp 1
		.amdhsa_ieee_mode 1
		.amdhsa_fp16_overflow 0
		.amdhsa_workgroup_processor_mode 1
		.amdhsa_memory_ordered 1
		.amdhsa_forward_progress 1
		.amdhsa_shared_vgpr_count 0
		.amdhsa_exception_fp_ieee_invalid_op 0
		.amdhsa_exception_fp_denorm_src 0
		.amdhsa_exception_fp_ieee_div_zero 0
		.amdhsa_exception_fp_ieee_overflow 0
		.amdhsa_exception_fp_ieee_underflow 0
		.amdhsa_exception_fp_ieee_inexact 0
		.amdhsa_exception_int_div_zero 0
	.end_amdhsa_kernel
	.section	.text._ZN12_GLOBAL__N_135rocblas_gemm_batched_general_kernelI19rocblas_complex_numIdELi16ELi16ELi32ELi32ELi8ELi32ELi8ELi8ELi32ELc78ELc67EKPKS2_S5_KPS2_EEvlllT_PT11_llSA_llS8_PT12_llPT13_lli,"axG",@progbits,_ZN12_GLOBAL__N_135rocblas_gemm_batched_general_kernelI19rocblas_complex_numIdELi16ELi16ELi32ELi32ELi8ELi32ELi8ELi8ELi32ELc78ELc67EKPKS2_S5_KPS2_EEvlllT_PT11_llSA_llS8_PT12_llPT13_lli,comdat
.Lfunc_end276:
	.size	_ZN12_GLOBAL__N_135rocblas_gemm_batched_general_kernelI19rocblas_complex_numIdELi16ELi16ELi32ELi32ELi8ELi32ELi8ELi8ELi32ELc78ELc67EKPKS2_S5_KPS2_EEvlllT_PT11_llSA_llS8_PT12_llPT13_lli, .Lfunc_end276-_ZN12_GLOBAL__N_135rocblas_gemm_batched_general_kernelI19rocblas_complex_numIdELi16ELi16ELi32ELi32ELi8ELi32ELi8ELi8ELi32ELc78ELc67EKPKS2_S5_KPS2_EEvlllT_PT11_llSA_llS8_PT12_llPT13_lli
                                        ; -- End function
	.set _ZN12_GLOBAL__N_135rocblas_gemm_batched_general_kernelI19rocblas_complex_numIdELi16ELi16ELi32ELi32ELi8ELi32ELi8ELi8ELi32ELc78ELc67EKPKS2_S5_KPS2_EEvlllT_PT11_llSA_llS8_PT12_llPT13_lli.num_vgpr, 127
	.set _ZN12_GLOBAL__N_135rocblas_gemm_batched_general_kernelI19rocblas_complex_numIdELi16ELi16ELi32ELi32ELi8ELi32ELi8ELi8ELi32ELc78ELc67EKPKS2_S5_KPS2_EEvlllT_PT11_llSA_llS8_PT12_llPT13_lli.num_agpr, 0
	.set _ZN12_GLOBAL__N_135rocblas_gemm_batched_general_kernelI19rocblas_complex_numIdELi16ELi16ELi32ELi32ELi8ELi32ELi8ELi8ELi32ELc78ELc67EKPKS2_S5_KPS2_EEvlllT_PT11_llSA_llS8_PT12_llPT13_lli.numbered_sgpr, 52
	.set _ZN12_GLOBAL__N_135rocblas_gemm_batched_general_kernelI19rocblas_complex_numIdELi16ELi16ELi32ELi32ELi8ELi32ELi8ELi8ELi32ELc78ELc67EKPKS2_S5_KPS2_EEvlllT_PT11_llSA_llS8_PT12_llPT13_lli.num_named_barrier, 0
	.set _ZN12_GLOBAL__N_135rocblas_gemm_batched_general_kernelI19rocblas_complex_numIdELi16ELi16ELi32ELi32ELi8ELi32ELi8ELi8ELi32ELc78ELc67EKPKS2_S5_KPS2_EEvlllT_PT11_llSA_llS8_PT12_llPT13_lli.private_seg_size, 0
	.set _ZN12_GLOBAL__N_135rocblas_gemm_batched_general_kernelI19rocblas_complex_numIdELi16ELi16ELi32ELi32ELi8ELi32ELi8ELi8ELi32ELc78ELc67EKPKS2_S5_KPS2_EEvlllT_PT11_llSA_llS8_PT12_llPT13_lli.uses_vcc, 1
	.set _ZN12_GLOBAL__N_135rocblas_gemm_batched_general_kernelI19rocblas_complex_numIdELi16ELi16ELi32ELi32ELi8ELi32ELi8ELi8ELi32ELc78ELc67EKPKS2_S5_KPS2_EEvlllT_PT11_llSA_llS8_PT12_llPT13_lli.uses_flat_scratch, 0
	.set _ZN12_GLOBAL__N_135rocblas_gemm_batched_general_kernelI19rocblas_complex_numIdELi16ELi16ELi32ELi32ELi8ELi32ELi8ELi8ELi32ELc78ELc67EKPKS2_S5_KPS2_EEvlllT_PT11_llSA_llS8_PT12_llPT13_lli.has_dyn_sized_stack, 0
	.set _ZN12_GLOBAL__N_135rocblas_gemm_batched_general_kernelI19rocblas_complex_numIdELi16ELi16ELi32ELi32ELi8ELi32ELi8ELi8ELi32ELc78ELc67EKPKS2_S5_KPS2_EEvlllT_PT11_llSA_llS8_PT12_llPT13_lli.has_recursion, 0
	.set _ZN12_GLOBAL__N_135rocblas_gemm_batched_general_kernelI19rocblas_complex_numIdELi16ELi16ELi32ELi32ELi8ELi32ELi8ELi8ELi32ELc78ELc67EKPKS2_S5_KPS2_EEvlllT_PT11_llSA_llS8_PT12_llPT13_lli.has_indirect_call, 0
	.section	.AMDGPU.csdata,"",@progbits
; Kernel info:
; codeLenInByte = 4032
; TotalNumSgprs: 54
; NumVgprs: 127
; ScratchSize: 0
; MemoryBound: 1
; FloatMode: 240
; IeeeMode: 1
; LDSByteSize: 8192 bytes/workgroup (compile time only)
; SGPRBlocks: 0
; VGPRBlocks: 15
; NumSGPRsForWavesPerEU: 54
; NumVGPRsForWavesPerEU: 127
; Occupancy: 8
; WaveLimiterHint : 1
; COMPUTE_PGM_RSRC2:SCRATCH_EN: 0
; COMPUTE_PGM_RSRC2:USER_SGPR: 6
; COMPUTE_PGM_RSRC2:TRAP_HANDLER: 0
; COMPUTE_PGM_RSRC2:TGID_X_EN: 1
; COMPUTE_PGM_RSRC2:TGID_Y_EN: 1
; COMPUTE_PGM_RSRC2:TGID_Z_EN: 1
; COMPUTE_PGM_RSRC2:TIDIG_COMP_CNT: 1
	.section	.text._ZN12_GLOBAL__N_135rocblas_gemm_batched_general_kernelI19rocblas_complex_numIdELi16ELi16ELi32ELi32ELi8ELi32ELi8ELi8ELi32ELc84ELc67EKPKS2_S5_KPS2_EEvlllT_PT11_llSA_llS8_PT12_llPT13_lli,"axG",@progbits,_ZN12_GLOBAL__N_135rocblas_gemm_batched_general_kernelI19rocblas_complex_numIdELi16ELi16ELi32ELi32ELi8ELi32ELi8ELi8ELi32ELc84ELc67EKPKS2_S5_KPS2_EEvlllT_PT11_llSA_llS8_PT12_llPT13_lli,comdat
	.globl	_ZN12_GLOBAL__N_135rocblas_gemm_batched_general_kernelI19rocblas_complex_numIdELi16ELi16ELi32ELi32ELi8ELi32ELi8ELi8ELi32ELc84ELc67EKPKS2_S5_KPS2_EEvlllT_PT11_llSA_llS8_PT12_llPT13_lli ; -- Begin function _ZN12_GLOBAL__N_135rocblas_gemm_batched_general_kernelI19rocblas_complex_numIdELi16ELi16ELi32ELi32ELi8ELi32ELi8ELi8ELi32ELc84ELc67EKPKS2_S5_KPS2_EEvlllT_PT11_llSA_llS8_PT12_llPT13_lli
	.p2align	8
	.type	_ZN12_GLOBAL__N_135rocblas_gemm_batched_general_kernelI19rocblas_complex_numIdELi16ELi16ELi32ELi32ELi8ELi32ELi8ELi8ELi32ELc84ELc67EKPKS2_S5_KPS2_EEvlllT_PT11_llSA_llS8_PT12_llPT13_lli,@function
_ZN12_GLOBAL__N_135rocblas_gemm_batched_general_kernelI19rocblas_complex_numIdELi16ELi16ELi32ELi32ELi8ELi32ELi8ELi8ELi32ELc84ELc67EKPKS2_S5_KPS2_EEvlllT_PT11_llSA_llS8_PT12_llPT13_lli: ; @_ZN12_GLOBAL__N_135rocblas_gemm_batched_general_kernelI19rocblas_complex_numIdELi16ELi16ELi32ELi32ELi8ELi32ELi8ELi8ELi32ELc84ELc67EKPKS2_S5_KPS2_EEvlllT_PT11_llSA_llS8_PT12_llPT13_lli
; %bb.0:
	s_clause 0x2
	s_load_dwordx16 s[12:27], s[4:5], 0x40
	s_load_dwordx4 s[28:31], s[4:5], 0x80
	s_load_dwordx16 s[36:51], s[4:5], 0x0
	s_mov_b32 s9, 0
	s_load_dwordx2 s[2:3], s[4:5], 0x90
	s_lshl_b64 s[0:1], s[8:9], 3
	s_mov_b32 s34, s7
	v_mov_b32_e32 v2, 0
	s_waitcnt lgkmcnt(0)
	s_add_u32 s4, s22, s0
	s_addc_u32 s5, s23, s1
	s_add_u32 s8, s28, s0
	s_addc_u32 s9, s29, s1
	s_load_dwordx2 s[4:5], s[4:5], 0x0
	s_load_dwordx2 s[8:9], s[8:9], 0x0
	v_cmp_lt_i64_e64 s10, s[40:41], 1
	s_ashr_i32 s7, s6, 31
	s_ashr_i32 s35, s34, 31
	s_lshl_b64 s[6:7], s[6:7], 5
	s_and_b32 vcc_lo, exec_lo, s10
	s_lshl_b64 s[10:11], s[34:35], 5
	s_cbranch_vccnz .LBB277_9
; %bb.1:
	v_lshl_add_u32 v3, v1, 4, v0
	v_and_b32_e32 v27, 7, v0
	s_add_u32 s12, s12, s0
	v_mov_b32_e32 v4, s7
	s_addc_u32 s13, s13, s1
	v_and_b32_e32 v9, 31, v3
	v_mad_u64_u32 v[5:6], null, s14, v27, 0
	v_lshrrev_b32_e32 v10, 3, v3
	v_lshrrev_b32_e32 v28, 5, v3
	v_or_b32_e32 v3, s6, v9
	s_add_u32 s0, s46, s0
	s_addc_u32 s1, s47, s1
	s_load_dwordx2 s[12:13], s[12:13], 0x0
	s_load_dwordx2 s[22:23], s[0:1], 0x0
	v_add_co_u32 v7, s0, v10, s10
	v_cmp_gt_i64_e32 vcc_lo, s[36:37], v[3:4]
	v_mov_b32_e32 v3, v6
	v_add_co_ci_u32_e64 v8, null, 0, s11, s0
	v_lshlrev_b32_e32 v6, 4, v27
	v_lshlrev_b32_e32 v11, 4, v9
	v_mad_u64_u32 v[3:4], null, s15, v27, v[3:4]
	v_cmp_gt_i64_e64 s0, s[38:39], v[7:8]
	v_add_co_u32 v7, s1, s6, v9
	v_lshl_or_b32 v4, v10, 7, v6
	v_add_co_ci_u32_e64 v8, null, s7, 0, s1
	v_mov_b32_e32 v6, v3
	v_mul_lo_u32 v9, s49, v7
	v_add_nc_u32_e32 v30, 0x1000, v4
	v_mul_lo_u32 v8, s48, v8
	v_mad_u64_u32 v[3:4], null, s48, v7, 0
	v_lshlrev_b64 v[5:6], 4, v[5:6]
	s_lshl_b64 s[28:29], s[34:35], 9
	s_lshl_b64 s[16:17], s[16:17], 4
	v_lshlrev_b32_e32 v7, 4, v10
	s_add_u32 s1, s16, s28
	s_addc_u32 s16, s17, s29
	v_add3_u32 v4, v4, v8, v9
	v_add_co_u32 v5, s1, s1, v5
	v_add_co_ci_u32_e64 v6, null, s16, v6, s1
	v_lshlrev_b64 v[3:4], 4, v[3:4]
	v_add_co_u32 v5, s1, v5, v7
	s_lshl_b64 s[16:17], s[50:51], 4
	v_add_co_ci_u32_e64 v6, null, 0, v6, s1
	v_add_co_u32 v3, s1, v3, s16
	v_lshlrev_b32_e32 v7, 4, v28
	v_add_co_ci_u32_e64 v4, null, s17, v4, s1
	s_waitcnt lgkmcnt(0)
	v_add_co_u32 v23, s1, s12, v5
	v_add_co_ci_u32_e64 v24, null, s13, v6, s1
	v_add_co_u32 v3, s1, v3, v7
	v_add_co_ci_u32_e64 v4, null, 0, v4, s1
	v_lshl_or_b32 v29, v28, 9, v11
	v_add_co_u32 v25, s1, s22, v3
	v_mov_b32_e32 v9, 0
	v_mov_b32_e32 v7, 0
	;; [unrolled: 1-line block ×8, first 2 shown]
	v_lshlrev_b32_e32 v31, 4, v0
	v_lshl_add_u32 v32, v1, 7, 0x1000
	v_mov_b32_e32 v10, 0
	v_mov_b32_e32 v8, 0
	;; [unrolled: 1-line block ×8, first 2 shown]
	v_add_co_ci_u32_e64 v26, null, s23, v4, s1
	s_lshl_b64 s[12:13], s[14:15], 7
	s_mov_b64 s[14:15], 0
	s_xor_b32 s1, vcc_lo, -1
	s_branch .LBB277_3
.LBB277_2:                              ;   in Loop: Header=BB277_3 Depth=1
	s_or_b32 exec_lo, exec_lo, s16
	ds_write_b128 v30, v[3:6]
	s_waitcnt lgkmcnt(0)
	s_barrier
	buffer_gl0_inv
	ds_read_b128 v[3:6], v32
	ds_read_b128 v[33:36], v31
	ds_read_b128 v[37:40], v31 offset:256
	ds_read_b128 v[41:44], v32 offset:2048
	;; [unrolled: 1-line block ×12, first 2 shown]
	s_add_u32 s14, s14, 8
	s_addc_u32 s15, s15, 0
	v_add_co_u32 v23, vcc_lo, v23, s12
	v_cmp_lt_i64_e64 s16, s[14:15], s[40:41]
	v_add_co_ci_u32_e64 v24, null, s13, v24, vcc_lo
	s_waitcnt lgkmcnt(12)
	v_mul_f64 v[85:86], v[5:6], v[35:36]
	v_mul_f64 v[87:88], v[3:4], v[35:36]
	s_waitcnt lgkmcnt(11)
	v_mul_f64 v[89:90], v[5:6], v[39:40]
	v_mul_f64 v[91:92], v[3:4], v[39:40]
	;; [unrolled: 3-line block ×3, first 2 shown]
	v_mul_f64 v[95:96], v[43:44], v[39:40]
	v_mul_f64 v[39:40], v[41:42], v[39:40]
	s_waitcnt lgkmcnt(8)
	v_mul_f64 v[97:98], v[47:48], v[51:52]
	v_mul_f64 v[99:100], v[45:46], v[51:52]
	s_waitcnt lgkmcnt(7)
	;; [unrolled: 3-line block ×3, first 2 shown]
	v_mul_f64 v[105:106], v[59:60], v[51:52]
	v_mul_f64 v[51:52], v[57:58], v[51:52]
	v_mul_f64 v[107:108], v[59:60], v[55:56]
	v_mul_f64 v[55:56], v[57:58], v[55:56]
	s_waitcnt lgkmcnt(4)
	v_mul_f64 v[109:110], v[63:64], v[67:68]
	v_mul_f64 v[111:112], v[61:62], v[67:68]
	s_waitcnt lgkmcnt(3)
	v_mul_f64 v[113:114], v[63:64], v[71:72]
	v_mul_f64 v[115:116], v[61:62], v[71:72]
	;; [unrolled: 3-line block ×3, first 2 shown]
	v_fma_f64 v[85:86], v[3:4], v[33:34], -v[85:86]
	v_fma_f64 v[87:88], v[5:6], v[33:34], v[87:88]
	v_fma_f64 v[89:90], v[3:4], v[37:38], -v[89:90]
	v_fma_f64 v[91:92], v[5:6], v[37:38], v[91:92]
	v_fma_f64 v[93:94], v[41:42], v[33:34], -v[93:94]
	v_fma_f64 v[119:120], v[43:44], v[33:34], v[35:36]
	v_fma_f64 v[95:96], v[41:42], v[37:38], -v[95:96]
	v_fma_f64 v[121:122], v[43:44], v[37:38], v[39:40]
	v_mul_f64 v[123:124], v[75:76], v[71:72]
	v_mul_f64 v[71:72], v[73:74], v[71:72]
	ds_read_b128 v[3:6], v31 offset:1536
	ds_read_b128 v[33:36], v31 offset:1792
	v_fma_f64 v[97:98], v[45:46], v[49:50], -v[97:98]
	v_fma_f64 v[99:100], v[47:48], v[49:50], v[99:100]
	v_fma_f64 v[101:102], v[45:46], v[53:54], -v[101:102]
	v_fma_f64 v[103:104], v[47:48], v[53:54], v[103:104]
	;; [unrolled: 2-line block ×7, first 2 shown]
	v_add_f64 v[19:20], v[19:20], v[85:86]
	v_add_f64 v[21:22], v[87:88], v[21:22]
	;; [unrolled: 1-line block ×4, first 2 shown]
	s_waitcnt lgkmcnt(1)
	v_mul_f64 v[109:110], v[79:80], v[5:6]
	s_waitcnt lgkmcnt(0)
	v_mul_f64 v[67:68], v[79:80], v[35:36]
	v_fma_f64 v[73:74], v[73:74], v[69:70], -v[123:124]
	v_fma_f64 v[69:70], v[75:76], v[69:70], v[71:72]
	v_add_f64 v[71:72], v[11:12], v[93:94]
	v_add_f64 v[13:14], v[119:120], v[13:14]
	;; [unrolled: 1-line block ×4, first 2 shown]
	ds_read_b128 v[37:40], v32 offset:64
	ds_read_b128 v[41:44], v31 offset:2048
	;; [unrolled: 1-line block ×3, first 2 shown]
	v_mul_f64 v[111:112], v[77:78], v[5:6]
	v_mul_f64 v[113:114], v[77:78], v[35:36]
	v_mul_f64 v[115:116], v[83:84], v[5:6]
	v_mul_f64 v[117:118], v[81:82], v[5:6]
	v_mul_f64 v[87:88], v[83:84], v[35:36]
	v_mul_f64 v[35:36], v[81:82], v[35:36]
	ds_read_b128 v[49:52], v32 offset:2112
	ds_read_b128 v[9:12], v32 offset:2128
	v_add_f64 v[97:98], v[19:20], v[97:98]
	v_add_f64 v[21:22], v[99:100], v[21:22]
	;; [unrolled: 1-line block ×4, first 2 shown]
	v_fma_f64 v[89:90], v[77:78], v[3:4], -v[109:110]
	v_fma_f64 v[67:68], v[77:78], v[33:34], -v[67:68]
	ds_read_b128 v[5:8], v32 offset:80
	ds_read_b128 v[17:20], v31 offset:2816
	v_add_f64 v[71:72], v[71:72], v[105:106]
	v_add_f64 v[103:104], v[125:126], v[13:14]
	s_waitcnt lgkmcnt(5)
	v_mul_f64 v[77:78], v[39:40], v[43:44]
	v_mul_f64 v[93:94], v[37:38], v[43:44]
	v_add_f64 v[57:58], v[75:76], v[57:58]
	v_add_f64 v[53:54], v[53:54], v[85:86]
	ds_read_b128 v[13:16], v31 offset:2560
	s_waitcnt lgkmcnt(5)
	v_mul_f64 v[95:96], v[39:40], v[47:48]
	v_mul_f64 v[109:110], v[37:38], v[47:48]
	v_fma_f64 v[91:92], v[79:80], v[3:4], v[111:112]
	v_fma_f64 v[79:80], v[79:80], v[33:34], v[113:114]
	s_waitcnt lgkmcnt(4)
	v_mul_f64 v[111:112], v[51:52], v[43:44]
	v_mul_f64 v[43:44], v[49:50], v[43:44]
	v_fma_f64 v[75:76], v[81:82], v[3:4], -v[115:116]
	v_fma_f64 v[3:4], v[83:84], v[3:4], v[117:118]
	v_fma_f64 v[81:82], v[81:82], v[33:34], -v[87:88]
	v_fma_f64 v[83:84], v[83:84], v[33:34], v[35:36]
	v_add_f64 v[55:56], v[97:98], v[55:56]
	v_add_f64 v[59:60], v[59:60], v[21:22]
	;; [unrolled: 1-line block ×4, first 2 shown]
	s_waitcnt lgkmcnt(1)
	v_mul_f64 v[97:98], v[7:8], v[19:20]
	v_add_f64 v[71:72], v[71:72], v[107:108]
	v_add_f64 v[65:66], v[65:66], v[103:104]
	v_fma_f64 v[77:78], v[37:38], v[41:42], -v[77:78]
	v_fma_f64 v[85:86], v[39:40], v[41:42], v[93:94]
	v_add_f64 v[57:58], v[57:58], v[73:74]
	v_add_f64 v[53:54], v[69:70], v[53:54]
	s_waitcnt lgkmcnt(0)
	v_mul_f64 v[69:70], v[7:8], v[15:16]
	v_fma_f64 v[87:88], v[37:38], v[45:46], -v[95:96]
	v_fma_f64 v[93:94], v[39:40], v[45:46], v[109:110]
	v_mul_f64 v[37:38], v[51:52], v[47:48]
	v_mul_f64 v[39:40], v[49:50], v[47:48]
	v_fma_f64 v[47:48], v[49:50], v[41:42], -v[111:112]
	v_fma_f64 v[95:96], v[51:52], v[41:42], v[43:44]
	v_mul_f64 v[73:74], v[5:6], v[15:16]
	v_mul_f64 v[99:100], v[5:6], v[19:20]
	;; [unrolled: 1-line block ×6, first 2 shown]
	ds_read_b128 v[19:22], v32 offset:96
	ds_read_b128 v[33:36], v31 offset:3072
	v_add_co_u32 v25, vcc_lo, 0x80, v25
	v_add_co_ci_u32_e64 v26, null, 0, v26, vcc_lo
	v_add_f64 v[65:66], v[3:4], v[65:66]
	s_and_b32 vcc_lo, exec_lo, s16
	v_add_f64 v[57:58], v[57:58], v[81:82]
	v_add_f64 v[53:54], v[83:84], v[53:54]
	v_fma_f64 v[49:50], v[49:50], v[45:46], -v[37:38]
	v_fma_f64 v[45:46], v[51:52], v[45:46], v[39:40]
	v_add_f64 v[51:52], v[55:56], v[89:90]
	v_add_f64 v[55:56], v[91:92], v[59:60]
	;; [unrolled: 1-line block ×5, first 2 shown]
	ds_read_b128 v[37:40], v31 offset:3328
	ds_read_b128 v[41:44], v32 offset:2144
	v_fma_f64 v[67:68], v[5:6], v[13:14], -v[69:70]
	v_fma_f64 v[69:70], v[7:8], v[13:14], v[73:74]
	v_fma_f64 v[71:72], v[5:6], v[17:18], -v[97:98]
	v_fma_f64 v[73:74], v[7:8], v[17:18], v[99:100]
	;; [unrolled: 2-line block ×3, first 2 shown]
	v_fma_f64 v[81:82], v[9:10], v[17:18], -v[103:104]
	s_waitcnt lgkmcnt(2)
	v_mul_f64 v[83:84], v[21:22], v[35:36]
	v_fma_f64 v[89:90], v[11:12], v[17:18], v[105:106]
	v_mul_f64 v[91:92], v[19:20], v[35:36]
	ds_read_b128 v[3:6], v32 offset:112
	ds_read_b128 v[7:10], v32 offset:2160
	;; [unrolled: 1-line block ×4, first 2 shown]
	s_waitcnt lgkmcnt(0)
	v_add_f64 v[49:50], v[57:58], v[49:50]
	v_add_f64 v[45:46], v[45:46], v[53:54]
	;; [unrolled: 1-line block ×4, first 2 shown]
	v_mul_f64 v[97:98], v[21:22], v[39:40]
	v_mul_f64 v[99:100], v[19:20], v[39:40]
	;; [unrolled: 1-line block ×4, first 2 shown]
	v_add_f64 v[59:60], v[59:60], v[87:88]
	v_add_f64 v[61:62], v[93:94], v[61:62]
	;; [unrolled: 1-line block ×4, first 2 shown]
	v_mul_f64 v[53:54], v[43:44], v[39:40]
	v_mul_f64 v[39:40], v[41:42], v[39:40]
	s_barrier
	v_fma_f64 v[57:58], v[19:20], v[33:34], -v[83:84]
	buffer_gl0_inv
	v_fma_f64 v[65:66], v[21:22], v[33:34], v[91:92]
	v_add_f64 v[49:50], v[49:50], v[81:82]
	v_add_f64 v[45:46], v[89:90], v[45:46]
	v_fma_f64 v[19:20], v[19:20], v[37:38], -v[97:98]
	v_fma_f64 v[21:22], v[21:22], v[37:38], v[99:100]
	v_fma_f64 v[77:78], v[41:42], v[33:34], -v[101:102]
	v_fma_f64 v[33:34], v[43:44], v[33:34], v[35:36]
	v_add_f64 v[35:36], v[51:52], v[67:68]
	v_add_f64 v[51:52], v[69:70], v[55:56]
	;; [unrolled: 1-line block ×6, first 2 shown]
	v_fma_f64 v[41:42], v[41:42], v[37:38], -v[53:54]
	v_fma_f64 v[37:38], v[43:44], v[37:38], v[39:40]
	v_mul_f64 v[39:40], v[5:6], v[13:14]
	v_mul_f64 v[43:44], v[3:4], v[13:14]
	;; [unrolled: 1-line block ×8, first 2 shown]
	v_add_f64 v[35:36], v[35:36], v[57:58]
	v_add_f64 v[51:52], v[65:66], v[51:52]
	;; [unrolled: 1-line block ×8, first 2 shown]
	v_fma_f64 v[19:20], v[3:4], v[11:12], -v[39:40]
	v_fma_f64 v[21:22], v[5:6], v[11:12], v[43:44]
	v_fma_f64 v[3:4], v[3:4], v[15:16], -v[53:54]
	v_fma_f64 v[5:6], v[5:6], v[15:16], v[63:64]
	;; [unrolled: 2-line block ×4, first 2 shown]
	v_add_f64 v[19:20], v[35:36], v[19:20]
	v_add_f64 v[21:22], v[21:22], v[51:52]
	;; [unrolled: 1-line block ×8, first 2 shown]
	s_cbranch_vccz .LBB277_10
.LBB277_3:                              ; =>This Inner Loop Header: Depth=1
	v_add_co_u32 v3, s16, v28, s14
	v_add_co_ci_u32_e64 v4, null, 0, s15, s16
	v_cmp_le_i64_e32 vcc_lo, s[40:41], v[3:4]
	s_or_b32 s16, s1, vcc_lo
	s_and_saveexec_b32 s17, s16
	s_xor_b32 s16, exec_lo, s17
	s_cbranch_execz .LBB277_5
; %bb.4:                                ;   in Loop: Header=BB277_3 Depth=1
	v_mov_b32_e32 v3, v2
	v_mov_b32_e32 v4, v2
	;; [unrolled: 1-line block ×3, first 2 shown]
	ds_write_b128 v29, v[2:5]
.LBB277_5:                              ;   in Loop: Header=BB277_3 Depth=1
	s_andn2_saveexec_b32 s16, s16
	s_cbranch_execz .LBB277_7
; %bb.6:                                ;   in Loop: Header=BB277_3 Depth=1
	flat_load_dwordx4 v[3:6], v[25:26]
	s_waitcnt vmcnt(0) lgkmcnt(0)
	ds_write2_b64 v29, v[3:4], v[5:6] offset1:1
.LBB277_7:                              ;   in Loop: Header=BB277_3 Depth=1
	s_or_b32 exec_lo, exec_lo, s16
	v_add_co_u32 v3, s16, v27, s14
	v_add_co_ci_u32_e64 v4, null, 0, s15, s16
	v_mov_b32_e32 v5, 0
	v_mov_b32_e32 v6, 0
	v_cmp_gt_i64_e32 vcc_lo, s[40:41], v[3:4]
	v_mov_b32_e32 v3, 0
	v_mov_b32_e32 v4, 0
	s_and_b32 s17, vcc_lo, s0
	s_and_saveexec_b32 s16, s17
	s_cbranch_execz .LBB277_2
; %bb.8:                                ;   in Loop: Header=BB277_3 Depth=1
	flat_load_dwordx4 v[3:6], v[23:24]
	s_waitcnt vmcnt(0) lgkmcnt(0)
	v_xor_b32_e32 v6, 0x80000000, v6
	s_branch .LBB277_2
.LBB277_9:
	v_mov_b32_e32 v19, 0
	v_mov_b32_e32 v21, 0
	;; [unrolled: 1-line block ×16, first 2 shown]
.LBB277_10:
	v_cmp_neq_f64_e64 s12, s[18:19], 0
	v_cmp_neq_f64_e64 s13, s[20:21], 0
	s_lshl_b64 s[0:1], s[2:3], 4
	v_add_co_u32 v1, s2, s10, v1
	v_add_co_ci_u32_e64 v2, null, s11, 0, s2
	s_waitcnt lgkmcnt(0)
	s_add_u32 s3, s8, s0
	s_addc_u32 s8, s9, s1
	v_cmp_gt_i64_e64 s0, s[38:39], v[1:2]
	s_or_b32 s1, s12, s13
	s_and_b32 vcc_lo, exec_lo, s1
	s_mov_b32 s1, -1
	s_cbranch_vccnz .LBB277_22
; %bb.11:
	s_and_saveexec_b32 s9, s0
	s_cbranch_execz .LBB277_21
; %bb.12:
	v_mul_lo_u32 v5, v2, s30
	v_mul_lo_u32 v6, v1, s31
	v_mad_u64_u32 v[3:4], null, v1, s30, 0
	v_add3_u32 v4, v4, v6, v5
	v_add_co_u32 v5, s1, s6, v0
	v_add_co_ci_u32_e64 v6, null, s7, 0, s1
	v_lshlrev_b64 v[23:24], 4, v[3:4]
	v_cmp_gt_i64_e32 vcc_lo, s[36:37], v[5:6]
	v_lshlrev_b64 v[3:4], 4, v[5:6]
	v_add_co_u32 v23, s1, s3, v23
	v_add_co_ci_u32_e64 v24, null, s8, v24, s1
	s_and_saveexec_b32 s2, vcc_lo
	s_cbranch_execz .LBB277_14
; %bb.13:
	v_mul_f64 v[25:26], s[44:45], v[21:22]
	v_mul_f64 v[27:28], s[42:43], v[21:22]
	v_add_co_u32 v29, s1, v23, v3
	v_add_co_ci_u32_e64 v30, null, v24, v4, s1
	v_fma_f64 v[25:26], s[42:43], v[19:20], -v[25:26]
	v_fma_f64 v[27:28], s[44:45], v[19:20], v[27:28]
	flat_store_dwordx4 v[29:30], v[25:28]
.LBB277_14:
	s_or_b32 exec_lo, exec_lo, s2
	v_add_co_u32 v5, s1, v5, 16
	v_add_co_ci_u32_e64 v6, null, 0, v6, s1
	v_cmp_gt_i64_e64 s1, s[36:37], v[5:6]
	s_and_saveexec_b32 s10, s1
	s_cbranch_execz .LBB277_16
; %bb.15:
	v_mul_f64 v[5:6], s[44:45], v[17:18]
	v_mul_f64 v[27:28], s[42:43], v[17:18]
	v_fma_f64 v[25:26], s[42:43], v[15:16], -v[5:6]
	v_fma_f64 v[27:28], s[44:45], v[15:16], v[27:28]
	v_add_co_u32 v5, s2, v23, v3
	v_add_co_ci_u32_e64 v6, null, v24, v4, s2
	flat_store_dwordx4 v[5:6], v[25:28] offset:256
.LBB277_16:
	s_or_b32 exec_lo, exec_lo, s10
	v_add_co_u32 v5, s2, v1, 16
	v_add_co_ci_u32_e64 v6, null, 0, v2, s2
	v_cmp_gt_i64_e64 s2, s[38:39], v[5:6]
	s_and_b32 exec_lo, exec_lo, s2
	s_cbranch_execz .LBB277_21
; %bb.17:
	s_lshl_b64 s[10:11], s[30:31], 8
	v_add_co_u32 v5, s2, v23, s10
	v_add_co_ci_u32_e64 v6, null, s11, v24, s2
	v_add_co_u32 v3, s2, v5, v3
	v_add_co_ci_u32_e64 v4, null, v6, v4, s2
	s_and_saveexec_b32 s2, vcc_lo
	s_cbranch_execz .LBB277_19
; %bb.18:
	v_mul_f64 v[5:6], s[44:45], v[13:14]
	v_mul_f64 v[25:26], s[42:43], v[13:14]
	v_fma_f64 v[23:24], s[42:43], v[11:12], -v[5:6]
	v_fma_f64 v[25:26], s[44:45], v[11:12], v[25:26]
	flat_store_dwordx4 v[3:4], v[23:26]
.LBB277_19:
	s_or_b32 exec_lo, exec_lo, s2
	s_and_b32 exec_lo, exec_lo, s1
	s_cbranch_execz .LBB277_21
; %bb.20:
	v_mul_f64 v[5:6], s[44:45], v[9:10]
	v_mul_f64 v[25:26], s[42:43], v[9:10]
	v_fma_f64 v[23:24], s[42:43], v[7:8], -v[5:6]
	v_fma_f64 v[25:26], s[44:45], v[7:8], v[25:26]
	flat_store_dwordx4 v[3:4], v[23:26] offset:256
.LBB277_21:
	s_or_b32 exec_lo, exec_lo, s9
	s_mov_b32 s1, 0
.LBB277_22:
	s_andn2_b32 vcc_lo, exec_lo, s1
	s_cbranch_vccnz .LBB277_33
; %bb.23:
	s_and_saveexec_b32 s1, s0
	s_cbranch_execz .LBB277_33
; %bb.24:
	v_mul_lo_u32 v5, v2, s24
	v_mul_lo_u32 v6, v1, s25
	v_mad_u64_u32 v[3:4], null, v1, s24, 0
	v_mul_lo_u32 v25, v2, s30
	v_mul_lo_u32 v26, v1, s31
	v_mad_u64_u32 v[23:24], null, v1, s30, 0
	s_lshl_b64 s[0:1], s[26:27], 4
	v_add3_u32 v4, v4, v6, v5
	v_add_co_u32 v5, s2, s6, v0
	v_add_co_ci_u32_e64 v6, null, s7, 0, s2
	v_add3_u32 v24, v24, v26, v25
	v_lshlrev_b64 v[3:4], 4, v[3:4]
	s_add_u32 s0, s4, s0
	s_addc_u32 s1, s5, s1
	v_cmp_gt_i64_e32 vcc_lo, s[36:37], v[5:6]
	v_lshlrev_b64 v[24:25], 4, v[23:24]
	v_add_co_u32 v0, s0, s0, v3
	v_add_co_ci_u32_e64 v23, null, s1, v4, s0
	v_add_co_u32 v24, s0, s3, v24
	v_lshlrev_b64 v[3:4], 4, v[5:6]
	v_add_co_ci_u32_e64 v25, null, s8, v25, s0
	s_and_saveexec_b32 s1, vcc_lo
	s_cbranch_execz .LBB277_26
; %bb.25:
	v_add_co_u32 v26, s0, v0, v3
	v_add_co_ci_u32_e64 v27, null, v23, v4, s0
	v_mul_f64 v[30:31], s[44:45], v[21:22]
	v_mul_f64 v[21:22], s[42:43], v[21:22]
	flat_load_dwordx4 v[26:29], v[26:27]
	v_fma_f64 v[30:31], s[42:43], v[19:20], -v[30:31]
	v_fma_f64 v[21:22], s[44:45], v[19:20], v[21:22]
	s_waitcnt vmcnt(0) lgkmcnt(0)
	v_mul_f64 v[32:33], s[20:21], v[28:29]
	v_mul_f64 v[28:29], s[18:19], v[28:29]
	v_fma_f64 v[19:20], s[18:19], v[26:27], -v[32:33]
	v_fma_f64 v[26:27], s[20:21], v[26:27], v[28:29]
	v_add_f64 v[19:20], v[30:31], v[19:20]
	v_add_f64 v[21:22], v[21:22], v[26:27]
	v_add_co_u32 v26, s0, v24, v3
	v_add_co_ci_u32_e64 v27, null, v25, v4, s0
	flat_store_dwordx4 v[26:27], v[19:22]
.LBB277_26:
	s_or_b32 exec_lo, exec_lo, s1
	v_add_co_u32 v5, s0, v5, 16
	v_add_co_ci_u32_e64 v6, null, 0, v6, s0
	v_cmp_gt_i64_e64 s0, s[36:37], v[5:6]
	s_and_saveexec_b32 s2, s0
	s_cbranch_execz .LBB277_28
; %bb.27:
	v_add_co_u32 v5, s1, v0, v3
	v_add_co_ci_u32_e64 v6, null, v23, v4, s1
	flat_load_dwordx4 v[19:22], v[5:6] offset:256
	v_mul_f64 v[5:6], s[44:45], v[17:18]
	v_mul_f64 v[17:18], s[42:43], v[17:18]
	v_fma_f64 v[5:6], s[42:43], v[15:16], -v[5:6]
	v_fma_f64 v[17:18], s[44:45], v[15:16], v[17:18]
	s_waitcnt vmcnt(0) lgkmcnt(0)
	v_mul_f64 v[26:27], s[20:21], v[21:22]
	v_mul_f64 v[21:22], s[18:19], v[21:22]
	v_fma_f64 v[15:16], s[18:19], v[19:20], -v[26:27]
	v_fma_f64 v[19:20], s[20:21], v[19:20], v[21:22]
	v_add_f64 v[15:16], v[5:6], v[15:16]
	v_add_f64 v[17:18], v[17:18], v[19:20]
	v_add_co_u32 v5, s1, v24, v3
	v_add_co_ci_u32_e64 v6, null, v25, v4, s1
	flat_store_dwordx4 v[5:6], v[15:18] offset:256
.LBB277_28:
	s_or_b32 exec_lo, exec_lo, s2
	v_add_co_u32 v1, s1, v1, 16
	v_add_co_ci_u32_e64 v2, null, 0, v2, s1
	v_cmp_gt_i64_e64 s1, s[38:39], v[1:2]
	s_and_b32 exec_lo, exec_lo, s1
	s_cbranch_execz .LBB277_33
; %bb.29:
	s_lshl_b64 s[2:3], s[24:25], 8
	v_add_co_u32 v0, s1, v0, s2
	v_add_co_ci_u32_e64 v1, null, s3, v23, s1
	s_lshl_b64 s[2:3], s[30:31], 8
	v_add_co_u32 v2, s1, v24, s2
	v_add_co_ci_u32_e64 v15, null, s3, v25, s1
	v_add_co_u32 v5, s1, v0, v3
	v_add_co_ci_u32_e64 v6, null, v1, v4, s1
	;; [unrolled: 2-line block ×3, first 2 shown]
	s_and_saveexec_b32 s1, vcc_lo
	s_cbranch_execz .LBB277_31
; %bb.30:
	flat_load_dwordx4 v[15:18], v[5:6]
	v_mul_f64 v[2:3], s[44:45], v[13:14]
	v_mul_f64 v[13:14], s[42:43], v[13:14]
	v_fma_f64 v[2:3], s[42:43], v[11:12], -v[2:3]
	v_fma_f64 v[13:14], s[44:45], v[11:12], v[13:14]
	s_waitcnt vmcnt(0) lgkmcnt(0)
	v_mul_f64 v[19:20], s[20:21], v[17:18]
	v_mul_f64 v[17:18], s[18:19], v[17:18]
	v_fma_f64 v[11:12], s[18:19], v[15:16], -v[19:20]
	v_fma_f64 v[15:16], s[20:21], v[15:16], v[17:18]
	v_add_f64 v[11:12], v[2:3], v[11:12]
	v_add_f64 v[13:14], v[13:14], v[15:16]
	flat_store_dwordx4 v[0:1], v[11:14]
.LBB277_31:
	s_or_b32 exec_lo, exec_lo, s1
	s_and_b32 exec_lo, exec_lo, s0
	s_cbranch_execz .LBB277_33
; %bb.32:
	flat_load_dwordx4 v[2:5], v[5:6] offset:256
	v_mul_f64 v[11:12], s[44:45], v[9:10]
	v_mul_f64 v[9:10], s[42:43], v[9:10]
	v_fma_f64 v[11:12], s[42:43], v[7:8], -v[11:12]
	v_fma_f64 v[6:7], s[44:45], v[7:8], v[9:10]
	s_waitcnt vmcnt(0) lgkmcnt(0)
	v_mul_f64 v[13:14], s[20:21], v[4:5]
	v_mul_f64 v[4:5], s[18:19], v[4:5]
	v_fma_f64 v[8:9], s[18:19], v[2:3], -v[13:14]
	v_fma_f64 v[4:5], s[20:21], v[2:3], v[4:5]
	v_add_f64 v[2:3], v[11:12], v[8:9]
	v_add_f64 v[4:5], v[6:7], v[4:5]
	flat_store_dwordx4 v[0:1], v[2:5] offset:256
.LBB277_33:
	s_endpgm
	.section	.rodata,"a",@progbits
	.p2align	6, 0x0
	.amdhsa_kernel _ZN12_GLOBAL__N_135rocblas_gemm_batched_general_kernelI19rocblas_complex_numIdELi16ELi16ELi32ELi32ELi8ELi32ELi8ELi8ELi32ELc84ELc67EKPKS2_S5_KPS2_EEvlllT_PT11_llSA_llS8_PT12_llPT13_lli
		.amdhsa_group_segment_fixed_size 8192
		.amdhsa_private_segment_fixed_size 0
		.amdhsa_kernarg_size 156
		.amdhsa_user_sgpr_count 6
		.amdhsa_user_sgpr_private_segment_buffer 1
		.amdhsa_user_sgpr_dispatch_ptr 0
		.amdhsa_user_sgpr_queue_ptr 0
		.amdhsa_user_sgpr_kernarg_segment_ptr 1
		.amdhsa_user_sgpr_dispatch_id 0
		.amdhsa_user_sgpr_flat_scratch_init 0
		.amdhsa_user_sgpr_private_segment_size 0
		.amdhsa_wavefront_size32 1
		.amdhsa_uses_dynamic_stack 0
		.amdhsa_system_sgpr_private_segment_wavefront_offset 0
		.amdhsa_system_sgpr_workgroup_id_x 1
		.amdhsa_system_sgpr_workgroup_id_y 1
		.amdhsa_system_sgpr_workgroup_id_z 1
		.amdhsa_system_sgpr_workgroup_info 0
		.amdhsa_system_vgpr_workitem_id 1
		.amdhsa_next_free_vgpr 127
		.amdhsa_next_free_sgpr 52
		.amdhsa_reserve_vcc 1
		.amdhsa_reserve_flat_scratch 0
		.amdhsa_float_round_mode_32 0
		.amdhsa_float_round_mode_16_64 0
		.amdhsa_float_denorm_mode_32 3
		.amdhsa_float_denorm_mode_16_64 3
		.amdhsa_dx10_clamp 1
		.amdhsa_ieee_mode 1
		.amdhsa_fp16_overflow 0
		.amdhsa_workgroup_processor_mode 1
		.amdhsa_memory_ordered 1
		.amdhsa_forward_progress 1
		.amdhsa_shared_vgpr_count 0
		.amdhsa_exception_fp_ieee_invalid_op 0
		.amdhsa_exception_fp_denorm_src 0
		.amdhsa_exception_fp_ieee_div_zero 0
		.amdhsa_exception_fp_ieee_overflow 0
		.amdhsa_exception_fp_ieee_underflow 0
		.amdhsa_exception_fp_ieee_inexact 0
		.amdhsa_exception_int_div_zero 0
	.end_amdhsa_kernel
	.section	.text._ZN12_GLOBAL__N_135rocblas_gemm_batched_general_kernelI19rocblas_complex_numIdELi16ELi16ELi32ELi32ELi8ELi32ELi8ELi8ELi32ELc84ELc67EKPKS2_S5_KPS2_EEvlllT_PT11_llSA_llS8_PT12_llPT13_lli,"axG",@progbits,_ZN12_GLOBAL__N_135rocblas_gemm_batched_general_kernelI19rocblas_complex_numIdELi16ELi16ELi32ELi32ELi8ELi32ELi8ELi8ELi32ELc84ELc67EKPKS2_S5_KPS2_EEvlllT_PT11_llSA_llS8_PT12_llPT13_lli,comdat
.Lfunc_end277:
	.size	_ZN12_GLOBAL__N_135rocblas_gemm_batched_general_kernelI19rocblas_complex_numIdELi16ELi16ELi32ELi32ELi8ELi32ELi8ELi8ELi32ELc84ELc67EKPKS2_S5_KPS2_EEvlllT_PT11_llSA_llS8_PT12_llPT13_lli, .Lfunc_end277-_ZN12_GLOBAL__N_135rocblas_gemm_batched_general_kernelI19rocblas_complex_numIdELi16ELi16ELi32ELi32ELi8ELi32ELi8ELi8ELi32ELc84ELc67EKPKS2_S5_KPS2_EEvlllT_PT11_llSA_llS8_PT12_llPT13_lli
                                        ; -- End function
	.set _ZN12_GLOBAL__N_135rocblas_gemm_batched_general_kernelI19rocblas_complex_numIdELi16ELi16ELi32ELi32ELi8ELi32ELi8ELi8ELi32ELc84ELc67EKPKS2_S5_KPS2_EEvlllT_PT11_llSA_llS8_PT12_llPT13_lli.num_vgpr, 127
	.set _ZN12_GLOBAL__N_135rocblas_gemm_batched_general_kernelI19rocblas_complex_numIdELi16ELi16ELi32ELi32ELi8ELi32ELi8ELi8ELi32ELc84ELc67EKPKS2_S5_KPS2_EEvlllT_PT11_llSA_llS8_PT12_llPT13_lli.num_agpr, 0
	.set _ZN12_GLOBAL__N_135rocblas_gemm_batched_general_kernelI19rocblas_complex_numIdELi16ELi16ELi32ELi32ELi8ELi32ELi8ELi8ELi32ELc84ELc67EKPKS2_S5_KPS2_EEvlllT_PT11_llSA_llS8_PT12_llPT13_lli.numbered_sgpr, 52
	.set _ZN12_GLOBAL__N_135rocblas_gemm_batched_general_kernelI19rocblas_complex_numIdELi16ELi16ELi32ELi32ELi8ELi32ELi8ELi8ELi32ELc84ELc67EKPKS2_S5_KPS2_EEvlllT_PT11_llSA_llS8_PT12_llPT13_lli.num_named_barrier, 0
	.set _ZN12_GLOBAL__N_135rocblas_gemm_batched_general_kernelI19rocblas_complex_numIdELi16ELi16ELi32ELi32ELi8ELi32ELi8ELi8ELi32ELc84ELc67EKPKS2_S5_KPS2_EEvlllT_PT11_llSA_llS8_PT12_llPT13_lli.private_seg_size, 0
	.set _ZN12_GLOBAL__N_135rocblas_gemm_batched_general_kernelI19rocblas_complex_numIdELi16ELi16ELi32ELi32ELi8ELi32ELi8ELi8ELi32ELc84ELc67EKPKS2_S5_KPS2_EEvlllT_PT11_llSA_llS8_PT12_llPT13_lli.uses_vcc, 1
	.set _ZN12_GLOBAL__N_135rocblas_gemm_batched_general_kernelI19rocblas_complex_numIdELi16ELi16ELi32ELi32ELi8ELi32ELi8ELi8ELi32ELc84ELc67EKPKS2_S5_KPS2_EEvlllT_PT11_llSA_llS8_PT12_llPT13_lli.uses_flat_scratch, 0
	.set _ZN12_GLOBAL__N_135rocblas_gemm_batched_general_kernelI19rocblas_complex_numIdELi16ELi16ELi32ELi32ELi8ELi32ELi8ELi8ELi32ELc84ELc67EKPKS2_S5_KPS2_EEvlllT_PT11_llSA_llS8_PT12_llPT13_lli.has_dyn_sized_stack, 0
	.set _ZN12_GLOBAL__N_135rocblas_gemm_batched_general_kernelI19rocblas_complex_numIdELi16ELi16ELi32ELi32ELi8ELi32ELi8ELi8ELi32ELc84ELc67EKPKS2_S5_KPS2_EEvlllT_PT11_llSA_llS8_PT12_llPT13_lli.has_recursion, 0
	.set _ZN12_GLOBAL__N_135rocblas_gemm_batched_general_kernelI19rocblas_complex_numIdELi16ELi16ELi32ELi32ELi8ELi32ELi8ELi8ELi32ELc84ELc67EKPKS2_S5_KPS2_EEvlllT_PT11_llSA_llS8_PT12_llPT13_lli.has_indirect_call, 0
	.section	.AMDGPU.csdata,"",@progbits
; Kernel info:
; codeLenInByte = 4052
; TotalNumSgprs: 54
; NumVgprs: 127
; ScratchSize: 0
; MemoryBound: 1
; FloatMode: 240
; IeeeMode: 1
; LDSByteSize: 8192 bytes/workgroup (compile time only)
; SGPRBlocks: 0
; VGPRBlocks: 15
; NumSGPRsForWavesPerEU: 54
; NumVGPRsForWavesPerEU: 127
; Occupancy: 8
; WaveLimiterHint : 1
; COMPUTE_PGM_RSRC2:SCRATCH_EN: 0
; COMPUTE_PGM_RSRC2:USER_SGPR: 6
; COMPUTE_PGM_RSRC2:TRAP_HANDLER: 0
; COMPUTE_PGM_RSRC2:TGID_X_EN: 1
; COMPUTE_PGM_RSRC2:TGID_Y_EN: 1
; COMPUTE_PGM_RSRC2:TGID_Z_EN: 1
; COMPUTE_PGM_RSRC2:TIDIG_COMP_CNT: 1
	.section	.text._ZN12_GLOBAL__N_120gemm_ex_scale_kernelILi32ELi32EdPKdPdEEviiT1_T2_lllT3_llli,"axG",@progbits,_ZN12_GLOBAL__N_120gemm_ex_scale_kernelILi32ELi32EdPKdPdEEviiT1_T2_lllT3_llli,comdat
	.globl	_ZN12_GLOBAL__N_120gemm_ex_scale_kernelILi32ELi32EdPKdPdEEviiT1_T2_lllT3_llli ; -- Begin function _ZN12_GLOBAL__N_120gemm_ex_scale_kernelILi32ELi32EdPKdPdEEviiT1_T2_lllT3_llli
	.p2align	8
	.type	_ZN12_GLOBAL__N_120gemm_ex_scale_kernelILi32ELi32EdPKdPdEEviiT1_T2_lllT3_llli,@function
_ZN12_GLOBAL__N_120gemm_ex_scale_kernelILi32ELi32EdPKdPdEEviiT1_T2_lllT3_llli: ; @_ZN12_GLOBAL__N_120gemm_ex_scale_kernelILi32ELi32EdPKdPdEEviiT1_T2_lllT3_llli
; %bb.0:
	s_load_dwordx2 s[0:1], s[4:5], 0x0
	v_lshl_add_u32 v0, s6, 5, v0
	v_lshl_add_u32 v4, s7, 5, v1
	s_waitcnt lgkmcnt(0)
	v_cmp_gt_u32_e32 vcc_lo, s0, v0
	v_cmp_gt_u32_e64 s0, s1, v4
	s_and_b32 s0, vcc_lo, s0
	s_and_saveexec_b32 s1, s0
	s_cbranch_execz .LBB278_5
; %bb.1:
	s_load_dwordx16 s[12:27], s[4:5], 0x8
	v_mov_b32_e32 v1, 0
	s_waitcnt lgkmcnt(0)
	v_cmp_neq_f64_e64 s0, s[12:13], 0
	s_and_b32 vcc_lo, exec_lo, s0
	s_mov_b32 s0, 0
	s_cbranch_vccnz .LBB278_6
; %bb.2:
	v_mov_b32_e32 v2, 0
	v_mov_b32_e32 v3, 0
	s_andn2_b32 vcc_lo, exec_lo, s0
	s_cbranch_vccnz .LBB278_4
.LBB278_3:
	v_mad_u64_u32 v[2:3], null, s18, v4, 0
	s_mul_i32 s1, s21, s8
	s_mul_hi_u32 s2, s20, s8
	s_mul_i32 s0, s20, s8
	s_add_i32 s1, s2, s1
	s_lshl_b64 s[0:1], s[0:1], 3
	v_mad_u64_u32 v[5:6], null, s19, v4, v[3:4]
	s_add_u32 s2, s14, s0
	s_addc_u32 s3, s15, s1
	s_lshl_b64 s[0:1], s[16:17], 3
	s_add_u32 s0, s2, s0
	s_addc_u32 s1, s3, s1
	v_mov_b32_e32 v3, v5
	v_lshlrev_b64 v[5:6], 3, v[0:1]
	v_lshlrev_b64 v[2:3], 3, v[2:3]
	v_add_co_u32 v2, vcc_lo, s0, v2
	v_add_co_ci_u32_e64 v3, null, s1, v3, vcc_lo
	v_add_co_u32 v2, vcc_lo, v2, v5
	v_add_co_ci_u32_e64 v3, null, v3, v6, vcc_lo
	global_load_dwordx2 v[2:3], v[2:3], off
	s_waitcnt vmcnt(0)
	v_mul_f64 v[2:3], s[12:13], v[2:3]
.LBB278_4:
	s_load_dwordx2 s[0:1], s[4:5], 0x48
	v_mad_u64_u32 v[5:6], null, s26, v4, 0
	v_lshlrev_b64 v[0:1], 3, v[0:1]
	v_mad_u64_u32 v[6:7], null, s27, v4, v[6:7]
	v_lshlrev_b64 v[4:5], 3, v[5:6]
	s_waitcnt lgkmcnt(0)
	s_mul_i32 s1, s1, s8
	s_mul_hi_u32 s2, s0, s8
	s_mul_i32 s0, s0, s8
	s_add_i32 s1, s2, s1
	s_lshl_b64 s[0:1], s[0:1], 3
	s_add_u32 s2, s22, s0
	s_addc_u32 s3, s23, s1
	s_lshl_b64 s[0:1], s[24:25], 3
	s_add_u32 s0, s2, s0
	s_addc_u32 s1, s3, s1
	v_add_co_u32 v4, vcc_lo, s0, v4
	v_add_co_ci_u32_e64 v5, null, s1, v5, vcc_lo
	v_add_co_u32 v0, vcc_lo, v4, v0
	v_add_co_ci_u32_e64 v1, null, v5, v1, vcc_lo
	global_store_dwordx2 v[0:1], v[2:3], off
.LBB278_5:
	s_endpgm
.LBB278_6:
	v_mov_b32_e32 v2, 0
	v_mov_b32_e32 v3, 0
	s_branch .LBB278_3
	.section	.rodata,"a",@progbits
	.p2align	6, 0x0
	.amdhsa_kernel _ZN12_GLOBAL__N_120gemm_ex_scale_kernelILi32ELi32EdPKdPdEEviiT1_T2_lllT3_llli
		.amdhsa_group_segment_fixed_size 0
		.amdhsa_private_segment_fixed_size 0
		.amdhsa_kernarg_size 84
		.amdhsa_user_sgpr_count 6
		.amdhsa_user_sgpr_private_segment_buffer 1
		.amdhsa_user_sgpr_dispatch_ptr 0
		.amdhsa_user_sgpr_queue_ptr 0
		.amdhsa_user_sgpr_kernarg_segment_ptr 1
		.amdhsa_user_sgpr_dispatch_id 0
		.amdhsa_user_sgpr_flat_scratch_init 0
		.amdhsa_user_sgpr_private_segment_size 0
		.amdhsa_wavefront_size32 1
		.amdhsa_uses_dynamic_stack 0
		.amdhsa_system_sgpr_private_segment_wavefront_offset 0
		.amdhsa_system_sgpr_workgroup_id_x 1
		.amdhsa_system_sgpr_workgroup_id_y 1
		.amdhsa_system_sgpr_workgroup_id_z 1
		.amdhsa_system_sgpr_workgroup_info 0
		.amdhsa_system_vgpr_workitem_id 1
		.amdhsa_next_free_vgpr 8
		.amdhsa_next_free_sgpr 28
		.amdhsa_reserve_vcc 1
		.amdhsa_reserve_flat_scratch 0
		.amdhsa_float_round_mode_32 0
		.amdhsa_float_round_mode_16_64 0
		.amdhsa_float_denorm_mode_32 3
		.amdhsa_float_denorm_mode_16_64 3
		.amdhsa_dx10_clamp 1
		.amdhsa_ieee_mode 1
		.amdhsa_fp16_overflow 0
		.amdhsa_workgroup_processor_mode 1
		.amdhsa_memory_ordered 1
		.amdhsa_forward_progress 1
		.amdhsa_shared_vgpr_count 0
		.amdhsa_exception_fp_ieee_invalid_op 0
		.amdhsa_exception_fp_denorm_src 0
		.amdhsa_exception_fp_ieee_div_zero 0
		.amdhsa_exception_fp_ieee_overflow 0
		.amdhsa_exception_fp_ieee_underflow 0
		.amdhsa_exception_fp_ieee_inexact 0
		.amdhsa_exception_int_div_zero 0
	.end_amdhsa_kernel
	.section	.text._ZN12_GLOBAL__N_120gemm_ex_scale_kernelILi32ELi32EdPKdPdEEviiT1_T2_lllT3_llli,"axG",@progbits,_ZN12_GLOBAL__N_120gemm_ex_scale_kernelILi32ELi32EdPKdPdEEviiT1_T2_lllT3_llli,comdat
.Lfunc_end278:
	.size	_ZN12_GLOBAL__N_120gemm_ex_scale_kernelILi32ELi32EdPKdPdEEviiT1_T2_lllT3_llli, .Lfunc_end278-_ZN12_GLOBAL__N_120gemm_ex_scale_kernelILi32ELi32EdPKdPdEEviiT1_T2_lllT3_llli
                                        ; -- End function
	.set _ZN12_GLOBAL__N_120gemm_ex_scale_kernelILi32ELi32EdPKdPdEEviiT1_T2_lllT3_llli.num_vgpr, 8
	.set _ZN12_GLOBAL__N_120gemm_ex_scale_kernelILi32ELi32EdPKdPdEEviiT1_T2_lllT3_llli.num_agpr, 0
	.set _ZN12_GLOBAL__N_120gemm_ex_scale_kernelILi32ELi32EdPKdPdEEviiT1_T2_lllT3_llli.numbered_sgpr, 28
	.set _ZN12_GLOBAL__N_120gemm_ex_scale_kernelILi32ELi32EdPKdPdEEviiT1_T2_lllT3_llli.num_named_barrier, 0
	.set _ZN12_GLOBAL__N_120gemm_ex_scale_kernelILi32ELi32EdPKdPdEEviiT1_T2_lllT3_llli.private_seg_size, 0
	.set _ZN12_GLOBAL__N_120gemm_ex_scale_kernelILi32ELi32EdPKdPdEEviiT1_T2_lllT3_llli.uses_vcc, 1
	.set _ZN12_GLOBAL__N_120gemm_ex_scale_kernelILi32ELi32EdPKdPdEEviiT1_T2_lllT3_llli.uses_flat_scratch, 0
	.set _ZN12_GLOBAL__N_120gemm_ex_scale_kernelILi32ELi32EdPKdPdEEviiT1_T2_lllT3_llli.has_dyn_sized_stack, 0
	.set _ZN12_GLOBAL__N_120gemm_ex_scale_kernelILi32ELi32EdPKdPdEEviiT1_T2_lllT3_llli.has_recursion, 0
	.set _ZN12_GLOBAL__N_120gemm_ex_scale_kernelILi32ELi32EdPKdPdEEviiT1_T2_lllT3_llli.has_indirect_call, 0
	.section	.AMDGPU.csdata,"",@progbits
; Kernel info:
; codeLenInByte = 372
; TotalNumSgprs: 30
; NumVgprs: 8
; ScratchSize: 0
; MemoryBound: 0
; FloatMode: 240
; IeeeMode: 1
; LDSByteSize: 0 bytes/workgroup (compile time only)
; SGPRBlocks: 0
; VGPRBlocks: 0
; NumSGPRsForWavesPerEU: 30
; NumVGPRsForWavesPerEU: 8
; Occupancy: 16
; WaveLimiterHint : 0
; COMPUTE_PGM_RSRC2:SCRATCH_EN: 0
; COMPUTE_PGM_RSRC2:USER_SGPR: 6
; COMPUTE_PGM_RSRC2:TRAP_HANDLER: 0
; COMPUTE_PGM_RSRC2:TGID_X_EN: 1
; COMPUTE_PGM_RSRC2:TGID_Y_EN: 1
; COMPUTE_PGM_RSRC2:TGID_Z_EN: 1
; COMPUTE_PGM_RSRC2:TIDIG_COMP_CNT: 1
	.section	.text._ZN12_GLOBAL__N_127rocblas_gemm_batched_kernelIdLi16ELi16ELi64ELi64ELi4ELi64ELi4ELi4ELi64ELc78ELc78EKdS1_dEEvlllT_PT11_llS4_llS2_PT12_llPT13_lli,"axG",@progbits,_ZN12_GLOBAL__N_127rocblas_gemm_batched_kernelIdLi16ELi16ELi64ELi64ELi4ELi64ELi4ELi4ELi64ELc78ELc78EKdS1_dEEvlllT_PT11_llS4_llS2_PT12_llPT13_lli,comdat
	.globl	_ZN12_GLOBAL__N_127rocblas_gemm_batched_kernelIdLi16ELi16ELi64ELi64ELi4ELi64ELi4ELi4ELi64ELc78ELc78EKdS1_dEEvlllT_PT11_llS4_llS2_PT12_llPT13_lli ; -- Begin function _ZN12_GLOBAL__N_127rocblas_gemm_batched_kernelIdLi16ELi16ELi64ELi64ELi4ELi64ELi4ELi4ELi64ELc78ELc78EKdS1_dEEvlllT_PT11_llS4_llS2_PT12_llPT13_lli
	.p2align	8
	.type	_ZN12_GLOBAL__N_127rocblas_gemm_batched_kernelIdLi16ELi16ELi64ELi64ELi4ELi64ELi4ELi4ELi64ELc78ELc78EKdS1_dEEvlllT_PT11_llS4_llS2_PT12_llPT13_lli,@function
_ZN12_GLOBAL__N_127rocblas_gemm_batched_kernelIdLi16ELi16ELi64ELi64ELi4ELi64ELi4ELi4ELi64ELc78ELc78EKdS1_dEEvlllT_PT11_llS4_llS2_PT12_llPT13_lli: ; @_ZN12_GLOBAL__N_127rocblas_gemm_batched_kernelIdLi16ELi16ELi64ELi64ELi4ELi64ELi4ELi4ELi64ELc78ELc78EKdS1_dEEvlllT_PT11_llS4_llS2_PT12_llPT13_lli
; %bb.0:
	s_load_dwordx16 s[12:27], s[4:5], 0x10
	s_mov_b32 s0, s7
	s_ashr_i32 s7, s6, 31
	s_ashr_i32 s1, s0, 31
	s_lshl_b64 s[10:11], s[6:7], 6
	s_lshl_b64 s[28:29], s[0:1], 6
	s_waitcnt lgkmcnt(0)
	v_cmp_lt_i64_e64 s2, s[12:13], 1
	s_and_b32 vcc_lo, exec_lo, s2
	s_cbranch_vccnz .LBB279_3
; %bb.1:
	v_lshl_add_u32 v4, v1, 4, v0
	v_and_b32_e32 v5, 3, v0
	s_mul_i32 s1, s27, s8
	s_mul_hi_u32 s2, s26, s8
	s_mul_i32 s3, s21, s8
	v_lshrrev_b32_e32 v6, 2, v4
	v_lshlrev_b32_e32 v11, 3, v5
	v_lshrrev_b32_e32 v9, 6, v4
	v_and_b32_e32 v10, 63, v4
	s_add_i32 s1, s2, s1
	v_add_co_u32 v2, s0, v6, s28
	v_add_co_ci_u32_e64 v3, null, 0, s29, s0
	v_lshl_or_b32 v6, v6, 5, v11
	v_mul_lo_u32 v7, s25, v2
	s_mul_i32 s0, s26, s8
	v_mul_lo_u32 v8, s24, v3
	v_mad_u64_u32 v[2:3], null, s24, v2, 0
	v_mad_u64_u32 v[4:5], null, s18, v9, s[10:11]
	s_lshl_b64 s[0:1], s[0:1], 3
	v_add_nc_u32_e32 v41, 0x800, v6
	s_mul_hi_u32 s6, s20, s8
	v_mov_b32_e32 v12, 0
	v_add3_u32 v3, v3, v8, v7
	v_lshlrev_b32_e32 v7, 3, v10
	v_mov_b32_e32 v14, 0
	v_mov_b32_e32 v18, 0
	;; [unrolled: 1-line block ×3, first 2 shown]
	v_lshlrev_b64 v[2:3], 3, v[2:3]
	v_lshl_or_b32 v40, v9, 9, v7
	v_mov_b32_e32 v20, 0
	v_mov_b32_e32 v22, 0
	;; [unrolled: 1-line block ×4, first 2 shown]
	v_add_co_u32 v6, vcc_lo, v2, s0
	v_add_co_ci_u32_e64 v7, null, s1, v3, vcc_lo
	s_add_i32 s1, s6, s3
	v_mad_u64_u32 v[2:3], null, s19, v9, v[5:6]
	v_add_co_u32 v5, vcc_lo, v6, v11
	v_add_co_ci_u32_e64 v6, null, 0, v7, vcc_lo
	v_add_co_u32 v3, vcc_lo, v4, v10
	v_add_co_ci_u32_e64 v4, null, 0, v2, vcc_lo
	s_mul_i32 s0, s20, s8
	v_add_co_u32 v34, vcc_lo, s22, v5
	v_lshlrev_b64 v[36:37], 3, v[3:4]
	s_lshl_b64 s[0:1], s[0:1], 3
	v_add_co_ci_u32_e64 v35, null, s23, v6, vcc_lo
	s_add_u32 s0, s16, s0
	s_addc_u32 s1, s17, s1
	v_add_co_u32 v36, vcc_lo, s0, v36
	v_mov_b32_e32 v2, 0
	v_mov_b32_e32 v4, 0
	;; [unrolled: 1-line block ×8, first 2 shown]
	v_lshlrev_b32_e32 v38, 3, v0
	v_lshl_add_u32 v39, v1, 5, 0x800
	v_mov_b32_e32 v3, 0
	v_mov_b32_e32 v5, 0
	;; [unrolled: 1-line block ×16, first 2 shown]
	v_add_co_ci_u32_e64 v37, null, s1, v37, vcc_lo
	s_lshl_b64 s[0:1], s[18:19], 5
	s_mov_b64 s[2:3], 0
.LBB279_2:                              ; =>This Inner Loop Header: Depth=1
	global_load_dwordx2 v[42:43], v[36:37], off
	global_load_dwordx2 v[44:45], v[34:35], off
	s_add_u32 s2, s2, 4
	s_addc_u32 s3, s3, 0
	v_add_co_u32 v34, vcc_lo, v34, 32
	v_cmp_lt_i64_e64 s6, s[2:3], s[12:13]
	v_add_co_ci_u32_e64 v35, null, 0, v35, vcc_lo
	v_add_co_u32 v36, vcc_lo, v36, s0
	v_add_co_ci_u32_e64 v37, null, s1, v37, vcc_lo
	s_and_b32 vcc_lo, exec_lo, s6
	s_waitcnt vmcnt(1)
	ds_write_b64 v40, v[42:43]
	s_waitcnt vmcnt(0)
	ds_write_b64 v41, v[44:45]
	s_waitcnt lgkmcnt(0)
	s_barrier
	buffer_gl0_inv
	ds_read_b128 v[42:45], v39
	ds_read2_b64 v[46:49], v38 offset1:16
	ds_read_b128 v[50:53], v39 offset:512
	ds_read_b128 v[54:57], v39 offset:16
	;; [unrolled: 1-line block ×3, first 2 shown]
	s_waitcnt lgkmcnt(3)
	v_fma_f64 v[74:75], v[48:49], v[42:43], v[30:31]
	s_waitcnt lgkmcnt(2)
	v_fma_f64 v[76:77], v[46:47], v[50:51], v[28:29]
	ds_read_b128 v[28:31], v39 offset:1024
	ds_read_b128 v[62:65], v39 offset:1040
	;; [unrolled: 1-line block ×4, first 2 shown]
	v_fma_f64 v[32:33], v[46:47], v[42:43], v[32:33]
	v_fma_f64 v[22:23], v[48:49], v[50:51], v[22:23]
	s_waitcnt lgkmcnt(3)
	v_fma_f64 v[18:19], v[46:47], v[28:29], v[18:19]
	v_fma_f64 v[14:15], v[48:49], v[28:29], v[14:15]
	s_waitcnt lgkmcnt(1)
	v_fma_f64 v[46:47], v[46:47], v[66:67], v[8:9]
	v_fma_f64 v[48:49], v[48:49], v[66:67], v[6:7]
	ds_read2_b64 v[6:9], v38 offset0:32 offset1:48
	s_waitcnt lgkmcnt(0)
	v_fma_f64 v[26:27], v[6:7], v[42:43], v[26:27]
	v_fma_f64 v[24:25], v[8:9], v[42:43], v[24:25]
	;; [unrolled: 1-line block ×8, first 2 shown]
	ds_read2_b64 v[2:5], v38 offset0:64 offset1:80
	ds_read2_b64 v[6:9], v38 offset0:96 offset1:112
	s_waitcnt lgkmcnt(1)
	v_fma_f64 v[32:33], v[2:3], v[44:45], v[32:33]
	v_fma_f64 v[50:51], v[4:5], v[44:45], v[74:75]
	s_waitcnt lgkmcnt(0)
	v_fma_f64 v[26:27], v[6:7], v[44:45], v[26:27]
	v_fma_f64 v[24:25], v[8:9], v[44:45], v[24:25]
	v_fma_f64 v[44:45], v[2:3], v[52:53], v[76:77]
	v_fma_f64 v[22:23], v[4:5], v[52:53], v[22:23]
	v_fma_f64 v[18:19], v[2:3], v[30:31], v[18:19]
	v_fma_f64 v[14:15], v[4:5], v[30:31], v[14:15]
	v_fma_f64 v[12:13], v[6:7], v[30:31], v[12:13]
	v_fma_f64 v[10:11], v[8:9], v[30:31], v[10:11]
	v_fma_f64 v[30:31], v[2:3], v[68:69], v[46:47]
	v_fma_f64 v[46:47], v[4:5], v[68:69], v[48:49]
	ds_read2_b64 v[2:5], v38 offset0:128 offset1:144
	v_fma_f64 v[20:21], v[6:7], v[52:53], v[20:21]
	v_fma_f64 v[16:17], v[8:9], v[52:53], v[16:17]
	v_fma_f64 v[6:7], v[6:7], v[68:69], v[28:29]
	v_fma_f64 v[8:9], v[8:9], v[68:69], v[42:43]
	s_waitcnt lgkmcnt(0)
	v_fma_f64 v[28:29], v[2:3], v[54:55], v[32:33]
	v_fma_f64 v[42:43], v[4:5], v[54:55], v[50:51]
	;; [unrolled: 1-line block ×8, first 2 shown]
	ds_read2_b64 v[2:5], v38 offset0:160 offset1:176
	s_waitcnt lgkmcnt(0)
	v_fma_f64 v[26:27], v[2:3], v[54:55], v[26:27]
	v_fma_f64 v[24:25], v[4:5], v[54:55], v[24:25]
	;; [unrolled: 1-line block ×8, first 2 shown]
	ds_read2_b64 v[2:5], v38 offset0:192 offset1:208
	s_waitcnt lgkmcnt(0)
	v_fma_f64 v[30:31], v[4:5], v[56:57], v[42:43]
	ds_read2_b64 v[42:45], v38 offset0:224 offset1:240
	v_fma_f64 v[32:33], v[2:3], v[56:57], v[28:29]
	v_fma_f64 v[28:29], v[2:3], v[60:61], v[48:49]
	;; [unrolled: 1-line block ×7, first 2 shown]
	s_waitcnt lgkmcnt(0)
	s_barrier
	buffer_gl0_inv
	v_fma_f64 v[26:27], v[42:43], v[56:57], v[26:27]
	v_fma_f64 v[24:25], v[44:45], v[56:57], v[24:25]
	;; [unrolled: 1-line block ×8, first 2 shown]
	s_cbranch_vccnz .LBB279_2
	s_branch .LBB279_4
.LBB279_3:
	v_mov_b32_e32 v32, 0
	v_mov_b32_e32 v30, 0
	;; [unrolled: 1-line block ×32, first 2 shown]
.LBB279_4:
	s_clause 0x1
	s_load_dwordx8 s[16:23], s[4:5], 0x50
	s_load_dwordx8 s[0:7], s[4:5], 0x70
	s_waitcnt lgkmcnt(0)
	v_cmp_neq_f64_e64 s6, s[16:17], 0
	s_mul_i32 s5, s5, s8
	s_mul_hi_u32 s7, s4, s8
	s_mul_i32 s4, s4, s8
	s_add_i32 s5, s7, s5
	v_add_co_u32 v34, s7, s28, v1
	v_add_co_ci_u32_e64 v37, null, s29, 0, s7
	v_add_co_u32 v0, s7, s10, v0
	v_add_co_ci_u32_e64 v1, null, s11, 0, s7
	v_mul_lo_u32 v35, v37, s2
	v_mul_lo_u32 v36, v34, s3
	s_lshl_b64 s[4:5], s[4:5], 3
	v_lshlrev_b64 v[0:1], 3, v[0:1]
	s_add_u32 s0, s0, s4
	s_addc_u32 s1, s1, s5
	s_and_b32 vcc_lo, exec_lo, s6
	s_cbranch_vccnz .LBB279_8
; %bb.5:
	v_mad_u64_u32 v[38:39], null, v34, s2, 0
	v_mul_f64 v[40:41], s[14:15], v[32:33]
	v_mul_f64 v[42:43], s[14:15], v[30:31]
	;; [unrolled: 1-line block ×6, first 2 shown]
	v_add3_u32 v39, v39, v36, v35
	v_mul_f64 v[52:53], s[14:15], v[20:21]
	s_lshl_b64 s[4:5], s[2:3], 7
	v_lshlrev_b64 v[38:39], 3, v[38:39]
	v_add_co_u32 v54, vcc_lo, s0, v38
	v_add_co_ci_u32_e64 v55, null, s1, v39, vcc_lo
	v_mul_f64 v[38:39], s[14:15], v[16:17]
	v_add_co_u32 v58, vcc_lo, v54, s4
	v_add_co_ci_u32_e64 v59, null, s5, v55, vcc_lo
	v_add_co_u32 v54, vcc_lo, v54, v0
	v_add_co_ci_u32_e64 v55, null, v55, v1, vcc_lo
	;; [unrolled: 2-line block ×3, first 2 shown]
	global_store_dwordx2 v[54:55], v[40:41], off
	global_store_dwordx2 v[54:55], v[42:43], off offset:128
	global_store_dwordx2 v[54:55], v[44:45], off offset:256
	global_store_dwordx2 v[54:55], v[46:47], off offset:384
	global_store_dwordx2 v[56:57], v[48:49], off
	global_store_dwordx2 v[56:57], v[50:51], off offset:128
	global_store_dwordx2 v[56:57], v[52:53], off offset:256
	v_mul_f64 v[40:41], s[14:15], v[18:19]
	v_mul_f64 v[54:55], s[14:15], v[2:3]
	;; [unrolled: 1-line block ×7, first 2 shown]
	v_add_co_u32 v58, vcc_lo, v58, s4
	v_mul_f64 v[52:53], s[14:15], v[4:5]
	v_add_co_ci_u32_e64 v59, null, s5, v59, vcc_lo
	global_store_dwordx2 v[56:57], v[38:39], off offset:384
	v_add_co_u32 v56, vcc_lo, v58, s4
	v_add_co_ci_u32_e64 v57, null, s5, v59, vcc_lo
	v_add_co_u32 v38, vcc_lo, v58, v0
	v_add_co_ci_u32_e64 v39, null, v59, v1, vcc_lo
	v_add_co_u32 v56, vcc_lo, v56, v0
	v_add_co_ci_u32_e64 v57, null, v57, v1, vcc_lo
	global_store_dwordx2 v[38:39], v[40:41], off
	global_store_dwordx2 v[38:39], v[42:43], off offset:128
	global_store_dwordx2 v[38:39], v[44:45], off offset:256
	;; [unrolled: 1-line block ×3, first 2 shown]
	global_store_dwordx2 v[56:57], v[48:49], off
	global_store_dwordx2 v[56:57], v[50:51], off offset:128
	global_store_dwordx2 v[56:57], v[52:53], off offset:256
	;; [unrolled: 1-line block ×3, first 2 shown]
	s_cbranch_execnz .LBB279_7
.LBB279_6:
	v_mul_lo_u32 v39, v37, s20
	v_mul_lo_u32 v40, v34, s21
	v_mad_u64_u32 v[37:38], null, v34, s20, 0
	s_mul_i32 s5, s23, s8
	s_mul_hi_u32 s6, s22, s8
	s_mul_i32 s4, s22, s8
	s_add_i32 s5, s6, s5
	v_mad_u64_u32 v[41:42], null, v34, s2, 0
	v_add3_u32 v38, v38, v40, v39
	s_lshl_b64 s[4:5], s[4:5], 3
	s_add_u32 s4, s18, s4
	s_addc_u32 s5, s19, s5
	v_lshlrev_b64 v[37:38], 3, v[37:38]
	v_add3_u32 v42, v42, v36, v35
	s_lshl_b64 s[2:3], s[2:3], 7
	v_lshlrev_b64 v[34:35], 3, v[41:42]
	v_add_co_u32 v43, vcc_lo, s4, v37
	v_add_co_ci_u32_e64 v44, null, s5, v38, vcc_lo
	v_add_co_u32 v37, vcc_lo, v43, v0
	v_add_co_ci_u32_e64 v38, null, v44, v1, vcc_lo
	v_add_co_u32 v36, vcc_lo, s0, v34
	global_load_dwordx2 v[39:40], v[37:38], off
	s_waitcnt vmcnt(0)
	v_mul_f64 v[39:40], s[16:17], v[39:40]
	v_fma_f64 v[32:33], s[14:15], v[32:33], v[39:40]
	v_add_co_ci_u32_e64 v39, null, s1, v35, vcc_lo
	v_add_co_u32 v34, vcc_lo, v36, v0
	s_lshl_b64 s[0:1], s[20:21], 7
	v_add_co_ci_u32_e64 v35, null, v39, v1, vcc_lo
	global_store_dwordx2 v[34:35], v[32:33], off
	global_load_dwordx2 v[32:33], v[37:38], off offset:128
	s_waitcnt vmcnt(0)
	v_mul_f64 v[32:33], s[16:17], v[32:33]
	v_fma_f64 v[30:31], s[14:15], v[30:31], v[32:33]
	global_store_dwordx2 v[34:35], v[30:31], off offset:128
	global_load_dwordx2 v[30:31], v[37:38], off offset:256
	s_waitcnt vmcnt(0)
	v_mul_f64 v[30:31], s[16:17], v[30:31]
	v_fma_f64 v[26:27], s[14:15], v[26:27], v[30:31]
	v_add_co_u32 v30, vcc_lo, v43, s0
	v_add_co_ci_u32_e64 v31, null, s1, v44, vcc_lo
	global_store_dwordx2 v[34:35], v[26:27], off offset:256
	global_load_dwordx2 v[26:27], v[37:38], off offset:384
	s_waitcnt vmcnt(0)
	v_mul_f64 v[26:27], s[16:17], v[26:27]
	v_fma_f64 v[24:25], s[14:15], v[24:25], v[26:27]
	v_add_co_u32 v26, vcc_lo, v30, v0
	v_add_co_ci_u32_e64 v27, null, v31, v1, vcc_lo
	v_add_co_u32 v32, vcc_lo, v36, s2
	v_add_co_ci_u32_e64 v33, null, s3, v39, vcc_lo
	global_store_dwordx2 v[34:35], v[24:25], off offset:384
	global_load_dwordx2 v[24:25], v[26:27], off
	s_waitcnt vmcnt(0)
	v_mul_f64 v[24:25], s[16:17], v[24:25]
	v_fma_f64 v[24:25], s[14:15], v[28:29], v[24:25]
	v_add_co_u32 v28, vcc_lo, v32, v0
	v_add_co_ci_u32_e64 v29, null, v33, v1, vcc_lo
	global_store_dwordx2 v[28:29], v[24:25], off
	global_load_dwordx2 v[24:25], v[26:27], off offset:128
	s_waitcnt vmcnt(0)
	v_mul_f64 v[24:25], s[16:17], v[24:25]
	v_fma_f64 v[22:23], s[14:15], v[22:23], v[24:25]
	global_store_dwordx2 v[28:29], v[22:23], off offset:128
	global_load_dwordx2 v[22:23], v[26:27], off offset:256
	s_waitcnt vmcnt(0)
	v_mul_f64 v[22:23], s[16:17], v[22:23]
	v_fma_f64 v[20:21], s[14:15], v[20:21], v[22:23]
	v_add_co_u32 v22, vcc_lo, v30, s0
	v_add_co_ci_u32_e64 v23, null, s1, v31, vcc_lo
	global_store_dwordx2 v[28:29], v[20:21], off offset:256
	global_load_dwordx2 v[20:21], v[26:27], off offset:384
	s_waitcnt vmcnt(0)
	v_mul_f64 v[20:21], s[16:17], v[20:21]
	v_fma_f64 v[16:17], s[14:15], v[16:17], v[20:21]
	v_add_co_u32 v20, vcc_lo, v22, v0
	v_add_co_ci_u32_e64 v21, null, v23, v1, vcc_lo
	v_add_co_u32 v24, vcc_lo, v32, s2
	v_add_co_ci_u32_e64 v25, null, s3, v33, vcc_lo
	global_store_dwordx2 v[28:29], v[16:17], off offset:384
	global_load_dwordx2 v[16:17], v[20:21], off
	s_waitcnt vmcnt(0)
	v_mul_f64 v[16:17], s[16:17], v[16:17]
	v_fma_f64 v[16:17], s[14:15], v[18:19], v[16:17]
	v_add_co_u32 v18, vcc_lo, v24, v0
	v_add_co_ci_u32_e64 v19, null, v25, v1, vcc_lo
	global_store_dwordx2 v[18:19], v[16:17], off
	global_load_dwordx2 v[16:17], v[20:21], off offset:128
	s_waitcnt vmcnt(0)
	v_mul_f64 v[16:17], s[16:17], v[16:17]
	v_fma_f64 v[14:15], s[14:15], v[14:15], v[16:17]
	global_store_dwordx2 v[18:19], v[14:15], off offset:128
	global_load_dwordx2 v[14:15], v[20:21], off offset:256
	s_waitcnt vmcnt(0)
	v_mul_f64 v[14:15], s[16:17], v[14:15]
	v_fma_f64 v[12:13], s[14:15], v[12:13], v[14:15]
	global_store_dwordx2 v[18:19], v[12:13], off offset:256
	global_load_dwordx2 v[12:13], v[20:21], off offset:384
	s_waitcnt vmcnt(0)
	v_mul_f64 v[12:13], s[16:17], v[12:13]
	v_fma_f64 v[10:11], s[14:15], v[10:11], v[12:13]
	v_add_co_u32 v12, vcc_lo, v22, s0
	v_add_co_ci_u32_e64 v13, null, s1, v23, vcc_lo
	v_add_co_u32 v12, vcc_lo, v12, v0
	v_add_co_ci_u32_e64 v13, null, v13, v1, vcc_lo
	global_store_dwordx2 v[18:19], v[10:11], off offset:384
	global_load_dwordx2 v[10:11], v[12:13], off
	s_waitcnt vmcnt(0)
	v_mul_f64 v[10:11], s[16:17], v[10:11]
	v_fma_f64 v[8:9], s[14:15], v[8:9], v[10:11]
	v_add_co_u32 v10, vcc_lo, v24, s2
	v_add_co_ci_u32_e64 v11, null, s3, v25, vcc_lo
	v_add_co_u32 v0, vcc_lo, v10, v0
	v_add_co_ci_u32_e64 v1, null, v11, v1, vcc_lo
	global_store_dwordx2 v[0:1], v[8:9], off
	global_load_dwordx2 v[8:9], v[12:13], off offset:128
	s_waitcnt vmcnt(0)
	v_mul_f64 v[8:9], s[16:17], v[8:9]
	v_fma_f64 v[6:7], s[14:15], v[6:7], v[8:9]
	global_store_dwordx2 v[0:1], v[6:7], off offset:128
	global_load_dwordx2 v[6:7], v[12:13], off offset:256
	s_waitcnt vmcnt(0)
	v_mul_f64 v[6:7], s[16:17], v[6:7]
	v_fma_f64 v[4:5], s[14:15], v[4:5], v[6:7]
	global_store_dwordx2 v[0:1], v[4:5], off offset:256
	global_load_dwordx2 v[4:5], v[12:13], off offset:384
	s_waitcnt vmcnt(0)
	v_mul_f64 v[4:5], s[16:17], v[4:5]
	v_fma_f64 v[2:3], s[14:15], v[2:3], v[4:5]
	global_store_dwordx2 v[0:1], v[2:3], off offset:384
.LBB279_7:
	s_endpgm
.LBB279_8:
	s_branch .LBB279_6
	.section	.rodata,"a",@progbits
	.p2align	6, 0x0
	.amdhsa_kernel _ZN12_GLOBAL__N_127rocblas_gemm_batched_kernelIdLi16ELi16ELi64ELi64ELi4ELi64ELi4ELi4ELi64ELc78ELc78EKdS1_dEEvlllT_PT11_llS4_llS2_PT12_llPT13_lli
		.amdhsa_group_segment_fixed_size 4096
		.amdhsa_private_segment_fixed_size 0
		.amdhsa_kernarg_size 140
		.amdhsa_user_sgpr_count 6
		.amdhsa_user_sgpr_private_segment_buffer 1
		.amdhsa_user_sgpr_dispatch_ptr 0
		.amdhsa_user_sgpr_queue_ptr 0
		.amdhsa_user_sgpr_kernarg_segment_ptr 1
		.amdhsa_user_sgpr_dispatch_id 0
		.amdhsa_user_sgpr_flat_scratch_init 0
		.amdhsa_user_sgpr_private_segment_size 0
		.amdhsa_wavefront_size32 1
		.amdhsa_uses_dynamic_stack 0
		.amdhsa_system_sgpr_private_segment_wavefront_offset 0
		.amdhsa_system_sgpr_workgroup_id_x 1
		.amdhsa_system_sgpr_workgroup_id_y 1
		.amdhsa_system_sgpr_workgroup_id_z 1
		.amdhsa_system_sgpr_workgroup_info 0
		.amdhsa_system_vgpr_workitem_id 1
		.amdhsa_next_free_vgpr 78
		.amdhsa_next_free_sgpr 30
		.amdhsa_reserve_vcc 1
		.amdhsa_reserve_flat_scratch 0
		.amdhsa_float_round_mode_32 0
		.amdhsa_float_round_mode_16_64 0
		.amdhsa_float_denorm_mode_32 3
		.amdhsa_float_denorm_mode_16_64 3
		.amdhsa_dx10_clamp 1
		.amdhsa_ieee_mode 1
		.amdhsa_fp16_overflow 0
		.amdhsa_workgroup_processor_mode 1
		.amdhsa_memory_ordered 1
		.amdhsa_forward_progress 1
		.amdhsa_shared_vgpr_count 0
		.amdhsa_exception_fp_ieee_invalid_op 0
		.amdhsa_exception_fp_denorm_src 0
		.amdhsa_exception_fp_ieee_div_zero 0
		.amdhsa_exception_fp_ieee_overflow 0
		.amdhsa_exception_fp_ieee_underflow 0
		.amdhsa_exception_fp_ieee_inexact 0
		.amdhsa_exception_int_div_zero 0
	.end_amdhsa_kernel
	.section	.text._ZN12_GLOBAL__N_127rocblas_gemm_batched_kernelIdLi16ELi16ELi64ELi64ELi4ELi64ELi4ELi4ELi64ELc78ELc78EKdS1_dEEvlllT_PT11_llS4_llS2_PT12_llPT13_lli,"axG",@progbits,_ZN12_GLOBAL__N_127rocblas_gemm_batched_kernelIdLi16ELi16ELi64ELi64ELi4ELi64ELi4ELi4ELi64ELc78ELc78EKdS1_dEEvlllT_PT11_llS4_llS2_PT12_llPT13_lli,comdat
.Lfunc_end279:
	.size	_ZN12_GLOBAL__N_127rocblas_gemm_batched_kernelIdLi16ELi16ELi64ELi64ELi4ELi64ELi4ELi4ELi64ELc78ELc78EKdS1_dEEvlllT_PT11_llS4_llS2_PT12_llPT13_lli, .Lfunc_end279-_ZN12_GLOBAL__N_127rocblas_gemm_batched_kernelIdLi16ELi16ELi64ELi64ELi4ELi64ELi4ELi4ELi64ELc78ELc78EKdS1_dEEvlllT_PT11_llS4_llS2_PT12_llPT13_lli
                                        ; -- End function
	.set _ZN12_GLOBAL__N_127rocblas_gemm_batched_kernelIdLi16ELi16ELi64ELi64ELi4ELi64ELi4ELi4ELi64ELc78ELc78EKdS1_dEEvlllT_PT11_llS4_llS2_PT12_llPT13_lli.num_vgpr, 78
	.set _ZN12_GLOBAL__N_127rocblas_gemm_batched_kernelIdLi16ELi16ELi64ELi64ELi4ELi64ELi4ELi4ELi64ELc78ELc78EKdS1_dEEvlllT_PT11_llS4_llS2_PT12_llPT13_lli.num_agpr, 0
	.set _ZN12_GLOBAL__N_127rocblas_gemm_batched_kernelIdLi16ELi16ELi64ELi64ELi4ELi64ELi4ELi4ELi64ELc78ELc78EKdS1_dEEvlllT_PT11_llS4_llS2_PT12_llPT13_lli.numbered_sgpr, 30
	.set _ZN12_GLOBAL__N_127rocblas_gemm_batched_kernelIdLi16ELi16ELi64ELi64ELi4ELi64ELi4ELi4ELi64ELc78ELc78EKdS1_dEEvlllT_PT11_llS4_llS2_PT12_llPT13_lli.num_named_barrier, 0
	.set _ZN12_GLOBAL__N_127rocblas_gemm_batched_kernelIdLi16ELi16ELi64ELi64ELi4ELi64ELi4ELi4ELi64ELc78ELc78EKdS1_dEEvlllT_PT11_llS4_llS2_PT12_llPT13_lli.private_seg_size, 0
	.set _ZN12_GLOBAL__N_127rocblas_gemm_batched_kernelIdLi16ELi16ELi64ELi64ELi4ELi64ELi4ELi4ELi64ELc78ELc78EKdS1_dEEvlllT_PT11_llS4_llS2_PT12_llPT13_lli.uses_vcc, 1
	.set _ZN12_GLOBAL__N_127rocblas_gemm_batched_kernelIdLi16ELi16ELi64ELi64ELi4ELi64ELi4ELi4ELi64ELc78ELc78EKdS1_dEEvlllT_PT11_llS4_llS2_PT12_llPT13_lli.uses_flat_scratch, 0
	.set _ZN12_GLOBAL__N_127rocblas_gemm_batched_kernelIdLi16ELi16ELi64ELi64ELi4ELi64ELi4ELi4ELi64ELc78ELc78EKdS1_dEEvlllT_PT11_llS4_llS2_PT12_llPT13_lli.has_dyn_sized_stack, 0
	.set _ZN12_GLOBAL__N_127rocblas_gemm_batched_kernelIdLi16ELi16ELi64ELi64ELi4ELi64ELi4ELi4ELi64ELc78ELc78EKdS1_dEEvlllT_PT11_llS4_llS2_PT12_llPT13_lli.has_recursion, 0
	.set _ZN12_GLOBAL__N_127rocblas_gemm_batched_kernelIdLi16ELi16ELi64ELi64ELi4ELi64ELi4ELi4ELi64ELc78ELc78EKdS1_dEEvlllT_PT11_llS4_llS2_PT12_llPT13_lli.has_indirect_call, 0
	.section	.AMDGPU.csdata,"",@progbits
; Kernel info:
; codeLenInByte = 2884
; TotalNumSgprs: 32
; NumVgprs: 78
; ScratchSize: 0
; MemoryBound: 0
; FloatMode: 240
; IeeeMode: 1
; LDSByteSize: 4096 bytes/workgroup (compile time only)
; SGPRBlocks: 0
; VGPRBlocks: 9
; NumSGPRsForWavesPerEU: 32
; NumVGPRsForWavesPerEU: 78
; Occupancy: 12
; WaveLimiterHint : 1
; COMPUTE_PGM_RSRC2:SCRATCH_EN: 0
; COMPUTE_PGM_RSRC2:USER_SGPR: 6
; COMPUTE_PGM_RSRC2:TRAP_HANDLER: 0
; COMPUTE_PGM_RSRC2:TGID_X_EN: 1
; COMPUTE_PGM_RSRC2:TGID_Y_EN: 1
; COMPUTE_PGM_RSRC2:TGID_Z_EN: 1
; COMPUTE_PGM_RSRC2:TIDIG_COMP_CNT: 1
	.section	.text._ZN12_GLOBAL__N_127rocblas_gemm_batched_kernelIdLi16ELi16ELi64ELi64ELi4ELi64ELi4ELi4ELi64ELc84ELc78EKdS1_dEEvlllT_PT11_llS4_llS2_PT12_llPT13_lli,"axG",@progbits,_ZN12_GLOBAL__N_127rocblas_gemm_batched_kernelIdLi16ELi16ELi64ELi64ELi4ELi64ELi4ELi4ELi64ELc84ELc78EKdS1_dEEvlllT_PT11_llS4_llS2_PT12_llPT13_lli,comdat
	.globl	_ZN12_GLOBAL__N_127rocblas_gemm_batched_kernelIdLi16ELi16ELi64ELi64ELi4ELi64ELi4ELi4ELi64ELc84ELc78EKdS1_dEEvlllT_PT11_llS4_llS2_PT12_llPT13_lli ; -- Begin function _ZN12_GLOBAL__N_127rocblas_gemm_batched_kernelIdLi16ELi16ELi64ELi64ELi4ELi64ELi4ELi4ELi64ELc84ELc78EKdS1_dEEvlllT_PT11_llS4_llS2_PT12_llPT13_lli
	.p2align	8
	.type	_ZN12_GLOBAL__N_127rocblas_gemm_batched_kernelIdLi16ELi16ELi64ELi64ELi4ELi64ELi4ELi4ELi64ELc84ELc78EKdS1_dEEvlllT_PT11_llS4_llS2_PT12_llPT13_lli,@function
_ZN12_GLOBAL__N_127rocblas_gemm_batched_kernelIdLi16ELi16ELi64ELi64ELi4ELi64ELi4ELi4ELi64ELc84ELc78EKdS1_dEEvlllT_PT11_llS4_llS2_PT12_llPT13_lli: ; @_ZN12_GLOBAL__N_127rocblas_gemm_batched_kernelIdLi16ELi16ELi64ELi64ELi4ELi64ELi4ELi4ELi64ELc84ELc78EKdS1_dEEvlllT_PT11_llS4_llS2_PT12_llPT13_lli
; %bb.0:
	s_load_dwordx16 s[12:27], s[4:5], 0x10
	s_mov_b32 s0, s7
	s_ashr_i32 s7, s6, 31
	s_ashr_i32 s1, s0, 31
	s_lshl_b64 s[10:11], s[6:7], 6
	s_lshl_b64 s[28:29], s[0:1], 6
	s_waitcnt lgkmcnt(0)
	v_cmp_lt_i64_e64 s2, s[12:13], 1
	s_and_b32 vcc_lo, exec_lo, s2
	s_cbranch_vccnz .LBB280_3
; %bb.1:
	v_lshl_add_u32 v2, v1, 4, v0
	v_and_b32_e32 v3, 3, v0
	s_mul_hi_u32 s1, s26, s8
	v_mov_b32_e32 v12, 0
	v_mov_b32_e32 v14, 0
	v_lshrrev_b32_e32 v4, 2, v2
	v_and_b32_e32 v5, 63, v2
	v_lshlrev_b32_e32 v9, 3, v3
	v_lshrrev_b32_e32 v8, 6, v2
	v_mov_b32_e32 v18, 0
	v_add_co_u32 v6, s0, v4, s28
	v_add_co_ci_u32_e64 v7, null, 0, s29, s0
	v_lshlrev_b32_e32 v10, 3, v5
	v_mul_lo_u32 v11, s25, v6
	v_mad_u64_u32 v[2:3], null, s24, v6, 0
	v_mul_lo_u32 v7, s24, v7
	v_add_co_u32 v5, s0, s10, v5
	v_lshl_or_b32 v4, v4, 5, v9
	v_add_co_ci_u32_e64 v6, null, s11, 0, s0
	s_mul_i32 s0, s27, s8
	v_lshl_or_b32 v39, v8, 9, v10
	v_add_nc_u32_e32 v40, 0x800, v4
	v_add3_u32 v3, v3, v7, v11
	v_mul_lo_u32 v7, s19, v5
	v_mul_lo_u32 v6, s18, v6
	v_mad_u64_u32 v[4:5], null, s18, v5, 0
	v_lshlrev_b64 v[2:3], 3, v[2:3]
	s_add_i32 s1, s1, s0
	s_mul_i32 s0, s26, s8
	v_mov_b32_e32 v10, 0
	s_lshl_b64 s[0:1], s[0:1], 3
	v_mov_b32_e32 v16, 0
	v_add3_u32 v5, v5, v6, v7
	v_add_co_u32 v6, vcc_lo, v2, s0
	v_add_co_ci_u32_e64 v7, null, s1, v3, vcc_lo
	s_mul_i32 s0, s21, s8
	s_mul_hi_u32 s1, s20, s8
	v_lshlrev_b64 v[2:3], 3, v[4:5]
	s_add_i32 s1, s1, s0
	s_mul_i32 s0, s20, s8
	v_add_co_u32 v4, vcc_lo, v6, v9
	s_lshl_b64 s[0:1], s[0:1], 3
	v_add_co_ci_u32_e64 v5, null, 0, v7, vcc_lo
	v_add_co_u32 v2, vcc_lo, v2, s0
	v_lshlrev_b32_e32 v6, 3, v8
	v_add_co_ci_u32_e64 v3, null, s1, v3, vcc_lo
	v_add_co_u32 v34, vcc_lo, s22, v4
	v_add_co_ci_u32_e64 v35, null, s23, v5, vcc_lo
	v_add_co_u32 v36, vcc_lo, v2, v6
	v_add_co_ci_u32_e64 v37, null, 0, v3, vcc_lo
	v_mov_b32_e32 v2, 0
	v_add_co_u32 v36, vcc_lo, s16, v36
	v_mov_b32_e32 v4, 0
	v_mov_b32_e32 v6, 0
	;; [unrolled: 1-line block ×10, first 2 shown]
	v_lshlrev_b32_e32 v38, 3, v0
	v_lshl_add_u32 v41, v1, 5, 0x800
	v_mov_b32_e32 v3, 0
	v_mov_b32_e32 v5, 0
	;; [unrolled: 1-line block ×16, first 2 shown]
	v_add_co_ci_u32_e64 v37, null, s17, v37, vcc_lo
	s_mov_b64 s[0:1], 0
.LBB280_2:                              ; =>This Inner Loop Header: Depth=1
	global_load_dwordx2 v[42:43], v[36:37], off
	global_load_dwordx2 v[44:45], v[34:35], off
	s_add_u32 s0, s0, 4
	s_addc_u32 s1, s1, 0
	v_add_co_u32 v34, vcc_lo, v34, 32
	v_cmp_lt_i64_e64 s2, s[0:1], s[12:13]
	v_add_co_ci_u32_e64 v35, null, 0, v35, vcc_lo
	v_add_co_u32 v36, vcc_lo, v36, 32
	v_add_co_ci_u32_e64 v37, null, 0, v37, vcc_lo
	s_and_b32 vcc_lo, exec_lo, s2
	s_waitcnt vmcnt(1)
	ds_write_b64 v39, v[42:43]
	s_waitcnt vmcnt(0)
	ds_write_b64 v40, v[44:45]
	s_waitcnt lgkmcnt(0)
	s_barrier
	buffer_gl0_inv
	ds_read_b128 v[42:45], v41
	ds_read2_b64 v[46:49], v38 offset1:16
	ds_read_b128 v[50:53], v41 offset:512
	ds_read_b128 v[54:57], v41 offset:16
	;; [unrolled: 1-line block ×3, first 2 shown]
	s_waitcnt lgkmcnt(3)
	v_fma_f64 v[74:75], v[48:49], v[42:43], v[30:31]
	s_waitcnt lgkmcnt(2)
	v_fma_f64 v[76:77], v[46:47], v[50:51], v[28:29]
	ds_read_b128 v[28:31], v41 offset:1024
	ds_read_b128 v[62:65], v41 offset:1040
	;; [unrolled: 1-line block ×4, first 2 shown]
	v_fma_f64 v[32:33], v[46:47], v[42:43], v[32:33]
	v_fma_f64 v[22:23], v[48:49], v[50:51], v[22:23]
	s_waitcnt lgkmcnt(3)
	v_fma_f64 v[18:19], v[46:47], v[28:29], v[18:19]
	v_fma_f64 v[14:15], v[48:49], v[28:29], v[14:15]
	s_waitcnt lgkmcnt(1)
	v_fma_f64 v[46:47], v[46:47], v[66:67], v[8:9]
	v_fma_f64 v[48:49], v[48:49], v[66:67], v[6:7]
	ds_read2_b64 v[6:9], v38 offset0:32 offset1:48
	s_waitcnt lgkmcnt(0)
	v_fma_f64 v[26:27], v[6:7], v[42:43], v[26:27]
	v_fma_f64 v[24:25], v[8:9], v[42:43], v[24:25]
	;; [unrolled: 1-line block ×8, first 2 shown]
	ds_read2_b64 v[2:5], v38 offset0:64 offset1:80
	ds_read2_b64 v[6:9], v38 offset0:96 offset1:112
	s_waitcnt lgkmcnt(1)
	v_fma_f64 v[32:33], v[2:3], v[44:45], v[32:33]
	v_fma_f64 v[50:51], v[4:5], v[44:45], v[74:75]
	s_waitcnt lgkmcnt(0)
	v_fma_f64 v[26:27], v[6:7], v[44:45], v[26:27]
	v_fma_f64 v[24:25], v[8:9], v[44:45], v[24:25]
	;; [unrolled: 1-line block ×10, first 2 shown]
	ds_read2_b64 v[2:5], v38 offset0:128 offset1:144
	v_fma_f64 v[20:21], v[6:7], v[52:53], v[20:21]
	v_fma_f64 v[16:17], v[8:9], v[52:53], v[16:17]
	;; [unrolled: 1-line block ×4, first 2 shown]
	s_waitcnt lgkmcnt(0)
	v_fma_f64 v[28:29], v[2:3], v[54:55], v[32:33]
	v_fma_f64 v[42:43], v[4:5], v[54:55], v[50:51]
	;; [unrolled: 1-line block ×8, first 2 shown]
	ds_read2_b64 v[2:5], v38 offset0:160 offset1:176
	s_waitcnt lgkmcnt(0)
	v_fma_f64 v[26:27], v[2:3], v[54:55], v[26:27]
	v_fma_f64 v[24:25], v[4:5], v[54:55], v[24:25]
	;; [unrolled: 1-line block ×8, first 2 shown]
	ds_read2_b64 v[2:5], v38 offset0:192 offset1:208
	s_waitcnt lgkmcnt(0)
	v_fma_f64 v[30:31], v[4:5], v[56:57], v[42:43]
	ds_read2_b64 v[42:45], v38 offset0:224 offset1:240
	v_fma_f64 v[32:33], v[2:3], v[56:57], v[28:29]
	v_fma_f64 v[28:29], v[2:3], v[60:61], v[48:49]
	;; [unrolled: 1-line block ×7, first 2 shown]
	s_waitcnt lgkmcnt(0)
	s_barrier
	buffer_gl0_inv
	v_fma_f64 v[26:27], v[42:43], v[56:57], v[26:27]
	v_fma_f64 v[24:25], v[44:45], v[56:57], v[24:25]
	;; [unrolled: 1-line block ×8, first 2 shown]
	s_cbranch_vccnz .LBB280_2
	s_branch .LBB280_4
.LBB280_3:
	v_mov_b32_e32 v32, 0
	v_mov_b32_e32 v30, 0
	;; [unrolled: 1-line block ×32, first 2 shown]
.LBB280_4:
	s_clause 0x1
	s_load_dwordx8 s[16:23], s[4:5], 0x50
	s_load_dwordx8 s[0:7], s[4:5], 0x70
	s_waitcnt lgkmcnt(0)
	v_cmp_neq_f64_e64 s6, s[16:17], 0
	s_mul_i32 s5, s5, s8
	s_mul_hi_u32 s7, s4, s8
	s_mul_i32 s4, s4, s8
	s_add_i32 s5, s7, s5
	v_add_co_u32 v34, s7, s28, v1
	v_add_co_ci_u32_e64 v37, null, s29, 0, s7
	v_add_co_u32 v0, s7, s10, v0
	v_add_co_ci_u32_e64 v1, null, s11, 0, s7
	v_mul_lo_u32 v35, v37, s2
	v_mul_lo_u32 v36, v34, s3
	s_lshl_b64 s[4:5], s[4:5], 3
	v_lshlrev_b64 v[0:1], 3, v[0:1]
	s_add_u32 s0, s0, s4
	s_addc_u32 s1, s1, s5
	s_and_b32 vcc_lo, exec_lo, s6
	s_cbranch_vccnz .LBB280_8
; %bb.5:
	v_mad_u64_u32 v[38:39], null, v34, s2, 0
	v_mul_f64 v[40:41], s[14:15], v[32:33]
	v_mul_f64 v[42:43], s[14:15], v[30:31]
	;; [unrolled: 1-line block ×6, first 2 shown]
	v_add3_u32 v39, v39, v36, v35
	v_mul_f64 v[52:53], s[14:15], v[20:21]
	s_lshl_b64 s[4:5], s[2:3], 7
	v_lshlrev_b64 v[38:39], 3, v[38:39]
	v_add_co_u32 v54, vcc_lo, s0, v38
	v_add_co_ci_u32_e64 v55, null, s1, v39, vcc_lo
	v_mul_f64 v[38:39], s[14:15], v[16:17]
	v_add_co_u32 v58, vcc_lo, v54, s4
	v_add_co_ci_u32_e64 v59, null, s5, v55, vcc_lo
	v_add_co_u32 v54, vcc_lo, v54, v0
	v_add_co_ci_u32_e64 v55, null, v55, v1, vcc_lo
	;; [unrolled: 2-line block ×3, first 2 shown]
	global_store_dwordx2 v[54:55], v[40:41], off
	global_store_dwordx2 v[54:55], v[42:43], off offset:128
	global_store_dwordx2 v[54:55], v[44:45], off offset:256
	;; [unrolled: 1-line block ×3, first 2 shown]
	global_store_dwordx2 v[56:57], v[48:49], off
	global_store_dwordx2 v[56:57], v[50:51], off offset:128
	global_store_dwordx2 v[56:57], v[52:53], off offset:256
	v_mul_f64 v[40:41], s[14:15], v[18:19]
	v_mul_f64 v[54:55], s[14:15], v[2:3]
	;; [unrolled: 1-line block ×7, first 2 shown]
	v_add_co_u32 v58, vcc_lo, v58, s4
	v_mul_f64 v[52:53], s[14:15], v[4:5]
	v_add_co_ci_u32_e64 v59, null, s5, v59, vcc_lo
	global_store_dwordx2 v[56:57], v[38:39], off offset:384
	v_add_co_u32 v56, vcc_lo, v58, s4
	v_add_co_ci_u32_e64 v57, null, s5, v59, vcc_lo
	v_add_co_u32 v38, vcc_lo, v58, v0
	v_add_co_ci_u32_e64 v39, null, v59, v1, vcc_lo
	;; [unrolled: 2-line block ×3, first 2 shown]
	global_store_dwordx2 v[38:39], v[40:41], off
	global_store_dwordx2 v[38:39], v[42:43], off offset:128
	global_store_dwordx2 v[38:39], v[44:45], off offset:256
	;; [unrolled: 1-line block ×3, first 2 shown]
	global_store_dwordx2 v[56:57], v[48:49], off
	global_store_dwordx2 v[56:57], v[50:51], off offset:128
	global_store_dwordx2 v[56:57], v[52:53], off offset:256
	;; [unrolled: 1-line block ×3, first 2 shown]
	s_cbranch_execnz .LBB280_7
.LBB280_6:
	v_mul_lo_u32 v39, v37, s20
	v_mul_lo_u32 v40, v34, s21
	v_mad_u64_u32 v[37:38], null, v34, s20, 0
	s_mul_i32 s5, s23, s8
	s_mul_hi_u32 s6, s22, s8
	s_mul_i32 s4, s22, s8
	s_add_i32 s5, s6, s5
	v_mad_u64_u32 v[41:42], null, v34, s2, 0
	v_add3_u32 v38, v38, v40, v39
	s_lshl_b64 s[4:5], s[4:5], 3
	s_add_u32 s4, s18, s4
	s_addc_u32 s5, s19, s5
	v_lshlrev_b64 v[37:38], 3, v[37:38]
	v_add3_u32 v42, v42, v36, v35
	s_lshl_b64 s[2:3], s[2:3], 7
	v_lshlrev_b64 v[34:35], 3, v[41:42]
	v_add_co_u32 v43, vcc_lo, s4, v37
	v_add_co_ci_u32_e64 v44, null, s5, v38, vcc_lo
	v_add_co_u32 v37, vcc_lo, v43, v0
	v_add_co_ci_u32_e64 v38, null, v44, v1, vcc_lo
	v_add_co_u32 v36, vcc_lo, s0, v34
	global_load_dwordx2 v[39:40], v[37:38], off
	s_waitcnt vmcnt(0)
	v_mul_f64 v[39:40], s[16:17], v[39:40]
	v_fma_f64 v[32:33], s[14:15], v[32:33], v[39:40]
	v_add_co_ci_u32_e64 v39, null, s1, v35, vcc_lo
	v_add_co_u32 v34, vcc_lo, v36, v0
	s_lshl_b64 s[0:1], s[20:21], 7
	v_add_co_ci_u32_e64 v35, null, v39, v1, vcc_lo
	global_store_dwordx2 v[34:35], v[32:33], off
	global_load_dwordx2 v[32:33], v[37:38], off offset:128
	s_waitcnt vmcnt(0)
	v_mul_f64 v[32:33], s[16:17], v[32:33]
	v_fma_f64 v[30:31], s[14:15], v[30:31], v[32:33]
	global_store_dwordx2 v[34:35], v[30:31], off offset:128
	global_load_dwordx2 v[30:31], v[37:38], off offset:256
	s_waitcnt vmcnt(0)
	v_mul_f64 v[30:31], s[16:17], v[30:31]
	v_fma_f64 v[26:27], s[14:15], v[26:27], v[30:31]
	v_add_co_u32 v30, vcc_lo, v43, s0
	v_add_co_ci_u32_e64 v31, null, s1, v44, vcc_lo
	global_store_dwordx2 v[34:35], v[26:27], off offset:256
	global_load_dwordx2 v[26:27], v[37:38], off offset:384
	s_waitcnt vmcnt(0)
	v_mul_f64 v[26:27], s[16:17], v[26:27]
	v_fma_f64 v[24:25], s[14:15], v[24:25], v[26:27]
	v_add_co_u32 v26, vcc_lo, v30, v0
	v_add_co_ci_u32_e64 v27, null, v31, v1, vcc_lo
	v_add_co_u32 v32, vcc_lo, v36, s2
	v_add_co_ci_u32_e64 v33, null, s3, v39, vcc_lo
	global_store_dwordx2 v[34:35], v[24:25], off offset:384
	global_load_dwordx2 v[24:25], v[26:27], off
	s_waitcnt vmcnt(0)
	v_mul_f64 v[24:25], s[16:17], v[24:25]
	v_fma_f64 v[24:25], s[14:15], v[28:29], v[24:25]
	v_add_co_u32 v28, vcc_lo, v32, v0
	v_add_co_ci_u32_e64 v29, null, v33, v1, vcc_lo
	global_store_dwordx2 v[28:29], v[24:25], off
	global_load_dwordx2 v[24:25], v[26:27], off offset:128
	s_waitcnt vmcnt(0)
	v_mul_f64 v[24:25], s[16:17], v[24:25]
	v_fma_f64 v[22:23], s[14:15], v[22:23], v[24:25]
	global_store_dwordx2 v[28:29], v[22:23], off offset:128
	global_load_dwordx2 v[22:23], v[26:27], off offset:256
	s_waitcnt vmcnt(0)
	v_mul_f64 v[22:23], s[16:17], v[22:23]
	v_fma_f64 v[20:21], s[14:15], v[20:21], v[22:23]
	v_add_co_u32 v22, vcc_lo, v30, s0
	v_add_co_ci_u32_e64 v23, null, s1, v31, vcc_lo
	global_store_dwordx2 v[28:29], v[20:21], off offset:256
	global_load_dwordx2 v[20:21], v[26:27], off offset:384
	s_waitcnt vmcnt(0)
	v_mul_f64 v[20:21], s[16:17], v[20:21]
	v_fma_f64 v[16:17], s[14:15], v[16:17], v[20:21]
	v_add_co_u32 v20, vcc_lo, v22, v0
	v_add_co_ci_u32_e64 v21, null, v23, v1, vcc_lo
	v_add_co_u32 v24, vcc_lo, v32, s2
	v_add_co_ci_u32_e64 v25, null, s3, v33, vcc_lo
	global_store_dwordx2 v[28:29], v[16:17], off offset:384
	global_load_dwordx2 v[16:17], v[20:21], off
	s_waitcnt vmcnt(0)
	v_mul_f64 v[16:17], s[16:17], v[16:17]
	v_fma_f64 v[16:17], s[14:15], v[18:19], v[16:17]
	v_add_co_u32 v18, vcc_lo, v24, v0
	v_add_co_ci_u32_e64 v19, null, v25, v1, vcc_lo
	global_store_dwordx2 v[18:19], v[16:17], off
	global_load_dwordx2 v[16:17], v[20:21], off offset:128
	s_waitcnt vmcnt(0)
	v_mul_f64 v[16:17], s[16:17], v[16:17]
	v_fma_f64 v[14:15], s[14:15], v[14:15], v[16:17]
	global_store_dwordx2 v[18:19], v[14:15], off offset:128
	global_load_dwordx2 v[14:15], v[20:21], off offset:256
	s_waitcnt vmcnt(0)
	v_mul_f64 v[14:15], s[16:17], v[14:15]
	v_fma_f64 v[12:13], s[14:15], v[12:13], v[14:15]
	global_store_dwordx2 v[18:19], v[12:13], off offset:256
	global_load_dwordx2 v[12:13], v[20:21], off offset:384
	s_waitcnt vmcnt(0)
	v_mul_f64 v[12:13], s[16:17], v[12:13]
	v_fma_f64 v[10:11], s[14:15], v[10:11], v[12:13]
	v_add_co_u32 v12, vcc_lo, v22, s0
	v_add_co_ci_u32_e64 v13, null, s1, v23, vcc_lo
	v_add_co_u32 v12, vcc_lo, v12, v0
	v_add_co_ci_u32_e64 v13, null, v13, v1, vcc_lo
	global_store_dwordx2 v[18:19], v[10:11], off offset:384
	global_load_dwordx2 v[10:11], v[12:13], off
	s_waitcnt vmcnt(0)
	v_mul_f64 v[10:11], s[16:17], v[10:11]
	v_fma_f64 v[8:9], s[14:15], v[8:9], v[10:11]
	v_add_co_u32 v10, vcc_lo, v24, s2
	v_add_co_ci_u32_e64 v11, null, s3, v25, vcc_lo
	v_add_co_u32 v0, vcc_lo, v10, v0
	v_add_co_ci_u32_e64 v1, null, v11, v1, vcc_lo
	global_store_dwordx2 v[0:1], v[8:9], off
	global_load_dwordx2 v[8:9], v[12:13], off offset:128
	s_waitcnt vmcnt(0)
	v_mul_f64 v[8:9], s[16:17], v[8:9]
	v_fma_f64 v[6:7], s[14:15], v[6:7], v[8:9]
	global_store_dwordx2 v[0:1], v[6:7], off offset:128
	global_load_dwordx2 v[6:7], v[12:13], off offset:256
	s_waitcnt vmcnt(0)
	v_mul_f64 v[6:7], s[16:17], v[6:7]
	v_fma_f64 v[4:5], s[14:15], v[4:5], v[6:7]
	global_store_dwordx2 v[0:1], v[4:5], off offset:256
	;; [unrolled: 5-line block ×3, first 2 shown]
.LBB280_7:
	s_endpgm
.LBB280_8:
	s_branch .LBB280_6
	.section	.rodata,"a",@progbits
	.p2align	6, 0x0
	.amdhsa_kernel _ZN12_GLOBAL__N_127rocblas_gemm_batched_kernelIdLi16ELi16ELi64ELi64ELi4ELi64ELi4ELi4ELi64ELc84ELc78EKdS1_dEEvlllT_PT11_llS4_llS2_PT12_llPT13_lli
		.amdhsa_group_segment_fixed_size 4096
		.amdhsa_private_segment_fixed_size 0
		.amdhsa_kernarg_size 140
		.amdhsa_user_sgpr_count 6
		.amdhsa_user_sgpr_private_segment_buffer 1
		.amdhsa_user_sgpr_dispatch_ptr 0
		.amdhsa_user_sgpr_queue_ptr 0
		.amdhsa_user_sgpr_kernarg_segment_ptr 1
		.amdhsa_user_sgpr_dispatch_id 0
		.amdhsa_user_sgpr_flat_scratch_init 0
		.amdhsa_user_sgpr_private_segment_size 0
		.amdhsa_wavefront_size32 1
		.amdhsa_uses_dynamic_stack 0
		.amdhsa_system_sgpr_private_segment_wavefront_offset 0
		.amdhsa_system_sgpr_workgroup_id_x 1
		.amdhsa_system_sgpr_workgroup_id_y 1
		.amdhsa_system_sgpr_workgroup_id_z 1
		.amdhsa_system_sgpr_workgroup_info 0
		.amdhsa_system_vgpr_workitem_id 1
		.amdhsa_next_free_vgpr 78
		.amdhsa_next_free_sgpr 30
		.amdhsa_reserve_vcc 1
		.amdhsa_reserve_flat_scratch 0
		.amdhsa_float_round_mode_32 0
		.amdhsa_float_round_mode_16_64 0
		.amdhsa_float_denorm_mode_32 3
		.amdhsa_float_denorm_mode_16_64 3
		.amdhsa_dx10_clamp 1
		.amdhsa_ieee_mode 1
		.amdhsa_fp16_overflow 0
		.amdhsa_workgroup_processor_mode 1
		.amdhsa_memory_ordered 1
		.amdhsa_forward_progress 1
		.amdhsa_shared_vgpr_count 0
		.amdhsa_exception_fp_ieee_invalid_op 0
		.amdhsa_exception_fp_denorm_src 0
		.amdhsa_exception_fp_ieee_div_zero 0
		.amdhsa_exception_fp_ieee_overflow 0
		.amdhsa_exception_fp_ieee_underflow 0
		.amdhsa_exception_fp_ieee_inexact 0
		.amdhsa_exception_int_div_zero 0
	.end_amdhsa_kernel
	.section	.text._ZN12_GLOBAL__N_127rocblas_gemm_batched_kernelIdLi16ELi16ELi64ELi64ELi4ELi64ELi4ELi4ELi64ELc84ELc78EKdS1_dEEvlllT_PT11_llS4_llS2_PT12_llPT13_lli,"axG",@progbits,_ZN12_GLOBAL__N_127rocblas_gemm_batched_kernelIdLi16ELi16ELi64ELi64ELi4ELi64ELi4ELi4ELi64ELc84ELc78EKdS1_dEEvlllT_PT11_llS4_llS2_PT12_llPT13_lli,comdat
.Lfunc_end280:
	.size	_ZN12_GLOBAL__N_127rocblas_gemm_batched_kernelIdLi16ELi16ELi64ELi64ELi4ELi64ELi4ELi4ELi64ELc84ELc78EKdS1_dEEvlllT_PT11_llS4_llS2_PT12_llPT13_lli, .Lfunc_end280-_ZN12_GLOBAL__N_127rocblas_gemm_batched_kernelIdLi16ELi16ELi64ELi64ELi4ELi64ELi4ELi4ELi64ELc84ELc78EKdS1_dEEvlllT_PT11_llS4_llS2_PT12_llPT13_lli
                                        ; -- End function
	.set _ZN12_GLOBAL__N_127rocblas_gemm_batched_kernelIdLi16ELi16ELi64ELi64ELi4ELi64ELi4ELi4ELi64ELc84ELc78EKdS1_dEEvlllT_PT11_llS4_llS2_PT12_llPT13_lli.num_vgpr, 78
	.set _ZN12_GLOBAL__N_127rocblas_gemm_batched_kernelIdLi16ELi16ELi64ELi64ELi4ELi64ELi4ELi4ELi64ELc84ELc78EKdS1_dEEvlllT_PT11_llS4_llS2_PT12_llPT13_lli.num_agpr, 0
	.set _ZN12_GLOBAL__N_127rocblas_gemm_batched_kernelIdLi16ELi16ELi64ELi64ELi4ELi64ELi4ELi4ELi64ELc84ELc78EKdS1_dEEvlllT_PT11_llS4_llS2_PT12_llPT13_lli.numbered_sgpr, 30
	.set _ZN12_GLOBAL__N_127rocblas_gemm_batched_kernelIdLi16ELi16ELi64ELi64ELi4ELi64ELi4ELi4ELi64ELc84ELc78EKdS1_dEEvlllT_PT11_llS4_llS2_PT12_llPT13_lli.num_named_barrier, 0
	.set _ZN12_GLOBAL__N_127rocblas_gemm_batched_kernelIdLi16ELi16ELi64ELi64ELi4ELi64ELi4ELi4ELi64ELc84ELc78EKdS1_dEEvlllT_PT11_llS4_llS2_PT12_llPT13_lli.private_seg_size, 0
	.set _ZN12_GLOBAL__N_127rocblas_gemm_batched_kernelIdLi16ELi16ELi64ELi64ELi4ELi64ELi4ELi4ELi64ELc84ELc78EKdS1_dEEvlllT_PT11_llS4_llS2_PT12_llPT13_lli.uses_vcc, 1
	.set _ZN12_GLOBAL__N_127rocblas_gemm_batched_kernelIdLi16ELi16ELi64ELi64ELi4ELi64ELi4ELi4ELi64ELc84ELc78EKdS1_dEEvlllT_PT11_llS4_llS2_PT12_llPT13_lli.uses_flat_scratch, 0
	.set _ZN12_GLOBAL__N_127rocblas_gemm_batched_kernelIdLi16ELi16ELi64ELi64ELi4ELi64ELi4ELi4ELi64ELc84ELc78EKdS1_dEEvlllT_PT11_llS4_llS2_PT12_llPT13_lli.has_dyn_sized_stack, 0
	.set _ZN12_GLOBAL__N_127rocblas_gemm_batched_kernelIdLi16ELi16ELi64ELi64ELi4ELi64ELi4ELi4ELi64ELc84ELc78EKdS1_dEEvlllT_PT11_llS4_llS2_PT12_llPT13_lli.has_recursion, 0
	.set _ZN12_GLOBAL__N_127rocblas_gemm_batched_kernelIdLi16ELi16ELi64ELi64ELi4ELi64ELi4ELi4ELi64ELc84ELc78EKdS1_dEEvlllT_PT11_llS4_llS2_PT12_llPT13_lli.has_indirect_call, 0
	.section	.AMDGPU.csdata,"",@progbits
; Kernel info:
; codeLenInByte = 2924
; TotalNumSgprs: 32
; NumVgprs: 78
; ScratchSize: 0
; MemoryBound: 0
; FloatMode: 240
; IeeeMode: 1
; LDSByteSize: 4096 bytes/workgroup (compile time only)
; SGPRBlocks: 0
; VGPRBlocks: 9
; NumSGPRsForWavesPerEU: 32
; NumVGPRsForWavesPerEU: 78
; Occupancy: 12
; WaveLimiterHint : 1
; COMPUTE_PGM_RSRC2:SCRATCH_EN: 0
; COMPUTE_PGM_RSRC2:USER_SGPR: 6
; COMPUTE_PGM_RSRC2:TRAP_HANDLER: 0
; COMPUTE_PGM_RSRC2:TGID_X_EN: 1
; COMPUTE_PGM_RSRC2:TGID_Y_EN: 1
; COMPUTE_PGM_RSRC2:TGID_Z_EN: 1
; COMPUTE_PGM_RSRC2:TIDIG_COMP_CNT: 1
	.section	.text._ZN12_GLOBAL__N_127rocblas_gemm_batched_kernelIdLi16ELi16ELi64ELi64ELi4ELi64ELi4ELi4ELi64ELc78ELc84EKdS1_dEEvlllT_PT11_llS4_llS2_PT12_llPT13_lli,"axG",@progbits,_ZN12_GLOBAL__N_127rocblas_gemm_batched_kernelIdLi16ELi16ELi64ELi64ELi4ELi64ELi4ELi4ELi64ELc78ELc84EKdS1_dEEvlllT_PT11_llS4_llS2_PT12_llPT13_lli,comdat
	.globl	_ZN12_GLOBAL__N_127rocblas_gemm_batched_kernelIdLi16ELi16ELi64ELi64ELi4ELi64ELi4ELi4ELi64ELc78ELc84EKdS1_dEEvlllT_PT11_llS4_llS2_PT12_llPT13_lli ; -- Begin function _ZN12_GLOBAL__N_127rocblas_gemm_batched_kernelIdLi16ELi16ELi64ELi64ELi4ELi64ELi4ELi4ELi64ELc78ELc84EKdS1_dEEvlllT_PT11_llS4_llS2_PT12_llPT13_lli
	.p2align	8
	.type	_ZN12_GLOBAL__N_127rocblas_gemm_batched_kernelIdLi16ELi16ELi64ELi64ELi4ELi64ELi4ELi4ELi64ELc78ELc84EKdS1_dEEvlllT_PT11_llS4_llS2_PT12_llPT13_lli,@function
_ZN12_GLOBAL__N_127rocblas_gemm_batched_kernelIdLi16ELi16ELi64ELi64ELi4ELi64ELi4ELi4ELi64ELc78ELc84EKdS1_dEEvlllT_PT11_llS4_llS2_PT12_llPT13_lli: ; @_ZN12_GLOBAL__N_127rocblas_gemm_batched_kernelIdLi16ELi16ELi64ELi64ELi4ELi64ELi4ELi4ELi64ELc78ELc84EKdS1_dEEvlllT_PT11_llS4_llS2_PT12_llPT13_lli
; %bb.0:
	s_load_dwordx16 s[12:27], s[4:5], 0x10
	s_mov_b32 s0, s7
	v_mov_b32_e32 v3, 0
	s_ashr_i32 s7, s6, 31
	s_ashr_i32 s1, s0, 31
	s_lshl_b64 s[10:11], s[6:7], 6
	s_lshl_b64 s[28:29], s[0:1], 6
	s_waitcnt lgkmcnt(0)
	v_cmp_lt_i64_e64 s2, s[12:13], 1
	s_and_b32 vcc_lo, exec_lo, s2
	s_cbranch_vccnz .LBB281_3
; %bb.1:
	v_lshl_add_u32 v5, v1, 4, v0
	v_and_b32_e32 v6, 3, v0
	s_mul_i32 s1, s27, s8
	s_mul_hi_u32 s2, s26, s8
	s_mul_i32 s0, s26, s8
	v_lshrrev_b32_e32 v2, 2, v5
	v_and_b32_e32 v8, 63, v5
	v_lshrrev_b32_e32 v7, 6, v5
	v_lshlrev_b32_e32 v9, 3, v6
	s_add_i32 s1, s2, s1
	v_mad_u64_u32 v[3:4], null, s24, v6, v[2:3]
	v_lshlrev_b32_e32 v10, 3, v8
	v_lshl_or_b32 v9, v2, 5, v9
	s_lshl_b64 s[0:1], s[0:1], 3
	s_mul_i32 s3, s21, s8
	s_add_u32 s0, s22, s0
	v_lshl_or_b32 v40, v7, 9, v10
	v_mad_u64_u32 v[4:5], null, s25, v6, v[4:5]
	v_mad_u64_u32 v[5:6], null, s18, v7, s[10:11]
	v_add_co_u32 v3, vcc_lo, v3, s28
	s_addc_u32 s1, s23, s1
	s_mul_hi_u32 s6, s20, s8
	v_add_co_ci_u32_e64 v4, null, s29, v4, vcc_lo
	v_mov_b32_e32 v2, v6
	s_add_i32 s3, s6, s3
	s_mul_i32 s2, s20, s8
	v_lshlrev_b64 v[3:4], 3, v[3:4]
	s_lshl_b64 s[2:3], s[2:3], 3
	v_add_nc_u32_e32 v41, 0x800, v9
	v_mov_b32_e32 v10, 0
	v_mov_b32_e32 v12, 0
	;; [unrolled: 1-line block ×3, first 2 shown]
	v_mad_u64_u32 v[6:7], null, s19, v7, v[2:3]
	v_add_co_u32 v34, vcc_lo, s0, v3
	v_add_co_ci_u32_e64 v35, null, s1, v4, vcc_lo
	v_add_co_u32 v2, vcc_lo, v5, v8
	v_add_co_ci_u32_e64 v3, null, 0, v6, vcc_lo
	s_lshl_b64 s[0:1], s[24:25], 5
	s_add_u32 s2, s16, s2
	s_addc_u32 s3, s17, s3
	v_lshlrev_b64 v[36:37], 3, v[2:3]
	v_mov_b32_e32 v2, 0
	v_mov_b32_e32 v4, 0
	v_mov_b32_e32 v6, 0
	v_mov_b32_e32 v8, 0
	v_mov_b32_e32 v18, 0
	v_add_co_u32 v36, vcc_lo, s2, v36
	v_mov_b32_e32 v16, 0
	v_mov_b32_e32 v20, 0
	;; [unrolled: 1-line block ×8, first 2 shown]
	v_lshlrev_b32_e32 v38, 3, v0
	v_lshl_add_u32 v39, v1, 5, 0x800
	v_mov_b32_e32 v3, 0
	v_mov_b32_e32 v5, 0
	;; [unrolled: 1-line block ×16, first 2 shown]
	v_add_co_ci_u32_e64 v37, null, s3, v37, vcc_lo
	s_lshl_b64 s[2:3], s[18:19], 5
	s_mov_b64 s[6:7], 0
.LBB281_2:                              ; =>This Inner Loop Header: Depth=1
	global_load_dwordx2 v[42:43], v[36:37], off
	global_load_dwordx2 v[44:45], v[34:35], off
	s_add_u32 s6, s6, 4
	s_addc_u32 s7, s7, 0
	v_add_co_u32 v34, vcc_lo, v34, s0
	v_cmp_lt_i64_e64 s9, s[6:7], s[12:13]
	v_add_co_ci_u32_e64 v35, null, s1, v35, vcc_lo
	v_add_co_u32 v36, vcc_lo, v36, s2
	v_add_co_ci_u32_e64 v37, null, s3, v37, vcc_lo
	s_and_b32 vcc_lo, exec_lo, s9
	s_waitcnt vmcnt(1)
	ds_write_b64 v40, v[42:43]
	s_waitcnt vmcnt(0)
	ds_write_b64 v41, v[44:45]
	s_waitcnt lgkmcnt(0)
	s_barrier
	buffer_gl0_inv
	ds_read_b128 v[42:45], v39
	ds_read2_b64 v[46:49], v38 offset1:16
	ds_read_b128 v[50:53], v39 offset:512
	ds_read_b128 v[54:57], v39 offset:16
	;; [unrolled: 1-line block ×3, first 2 shown]
	s_waitcnt lgkmcnt(3)
	v_fma_f64 v[74:75], v[48:49], v[42:43], v[30:31]
	s_waitcnt lgkmcnt(2)
	v_fma_f64 v[76:77], v[46:47], v[50:51], v[28:29]
	ds_read_b128 v[28:31], v39 offset:1024
	ds_read_b128 v[62:65], v39 offset:1040
	;; [unrolled: 1-line block ×4, first 2 shown]
	v_fma_f64 v[32:33], v[46:47], v[42:43], v[32:33]
	v_fma_f64 v[22:23], v[48:49], v[50:51], v[22:23]
	s_waitcnt lgkmcnt(3)
	v_fma_f64 v[18:19], v[46:47], v[28:29], v[18:19]
	v_fma_f64 v[14:15], v[48:49], v[28:29], v[14:15]
	s_waitcnt lgkmcnt(1)
	v_fma_f64 v[46:47], v[46:47], v[66:67], v[8:9]
	v_fma_f64 v[48:49], v[48:49], v[66:67], v[6:7]
	ds_read2_b64 v[6:9], v38 offset0:32 offset1:48
	s_waitcnt lgkmcnt(0)
	v_fma_f64 v[26:27], v[6:7], v[42:43], v[26:27]
	v_fma_f64 v[24:25], v[8:9], v[42:43], v[24:25]
	;; [unrolled: 1-line block ×8, first 2 shown]
	ds_read2_b64 v[2:5], v38 offset0:64 offset1:80
	ds_read2_b64 v[6:9], v38 offset0:96 offset1:112
	s_waitcnt lgkmcnt(1)
	v_fma_f64 v[32:33], v[2:3], v[44:45], v[32:33]
	v_fma_f64 v[50:51], v[4:5], v[44:45], v[74:75]
	s_waitcnt lgkmcnt(0)
	v_fma_f64 v[26:27], v[6:7], v[44:45], v[26:27]
	v_fma_f64 v[24:25], v[8:9], v[44:45], v[24:25]
	;; [unrolled: 1-line block ×10, first 2 shown]
	ds_read2_b64 v[2:5], v38 offset0:128 offset1:144
	v_fma_f64 v[20:21], v[6:7], v[52:53], v[20:21]
	v_fma_f64 v[16:17], v[8:9], v[52:53], v[16:17]
	;; [unrolled: 1-line block ×4, first 2 shown]
	s_waitcnt lgkmcnt(0)
	v_fma_f64 v[28:29], v[2:3], v[54:55], v[32:33]
	v_fma_f64 v[42:43], v[4:5], v[54:55], v[50:51]
	;; [unrolled: 1-line block ×8, first 2 shown]
	ds_read2_b64 v[2:5], v38 offset0:160 offset1:176
	s_waitcnt lgkmcnt(0)
	v_fma_f64 v[26:27], v[2:3], v[54:55], v[26:27]
	v_fma_f64 v[24:25], v[4:5], v[54:55], v[24:25]
	;; [unrolled: 1-line block ×8, first 2 shown]
	ds_read2_b64 v[2:5], v38 offset0:192 offset1:208
	s_waitcnt lgkmcnt(0)
	v_fma_f64 v[30:31], v[4:5], v[56:57], v[42:43]
	ds_read2_b64 v[42:45], v38 offset0:224 offset1:240
	v_fma_f64 v[32:33], v[2:3], v[56:57], v[28:29]
	v_fma_f64 v[28:29], v[2:3], v[60:61], v[48:49]
	;; [unrolled: 1-line block ×7, first 2 shown]
	s_waitcnt lgkmcnt(0)
	s_barrier
	buffer_gl0_inv
	v_fma_f64 v[26:27], v[42:43], v[56:57], v[26:27]
	v_fma_f64 v[24:25], v[44:45], v[56:57], v[24:25]
	;; [unrolled: 1-line block ×8, first 2 shown]
	s_cbranch_vccnz .LBB281_2
	s_branch .LBB281_4
.LBB281_3:
	v_mov_b32_e32 v32, 0
	v_mov_b32_e32 v30, 0
	;; [unrolled: 1-line block ×32, first 2 shown]
.LBB281_4:
	s_clause 0x1
	s_load_dwordx8 s[16:23], s[4:5], 0x50
	s_load_dwordx8 s[0:7], s[4:5], 0x70
	s_waitcnt lgkmcnt(0)
	v_cmp_neq_f64_e64 s6, s[16:17], 0
	s_mul_i32 s5, s5, s8
	s_mul_hi_u32 s7, s4, s8
	s_mul_i32 s4, s4, s8
	s_add_i32 s5, s7, s5
	v_add_co_u32 v34, s7, s28, v1
	v_add_co_ci_u32_e64 v37, null, s29, 0, s7
	v_add_co_u32 v0, s7, s10, v0
	v_add_co_ci_u32_e64 v1, null, s11, 0, s7
	v_mul_lo_u32 v35, v37, s2
	v_mul_lo_u32 v36, v34, s3
	s_lshl_b64 s[4:5], s[4:5], 3
	v_lshlrev_b64 v[0:1], 3, v[0:1]
	s_add_u32 s0, s0, s4
	s_addc_u32 s1, s1, s5
	s_and_b32 vcc_lo, exec_lo, s6
	s_cbranch_vccnz .LBB281_8
; %bb.5:
	v_mad_u64_u32 v[38:39], null, v34, s2, 0
	v_mul_f64 v[40:41], s[14:15], v[32:33]
	v_mul_f64 v[42:43], s[14:15], v[30:31]
	;; [unrolled: 1-line block ×6, first 2 shown]
	v_add3_u32 v39, v39, v36, v35
	v_mul_f64 v[52:53], s[14:15], v[20:21]
	s_lshl_b64 s[4:5], s[2:3], 7
	v_lshlrev_b64 v[38:39], 3, v[38:39]
	v_add_co_u32 v54, vcc_lo, s0, v38
	v_add_co_ci_u32_e64 v55, null, s1, v39, vcc_lo
	v_mul_f64 v[38:39], s[14:15], v[16:17]
	v_add_co_u32 v58, vcc_lo, v54, s4
	v_add_co_ci_u32_e64 v59, null, s5, v55, vcc_lo
	v_add_co_u32 v54, vcc_lo, v54, v0
	v_add_co_ci_u32_e64 v55, null, v55, v1, vcc_lo
	;; [unrolled: 2-line block ×3, first 2 shown]
	global_store_dwordx2 v[54:55], v[40:41], off
	global_store_dwordx2 v[54:55], v[42:43], off offset:128
	global_store_dwordx2 v[54:55], v[44:45], off offset:256
	;; [unrolled: 1-line block ×3, first 2 shown]
	global_store_dwordx2 v[56:57], v[48:49], off
	global_store_dwordx2 v[56:57], v[50:51], off offset:128
	global_store_dwordx2 v[56:57], v[52:53], off offset:256
	v_mul_f64 v[40:41], s[14:15], v[18:19]
	v_mul_f64 v[54:55], s[14:15], v[2:3]
	v_mul_f64 v[42:43], s[14:15], v[14:15]
	v_mul_f64 v[44:45], s[14:15], v[12:13]
	v_mul_f64 v[46:47], s[14:15], v[10:11]
	v_mul_f64 v[48:49], s[14:15], v[8:9]
	v_mul_f64 v[50:51], s[14:15], v[6:7]
	v_add_co_u32 v58, vcc_lo, v58, s4
	v_mul_f64 v[52:53], s[14:15], v[4:5]
	v_add_co_ci_u32_e64 v59, null, s5, v59, vcc_lo
	global_store_dwordx2 v[56:57], v[38:39], off offset:384
	v_add_co_u32 v56, vcc_lo, v58, s4
	v_add_co_ci_u32_e64 v57, null, s5, v59, vcc_lo
	v_add_co_u32 v38, vcc_lo, v58, v0
	v_add_co_ci_u32_e64 v39, null, v59, v1, vcc_lo
	;; [unrolled: 2-line block ×3, first 2 shown]
	global_store_dwordx2 v[38:39], v[40:41], off
	global_store_dwordx2 v[38:39], v[42:43], off offset:128
	global_store_dwordx2 v[38:39], v[44:45], off offset:256
	global_store_dwordx2 v[38:39], v[46:47], off offset:384
	global_store_dwordx2 v[56:57], v[48:49], off
	global_store_dwordx2 v[56:57], v[50:51], off offset:128
	global_store_dwordx2 v[56:57], v[52:53], off offset:256
	;; [unrolled: 1-line block ×3, first 2 shown]
	s_cbranch_execnz .LBB281_7
.LBB281_6:
	v_mul_lo_u32 v39, v37, s20
	v_mul_lo_u32 v40, v34, s21
	v_mad_u64_u32 v[37:38], null, v34, s20, 0
	s_mul_i32 s5, s23, s8
	s_mul_hi_u32 s6, s22, s8
	s_mul_i32 s4, s22, s8
	s_add_i32 s5, s6, s5
	v_mad_u64_u32 v[41:42], null, v34, s2, 0
	v_add3_u32 v38, v38, v40, v39
	s_lshl_b64 s[4:5], s[4:5], 3
	s_add_u32 s4, s18, s4
	s_addc_u32 s5, s19, s5
	v_lshlrev_b64 v[37:38], 3, v[37:38]
	v_add3_u32 v42, v42, v36, v35
	s_lshl_b64 s[2:3], s[2:3], 7
	v_lshlrev_b64 v[34:35], 3, v[41:42]
	v_add_co_u32 v43, vcc_lo, s4, v37
	v_add_co_ci_u32_e64 v44, null, s5, v38, vcc_lo
	v_add_co_u32 v37, vcc_lo, v43, v0
	v_add_co_ci_u32_e64 v38, null, v44, v1, vcc_lo
	v_add_co_u32 v36, vcc_lo, s0, v34
	global_load_dwordx2 v[39:40], v[37:38], off
	s_waitcnt vmcnt(0)
	v_mul_f64 v[39:40], s[16:17], v[39:40]
	v_fma_f64 v[32:33], s[14:15], v[32:33], v[39:40]
	v_add_co_ci_u32_e64 v39, null, s1, v35, vcc_lo
	v_add_co_u32 v34, vcc_lo, v36, v0
	s_lshl_b64 s[0:1], s[20:21], 7
	v_add_co_ci_u32_e64 v35, null, v39, v1, vcc_lo
	global_store_dwordx2 v[34:35], v[32:33], off
	global_load_dwordx2 v[32:33], v[37:38], off offset:128
	s_waitcnt vmcnt(0)
	v_mul_f64 v[32:33], s[16:17], v[32:33]
	v_fma_f64 v[30:31], s[14:15], v[30:31], v[32:33]
	global_store_dwordx2 v[34:35], v[30:31], off offset:128
	global_load_dwordx2 v[30:31], v[37:38], off offset:256
	s_waitcnt vmcnt(0)
	v_mul_f64 v[30:31], s[16:17], v[30:31]
	v_fma_f64 v[26:27], s[14:15], v[26:27], v[30:31]
	v_add_co_u32 v30, vcc_lo, v43, s0
	v_add_co_ci_u32_e64 v31, null, s1, v44, vcc_lo
	global_store_dwordx2 v[34:35], v[26:27], off offset:256
	global_load_dwordx2 v[26:27], v[37:38], off offset:384
	s_waitcnt vmcnt(0)
	v_mul_f64 v[26:27], s[16:17], v[26:27]
	v_fma_f64 v[24:25], s[14:15], v[24:25], v[26:27]
	v_add_co_u32 v26, vcc_lo, v30, v0
	v_add_co_ci_u32_e64 v27, null, v31, v1, vcc_lo
	v_add_co_u32 v32, vcc_lo, v36, s2
	v_add_co_ci_u32_e64 v33, null, s3, v39, vcc_lo
	global_store_dwordx2 v[34:35], v[24:25], off offset:384
	global_load_dwordx2 v[24:25], v[26:27], off
	s_waitcnt vmcnt(0)
	v_mul_f64 v[24:25], s[16:17], v[24:25]
	v_fma_f64 v[24:25], s[14:15], v[28:29], v[24:25]
	v_add_co_u32 v28, vcc_lo, v32, v0
	v_add_co_ci_u32_e64 v29, null, v33, v1, vcc_lo
	global_store_dwordx2 v[28:29], v[24:25], off
	global_load_dwordx2 v[24:25], v[26:27], off offset:128
	s_waitcnt vmcnt(0)
	v_mul_f64 v[24:25], s[16:17], v[24:25]
	v_fma_f64 v[22:23], s[14:15], v[22:23], v[24:25]
	global_store_dwordx2 v[28:29], v[22:23], off offset:128
	global_load_dwordx2 v[22:23], v[26:27], off offset:256
	s_waitcnt vmcnt(0)
	v_mul_f64 v[22:23], s[16:17], v[22:23]
	v_fma_f64 v[20:21], s[14:15], v[20:21], v[22:23]
	v_add_co_u32 v22, vcc_lo, v30, s0
	v_add_co_ci_u32_e64 v23, null, s1, v31, vcc_lo
	global_store_dwordx2 v[28:29], v[20:21], off offset:256
	global_load_dwordx2 v[20:21], v[26:27], off offset:384
	s_waitcnt vmcnt(0)
	v_mul_f64 v[20:21], s[16:17], v[20:21]
	v_fma_f64 v[16:17], s[14:15], v[16:17], v[20:21]
	v_add_co_u32 v20, vcc_lo, v22, v0
	v_add_co_ci_u32_e64 v21, null, v23, v1, vcc_lo
	v_add_co_u32 v24, vcc_lo, v32, s2
	v_add_co_ci_u32_e64 v25, null, s3, v33, vcc_lo
	global_store_dwordx2 v[28:29], v[16:17], off offset:384
	global_load_dwordx2 v[16:17], v[20:21], off
	s_waitcnt vmcnt(0)
	v_mul_f64 v[16:17], s[16:17], v[16:17]
	v_fma_f64 v[16:17], s[14:15], v[18:19], v[16:17]
	v_add_co_u32 v18, vcc_lo, v24, v0
	v_add_co_ci_u32_e64 v19, null, v25, v1, vcc_lo
	global_store_dwordx2 v[18:19], v[16:17], off
	global_load_dwordx2 v[16:17], v[20:21], off offset:128
	s_waitcnt vmcnt(0)
	v_mul_f64 v[16:17], s[16:17], v[16:17]
	v_fma_f64 v[14:15], s[14:15], v[14:15], v[16:17]
	global_store_dwordx2 v[18:19], v[14:15], off offset:128
	global_load_dwordx2 v[14:15], v[20:21], off offset:256
	s_waitcnt vmcnt(0)
	v_mul_f64 v[14:15], s[16:17], v[14:15]
	v_fma_f64 v[12:13], s[14:15], v[12:13], v[14:15]
	global_store_dwordx2 v[18:19], v[12:13], off offset:256
	global_load_dwordx2 v[12:13], v[20:21], off offset:384
	s_waitcnt vmcnt(0)
	v_mul_f64 v[12:13], s[16:17], v[12:13]
	v_fma_f64 v[10:11], s[14:15], v[10:11], v[12:13]
	v_add_co_u32 v12, vcc_lo, v22, s0
	v_add_co_ci_u32_e64 v13, null, s1, v23, vcc_lo
	v_add_co_u32 v12, vcc_lo, v12, v0
	v_add_co_ci_u32_e64 v13, null, v13, v1, vcc_lo
	global_store_dwordx2 v[18:19], v[10:11], off offset:384
	global_load_dwordx2 v[10:11], v[12:13], off
	s_waitcnt vmcnt(0)
	v_mul_f64 v[10:11], s[16:17], v[10:11]
	v_fma_f64 v[8:9], s[14:15], v[8:9], v[10:11]
	v_add_co_u32 v10, vcc_lo, v24, s2
	v_add_co_ci_u32_e64 v11, null, s3, v25, vcc_lo
	v_add_co_u32 v0, vcc_lo, v10, v0
	v_add_co_ci_u32_e64 v1, null, v11, v1, vcc_lo
	global_store_dwordx2 v[0:1], v[8:9], off
	global_load_dwordx2 v[8:9], v[12:13], off offset:128
	s_waitcnt vmcnt(0)
	v_mul_f64 v[8:9], s[16:17], v[8:9]
	v_fma_f64 v[6:7], s[14:15], v[6:7], v[8:9]
	global_store_dwordx2 v[0:1], v[6:7], off offset:128
	global_load_dwordx2 v[6:7], v[12:13], off offset:256
	s_waitcnt vmcnt(0)
	v_mul_f64 v[6:7], s[16:17], v[6:7]
	v_fma_f64 v[4:5], s[14:15], v[4:5], v[6:7]
	global_store_dwordx2 v[0:1], v[4:5], off offset:256
	;; [unrolled: 5-line block ×3, first 2 shown]
.LBB281_7:
	s_endpgm
.LBB281_8:
	s_branch .LBB281_6
	.section	.rodata,"a",@progbits
	.p2align	6, 0x0
	.amdhsa_kernel _ZN12_GLOBAL__N_127rocblas_gemm_batched_kernelIdLi16ELi16ELi64ELi64ELi4ELi64ELi4ELi4ELi64ELc78ELc84EKdS1_dEEvlllT_PT11_llS4_llS2_PT12_llPT13_lli
		.amdhsa_group_segment_fixed_size 4096
		.amdhsa_private_segment_fixed_size 0
		.amdhsa_kernarg_size 140
		.amdhsa_user_sgpr_count 6
		.amdhsa_user_sgpr_private_segment_buffer 1
		.amdhsa_user_sgpr_dispatch_ptr 0
		.amdhsa_user_sgpr_queue_ptr 0
		.amdhsa_user_sgpr_kernarg_segment_ptr 1
		.amdhsa_user_sgpr_dispatch_id 0
		.amdhsa_user_sgpr_flat_scratch_init 0
		.amdhsa_user_sgpr_private_segment_size 0
		.amdhsa_wavefront_size32 1
		.amdhsa_uses_dynamic_stack 0
		.amdhsa_system_sgpr_private_segment_wavefront_offset 0
		.amdhsa_system_sgpr_workgroup_id_x 1
		.amdhsa_system_sgpr_workgroup_id_y 1
		.amdhsa_system_sgpr_workgroup_id_z 1
		.amdhsa_system_sgpr_workgroup_info 0
		.amdhsa_system_vgpr_workitem_id 1
		.amdhsa_next_free_vgpr 78
		.amdhsa_next_free_sgpr 30
		.amdhsa_reserve_vcc 1
		.amdhsa_reserve_flat_scratch 0
		.amdhsa_float_round_mode_32 0
		.amdhsa_float_round_mode_16_64 0
		.amdhsa_float_denorm_mode_32 3
		.amdhsa_float_denorm_mode_16_64 3
		.amdhsa_dx10_clamp 1
		.amdhsa_ieee_mode 1
		.amdhsa_fp16_overflow 0
		.amdhsa_workgroup_processor_mode 1
		.amdhsa_memory_ordered 1
		.amdhsa_forward_progress 1
		.amdhsa_shared_vgpr_count 0
		.amdhsa_exception_fp_ieee_invalid_op 0
		.amdhsa_exception_fp_denorm_src 0
		.amdhsa_exception_fp_ieee_div_zero 0
		.amdhsa_exception_fp_ieee_overflow 0
		.amdhsa_exception_fp_ieee_underflow 0
		.amdhsa_exception_fp_ieee_inexact 0
		.amdhsa_exception_int_div_zero 0
	.end_amdhsa_kernel
	.section	.text._ZN12_GLOBAL__N_127rocblas_gemm_batched_kernelIdLi16ELi16ELi64ELi64ELi4ELi64ELi4ELi4ELi64ELc78ELc84EKdS1_dEEvlllT_PT11_llS4_llS2_PT12_llPT13_lli,"axG",@progbits,_ZN12_GLOBAL__N_127rocblas_gemm_batched_kernelIdLi16ELi16ELi64ELi64ELi4ELi64ELi4ELi4ELi64ELc78ELc84EKdS1_dEEvlllT_PT11_llS4_llS2_PT12_llPT13_lli,comdat
.Lfunc_end281:
	.size	_ZN12_GLOBAL__N_127rocblas_gemm_batched_kernelIdLi16ELi16ELi64ELi64ELi4ELi64ELi4ELi4ELi64ELc78ELc84EKdS1_dEEvlllT_PT11_llS4_llS2_PT12_llPT13_lli, .Lfunc_end281-_ZN12_GLOBAL__N_127rocblas_gemm_batched_kernelIdLi16ELi16ELi64ELi64ELi4ELi64ELi4ELi4ELi64ELc78ELc84EKdS1_dEEvlllT_PT11_llS4_llS2_PT12_llPT13_lli
                                        ; -- End function
	.set _ZN12_GLOBAL__N_127rocblas_gemm_batched_kernelIdLi16ELi16ELi64ELi64ELi4ELi64ELi4ELi4ELi64ELc78ELc84EKdS1_dEEvlllT_PT11_llS4_llS2_PT12_llPT13_lli.num_vgpr, 78
	.set _ZN12_GLOBAL__N_127rocblas_gemm_batched_kernelIdLi16ELi16ELi64ELi64ELi4ELi64ELi4ELi4ELi64ELc78ELc84EKdS1_dEEvlllT_PT11_llS4_llS2_PT12_llPT13_lli.num_agpr, 0
	.set _ZN12_GLOBAL__N_127rocblas_gemm_batched_kernelIdLi16ELi16ELi64ELi64ELi4ELi64ELi4ELi4ELi64ELc78ELc84EKdS1_dEEvlllT_PT11_llS4_llS2_PT12_llPT13_lli.numbered_sgpr, 30
	.set _ZN12_GLOBAL__N_127rocblas_gemm_batched_kernelIdLi16ELi16ELi64ELi64ELi4ELi64ELi4ELi4ELi64ELc78ELc84EKdS1_dEEvlllT_PT11_llS4_llS2_PT12_llPT13_lli.num_named_barrier, 0
	.set _ZN12_GLOBAL__N_127rocblas_gemm_batched_kernelIdLi16ELi16ELi64ELi64ELi4ELi64ELi4ELi4ELi64ELc78ELc84EKdS1_dEEvlllT_PT11_llS4_llS2_PT12_llPT13_lli.private_seg_size, 0
	.set _ZN12_GLOBAL__N_127rocblas_gemm_batched_kernelIdLi16ELi16ELi64ELi64ELi4ELi64ELi4ELi4ELi64ELc78ELc84EKdS1_dEEvlllT_PT11_llS4_llS2_PT12_llPT13_lli.uses_vcc, 1
	.set _ZN12_GLOBAL__N_127rocblas_gemm_batched_kernelIdLi16ELi16ELi64ELi64ELi4ELi64ELi4ELi4ELi64ELc78ELc84EKdS1_dEEvlllT_PT11_llS4_llS2_PT12_llPT13_lli.uses_flat_scratch, 0
	.set _ZN12_GLOBAL__N_127rocblas_gemm_batched_kernelIdLi16ELi16ELi64ELi64ELi4ELi64ELi4ELi4ELi64ELc78ELc84EKdS1_dEEvlllT_PT11_llS4_llS2_PT12_llPT13_lli.has_dyn_sized_stack, 0
	.set _ZN12_GLOBAL__N_127rocblas_gemm_batched_kernelIdLi16ELi16ELi64ELi64ELi4ELi64ELi4ELi4ELi64ELc78ELc84EKdS1_dEEvlllT_PT11_llS4_llS2_PT12_llPT13_lli.has_recursion, 0
	.set _ZN12_GLOBAL__N_127rocblas_gemm_batched_kernelIdLi16ELi16ELi64ELi64ELi4ELi64ELi4ELi4ELi64ELc78ELc84EKdS1_dEEvlllT_PT11_llS4_llS2_PT12_llPT13_lli.has_indirect_call, 0
	.section	.AMDGPU.csdata,"",@progbits
; Kernel info:
; codeLenInByte = 2856
; TotalNumSgprs: 32
; NumVgprs: 78
; ScratchSize: 0
; MemoryBound: 0
; FloatMode: 240
; IeeeMode: 1
; LDSByteSize: 4096 bytes/workgroup (compile time only)
; SGPRBlocks: 0
; VGPRBlocks: 9
; NumSGPRsForWavesPerEU: 32
; NumVGPRsForWavesPerEU: 78
; Occupancy: 12
; WaveLimiterHint : 1
; COMPUTE_PGM_RSRC2:SCRATCH_EN: 0
; COMPUTE_PGM_RSRC2:USER_SGPR: 6
; COMPUTE_PGM_RSRC2:TRAP_HANDLER: 0
; COMPUTE_PGM_RSRC2:TGID_X_EN: 1
; COMPUTE_PGM_RSRC2:TGID_Y_EN: 1
; COMPUTE_PGM_RSRC2:TGID_Z_EN: 1
; COMPUTE_PGM_RSRC2:TIDIG_COMP_CNT: 1
	.section	.text._ZN12_GLOBAL__N_127rocblas_gemm_batched_kernelIdLi16ELi16ELi64ELi64ELi4ELi64ELi4ELi4ELi64ELc84ELc84EKdS1_dEEvlllT_PT11_llS4_llS2_PT12_llPT13_lli,"axG",@progbits,_ZN12_GLOBAL__N_127rocblas_gemm_batched_kernelIdLi16ELi16ELi64ELi64ELi4ELi64ELi4ELi4ELi64ELc84ELc84EKdS1_dEEvlllT_PT11_llS4_llS2_PT12_llPT13_lli,comdat
	.globl	_ZN12_GLOBAL__N_127rocblas_gemm_batched_kernelIdLi16ELi16ELi64ELi64ELi4ELi64ELi4ELi4ELi64ELc84ELc84EKdS1_dEEvlllT_PT11_llS4_llS2_PT12_llPT13_lli ; -- Begin function _ZN12_GLOBAL__N_127rocblas_gemm_batched_kernelIdLi16ELi16ELi64ELi64ELi4ELi64ELi4ELi4ELi64ELc84ELc84EKdS1_dEEvlllT_PT11_llS4_llS2_PT12_llPT13_lli
	.p2align	8
	.type	_ZN12_GLOBAL__N_127rocblas_gemm_batched_kernelIdLi16ELi16ELi64ELi64ELi4ELi64ELi4ELi4ELi64ELc84ELc84EKdS1_dEEvlllT_PT11_llS4_llS2_PT12_llPT13_lli,@function
_ZN12_GLOBAL__N_127rocblas_gemm_batched_kernelIdLi16ELi16ELi64ELi64ELi4ELi64ELi4ELi4ELi64ELc84ELc84EKdS1_dEEvlllT_PT11_llS4_llS2_PT12_llPT13_lli: ; @_ZN12_GLOBAL__N_127rocblas_gemm_batched_kernelIdLi16ELi16ELi64ELi64ELi4ELi64ELi4ELi4ELi64ELc84ELc84EKdS1_dEEvlllT_PT11_llS4_llS2_PT12_llPT13_lli
; %bb.0:
	s_load_dwordx16 s[12:27], s[4:5], 0x10
	s_mov_b32 s0, s7
	v_mov_b32_e32 v3, 0
	s_ashr_i32 s7, s6, 31
	s_ashr_i32 s1, s0, 31
	s_lshl_b64 s[10:11], s[6:7], 6
	s_lshl_b64 s[28:29], s[0:1], 6
	s_waitcnt lgkmcnt(0)
	v_cmp_lt_i64_e64 s2, s[12:13], 1
	s_and_b32 vcc_lo, exec_lo, s2
	s_cbranch_vccnz .LBB282_3
; %bb.1:
	v_lshl_add_u32 v5, v1, 4, v0
	v_and_b32_e32 v6, 3, v0
	s_mul_i32 s0, s27, s8
	s_mul_hi_u32 s1, s26, s8
	v_mov_b32_e32 v12, 0
	v_lshrrev_b32_e32 v2, 2, v5
	v_and_b32_e32 v7, 63, v5
	v_lshlrev_b32_e32 v8, 3, v6
	s_add_i32 s1, s1, s0
	v_lshrrev_b32_e32 v9, 6, v5
	v_mad_u64_u32 v[3:4], null, s24, v6, v[2:3]
	v_lshlrev_b32_e32 v5, 3, v7
	v_add_co_u32 v7, s0, s10, v7
	v_lshl_or_b32 v8, v2, 5, v8
	v_add_co_ci_u32_e64 v10, null, s11, 0, s0
	v_mov_b32_e32 v2, v4
	v_lshl_or_b32 v39, v9, 9, v5
	v_add_nc_u32_e32 v40, 0x800, v8
	v_mul_lo_u32 v8, s19, v7
	v_mul_lo_u32 v10, s18, v10
	v_mad_u64_u32 v[4:5], null, s25, v6, v[2:3]
	v_mad_u64_u32 v[5:6], null, s18, v7, 0
	s_mul_i32 s0, s26, s8
	v_add_co_u32 v2, vcc_lo, v3, s28
	s_lshl_b64 s[0:1], s[0:1], 3
	v_add_co_ci_u32_e64 v3, null, s29, v4, vcc_lo
	v_add3_u32 v6, v6, v10, v8
	s_add_u32 s2, s22, s0
	s_addc_u32 s3, s23, s1
	s_mul_i32 s0, s21, s8
	s_mul_hi_u32 s1, s20, s8
	v_lshlrev_b64 v[4:5], 3, v[5:6]
	s_add_i32 s1, s1, s0
	s_mul_i32 s0, s20, s8
	v_lshlrev_b64 v[2:3], 3, v[2:3]
	s_lshl_b64 s[0:1], s[0:1], 3
	v_lshlrev_b32_e32 v6, 3, v9
	v_add_co_u32 v4, vcc_lo, v4, s0
	v_add_co_ci_u32_e64 v5, null, s1, v5, vcc_lo
	v_add_co_u32 v34, vcc_lo, s2, v2
	v_add_co_ci_u32_e64 v35, null, s3, v3, vcc_lo
	;; [unrolled: 2-line block ×3, first 2 shown]
	v_mov_b32_e32 v2, 0
	v_add_co_u32 v36, vcc_lo, s16, v36
	v_mov_b32_e32 v4, 0
	v_mov_b32_e32 v6, 0
	;; [unrolled: 1-line block ×14, first 2 shown]
	v_lshlrev_b32_e32 v38, 3, v0
	v_lshl_add_u32 v41, v1, 5, 0x800
	v_mov_b32_e32 v3, 0
	v_mov_b32_e32 v5, 0
	;; [unrolled: 1-line block ×16, first 2 shown]
	v_add_co_ci_u32_e64 v37, null, s17, v37, vcc_lo
	s_lshl_b64 s[0:1], s[24:25], 5
	s_mov_b64 s[2:3], 0
.LBB282_2:                              ; =>This Inner Loop Header: Depth=1
	global_load_dwordx2 v[42:43], v[36:37], off
	global_load_dwordx2 v[44:45], v[34:35], off
	s_add_u32 s2, s2, 4
	s_addc_u32 s3, s3, 0
	v_add_co_u32 v34, vcc_lo, v34, s0
	v_cmp_lt_i64_e64 s6, s[2:3], s[12:13]
	v_add_co_ci_u32_e64 v35, null, s1, v35, vcc_lo
	v_add_co_u32 v36, vcc_lo, v36, 32
	v_add_co_ci_u32_e64 v37, null, 0, v37, vcc_lo
	s_and_b32 vcc_lo, exec_lo, s6
	s_waitcnt vmcnt(1)
	ds_write_b64 v39, v[42:43]
	s_waitcnt vmcnt(0)
	ds_write_b64 v40, v[44:45]
	s_waitcnt lgkmcnt(0)
	s_barrier
	buffer_gl0_inv
	ds_read_b128 v[42:45], v41
	ds_read2_b64 v[46:49], v38 offset1:16
	ds_read_b128 v[50:53], v41 offset:512
	ds_read_b128 v[54:57], v41 offset:16
	;; [unrolled: 1-line block ×3, first 2 shown]
	s_waitcnt lgkmcnt(3)
	v_fma_f64 v[74:75], v[48:49], v[42:43], v[30:31]
	s_waitcnt lgkmcnt(2)
	v_fma_f64 v[76:77], v[46:47], v[50:51], v[28:29]
	ds_read_b128 v[28:31], v41 offset:1024
	ds_read_b128 v[62:65], v41 offset:1040
	;; [unrolled: 1-line block ×4, first 2 shown]
	v_fma_f64 v[32:33], v[46:47], v[42:43], v[32:33]
	v_fma_f64 v[22:23], v[48:49], v[50:51], v[22:23]
	s_waitcnt lgkmcnt(3)
	v_fma_f64 v[18:19], v[46:47], v[28:29], v[18:19]
	v_fma_f64 v[14:15], v[48:49], v[28:29], v[14:15]
	s_waitcnt lgkmcnt(1)
	v_fma_f64 v[46:47], v[46:47], v[66:67], v[8:9]
	v_fma_f64 v[48:49], v[48:49], v[66:67], v[6:7]
	ds_read2_b64 v[6:9], v38 offset0:32 offset1:48
	s_waitcnt lgkmcnt(0)
	v_fma_f64 v[26:27], v[6:7], v[42:43], v[26:27]
	v_fma_f64 v[24:25], v[8:9], v[42:43], v[24:25]
	;; [unrolled: 1-line block ×8, first 2 shown]
	ds_read2_b64 v[2:5], v38 offset0:64 offset1:80
	ds_read2_b64 v[6:9], v38 offset0:96 offset1:112
	s_waitcnt lgkmcnt(1)
	v_fma_f64 v[32:33], v[2:3], v[44:45], v[32:33]
	v_fma_f64 v[50:51], v[4:5], v[44:45], v[74:75]
	s_waitcnt lgkmcnt(0)
	v_fma_f64 v[26:27], v[6:7], v[44:45], v[26:27]
	v_fma_f64 v[24:25], v[8:9], v[44:45], v[24:25]
	;; [unrolled: 1-line block ×10, first 2 shown]
	ds_read2_b64 v[2:5], v38 offset0:128 offset1:144
	v_fma_f64 v[20:21], v[6:7], v[52:53], v[20:21]
	v_fma_f64 v[16:17], v[8:9], v[52:53], v[16:17]
	;; [unrolled: 1-line block ×4, first 2 shown]
	s_waitcnt lgkmcnt(0)
	v_fma_f64 v[28:29], v[2:3], v[54:55], v[32:33]
	v_fma_f64 v[42:43], v[4:5], v[54:55], v[50:51]
	;; [unrolled: 1-line block ×8, first 2 shown]
	ds_read2_b64 v[2:5], v38 offset0:160 offset1:176
	s_waitcnt lgkmcnt(0)
	v_fma_f64 v[26:27], v[2:3], v[54:55], v[26:27]
	v_fma_f64 v[24:25], v[4:5], v[54:55], v[24:25]
	;; [unrolled: 1-line block ×8, first 2 shown]
	ds_read2_b64 v[2:5], v38 offset0:192 offset1:208
	s_waitcnt lgkmcnt(0)
	v_fma_f64 v[30:31], v[4:5], v[56:57], v[42:43]
	ds_read2_b64 v[42:45], v38 offset0:224 offset1:240
	v_fma_f64 v[32:33], v[2:3], v[56:57], v[28:29]
	v_fma_f64 v[28:29], v[2:3], v[60:61], v[48:49]
	;; [unrolled: 1-line block ×7, first 2 shown]
	s_waitcnt lgkmcnt(0)
	s_barrier
	buffer_gl0_inv
	v_fma_f64 v[26:27], v[42:43], v[56:57], v[26:27]
	v_fma_f64 v[24:25], v[44:45], v[56:57], v[24:25]
	v_fma_f64 v[20:21], v[42:43], v[60:61], v[20:21]
	v_fma_f64 v[16:17], v[44:45], v[60:61], v[16:17]
	v_fma_f64 v[12:13], v[42:43], v[64:65], v[12:13]
	v_fma_f64 v[10:11], v[44:45], v[64:65], v[10:11]
	v_fma_f64 v[4:5], v[42:43], v[72:73], v[52:53]
	v_fma_f64 v[2:3], v[44:45], v[72:73], v[54:55]
	s_cbranch_vccnz .LBB282_2
	s_branch .LBB282_4
.LBB282_3:
	v_mov_b32_e32 v32, 0
	v_mov_b32_e32 v30, 0
	;; [unrolled: 1-line block ×32, first 2 shown]
.LBB282_4:
	s_clause 0x1
	s_load_dwordx8 s[16:23], s[4:5], 0x50
	s_load_dwordx8 s[0:7], s[4:5], 0x70
	s_waitcnt lgkmcnt(0)
	v_cmp_neq_f64_e64 s6, s[16:17], 0
	s_mul_i32 s5, s5, s8
	s_mul_hi_u32 s7, s4, s8
	s_mul_i32 s4, s4, s8
	s_add_i32 s5, s7, s5
	v_add_co_u32 v34, s7, s28, v1
	v_add_co_ci_u32_e64 v37, null, s29, 0, s7
	v_add_co_u32 v0, s7, s10, v0
	v_add_co_ci_u32_e64 v1, null, s11, 0, s7
	v_mul_lo_u32 v35, v37, s2
	v_mul_lo_u32 v36, v34, s3
	s_lshl_b64 s[4:5], s[4:5], 3
	v_lshlrev_b64 v[0:1], 3, v[0:1]
	s_add_u32 s0, s0, s4
	s_addc_u32 s1, s1, s5
	s_and_b32 vcc_lo, exec_lo, s6
	s_cbranch_vccnz .LBB282_8
; %bb.5:
	v_mad_u64_u32 v[38:39], null, v34, s2, 0
	v_mul_f64 v[40:41], s[14:15], v[32:33]
	v_mul_f64 v[42:43], s[14:15], v[30:31]
	;; [unrolled: 1-line block ×6, first 2 shown]
	v_add3_u32 v39, v39, v36, v35
	v_mul_f64 v[52:53], s[14:15], v[20:21]
	s_lshl_b64 s[4:5], s[2:3], 7
	v_lshlrev_b64 v[38:39], 3, v[38:39]
	v_add_co_u32 v54, vcc_lo, s0, v38
	v_add_co_ci_u32_e64 v55, null, s1, v39, vcc_lo
	v_mul_f64 v[38:39], s[14:15], v[16:17]
	v_add_co_u32 v58, vcc_lo, v54, s4
	v_add_co_ci_u32_e64 v59, null, s5, v55, vcc_lo
	v_add_co_u32 v54, vcc_lo, v54, v0
	v_add_co_ci_u32_e64 v55, null, v55, v1, vcc_lo
	;; [unrolled: 2-line block ×3, first 2 shown]
	global_store_dwordx2 v[54:55], v[40:41], off
	global_store_dwordx2 v[54:55], v[42:43], off offset:128
	global_store_dwordx2 v[54:55], v[44:45], off offset:256
	;; [unrolled: 1-line block ×3, first 2 shown]
	global_store_dwordx2 v[56:57], v[48:49], off
	global_store_dwordx2 v[56:57], v[50:51], off offset:128
	global_store_dwordx2 v[56:57], v[52:53], off offset:256
	v_mul_f64 v[40:41], s[14:15], v[18:19]
	v_mul_f64 v[54:55], s[14:15], v[2:3]
	v_mul_f64 v[42:43], s[14:15], v[14:15]
	v_mul_f64 v[44:45], s[14:15], v[12:13]
	v_mul_f64 v[46:47], s[14:15], v[10:11]
	v_mul_f64 v[48:49], s[14:15], v[8:9]
	v_mul_f64 v[50:51], s[14:15], v[6:7]
	v_add_co_u32 v58, vcc_lo, v58, s4
	v_mul_f64 v[52:53], s[14:15], v[4:5]
	v_add_co_ci_u32_e64 v59, null, s5, v59, vcc_lo
	global_store_dwordx2 v[56:57], v[38:39], off offset:384
	v_add_co_u32 v56, vcc_lo, v58, s4
	v_add_co_ci_u32_e64 v57, null, s5, v59, vcc_lo
	v_add_co_u32 v38, vcc_lo, v58, v0
	v_add_co_ci_u32_e64 v39, null, v59, v1, vcc_lo
	;; [unrolled: 2-line block ×3, first 2 shown]
	global_store_dwordx2 v[38:39], v[40:41], off
	global_store_dwordx2 v[38:39], v[42:43], off offset:128
	global_store_dwordx2 v[38:39], v[44:45], off offset:256
	;; [unrolled: 1-line block ×3, first 2 shown]
	global_store_dwordx2 v[56:57], v[48:49], off
	global_store_dwordx2 v[56:57], v[50:51], off offset:128
	global_store_dwordx2 v[56:57], v[52:53], off offset:256
	;; [unrolled: 1-line block ×3, first 2 shown]
	s_cbranch_execnz .LBB282_7
.LBB282_6:
	v_mul_lo_u32 v39, v37, s20
	v_mul_lo_u32 v40, v34, s21
	v_mad_u64_u32 v[37:38], null, v34, s20, 0
	s_mul_i32 s5, s23, s8
	s_mul_hi_u32 s6, s22, s8
	s_mul_i32 s4, s22, s8
	s_add_i32 s5, s6, s5
	v_mad_u64_u32 v[41:42], null, v34, s2, 0
	v_add3_u32 v38, v38, v40, v39
	s_lshl_b64 s[4:5], s[4:5], 3
	s_add_u32 s4, s18, s4
	s_addc_u32 s5, s19, s5
	v_lshlrev_b64 v[37:38], 3, v[37:38]
	v_add3_u32 v42, v42, v36, v35
	s_lshl_b64 s[2:3], s[2:3], 7
	v_lshlrev_b64 v[34:35], 3, v[41:42]
	v_add_co_u32 v43, vcc_lo, s4, v37
	v_add_co_ci_u32_e64 v44, null, s5, v38, vcc_lo
	v_add_co_u32 v37, vcc_lo, v43, v0
	v_add_co_ci_u32_e64 v38, null, v44, v1, vcc_lo
	v_add_co_u32 v36, vcc_lo, s0, v34
	global_load_dwordx2 v[39:40], v[37:38], off
	s_waitcnt vmcnt(0)
	v_mul_f64 v[39:40], s[16:17], v[39:40]
	v_fma_f64 v[32:33], s[14:15], v[32:33], v[39:40]
	v_add_co_ci_u32_e64 v39, null, s1, v35, vcc_lo
	v_add_co_u32 v34, vcc_lo, v36, v0
	s_lshl_b64 s[0:1], s[20:21], 7
	v_add_co_ci_u32_e64 v35, null, v39, v1, vcc_lo
	global_store_dwordx2 v[34:35], v[32:33], off
	global_load_dwordx2 v[32:33], v[37:38], off offset:128
	s_waitcnt vmcnt(0)
	v_mul_f64 v[32:33], s[16:17], v[32:33]
	v_fma_f64 v[30:31], s[14:15], v[30:31], v[32:33]
	global_store_dwordx2 v[34:35], v[30:31], off offset:128
	global_load_dwordx2 v[30:31], v[37:38], off offset:256
	s_waitcnt vmcnt(0)
	v_mul_f64 v[30:31], s[16:17], v[30:31]
	v_fma_f64 v[26:27], s[14:15], v[26:27], v[30:31]
	v_add_co_u32 v30, vcc_lo, v43, s0
	v_add_co_ci_u32_e64 v31, null, s1, v44, vcc_lo
	global_store_dwordx2 v[34:35], v[26:27], off offset:256
	global_load_dwordx2 v[26:27], v[37:38], off offset:384
	s_waitcnt vmcnt(0)
	v_mul_f64 v[26:27], s[16:17], v[26:27]
	v_fma_f64 v[24:25], s[14:15], v[24:25], v[26:27]
	v_add_co_u32 v26, vcc_lo, v30, v0
	v_add_co_ci_u32_e64 v27, null, v31, v1, vcc_lo
	v_add_co_u32 v32, vcc_lo, v36, s2
	v_add_co_ci_u32_e64 v33, null, s3, v39, vcc_lo
	global_store_dwordx2 v[34:35], v[24:25], off offset:384
	global_load_dwordx2 v[24:25], v[26:27], off
	s_waitcnt vmcnt(0)
	v_mul_f64 v[24:25], s[16:17], v[24:25]
	v_fma_f64 v[24:25], s[14:15], v[28:29], v[24:25]
	v_add_co_u32 v28, vcc_lo, v32, v0
	v_add_co_ci_u32_e64 v29, null, v33, v1, vcc_lo
	global_store_dwordx2 v[28:29], v[24:25], off
	global_load_dwordx2 v[24:25], v[26:27], off offset:128
	s_waitcnt vmcnt(0)
	v_mul_f64 v[24:25], s[16:17], v[24:25]
	v_fma_f64 v[22:23], s[14:15], v[22:23], v[24:25]
	global_store_dwordx2 v[28:29], v[22:23], off offset:128
	global_load_dwordx2 v[22:23], v[26:27], off offset:256
	s_waitcnt vmcnt(0)
	v_mul_f64 v[22:23], s[16:17], v[22:23]
	v_fma_f64 v[20:21], s[14:15], v[20:21], v[22:23]
	v_add_co_u32 v22, vcc_lo, v30, s0
	v_add_co_ci_u32_e64 v23, null, s1, v31, vcc_lo
	global_store_dwordx2 v[28:29], v[20:21], off offset:256
	global_load_dwordx2 v[20:21], v[26:27], off offset:384
	s_waitcnt vmcnt(0)
	v_mul_f64 v[20:21], s[16:17], v[20:21]
	v_fma_f64 v[16:17], s[14:15], v[16:17], v[20:21]
	v_add_co_u32 v20, vcc_lo, v22, v0
	v_add_co_ci_u32_e64 v21, null, v23, v1, vcc_lo
	v_add_co_u32 v24, vcc_lo, v32, s2
	v_add_co_ci_u32_e64 v25, null, s3, v33, vcc_lo
	global_store_dwordx2 v[28:29], v[16:17], off offset:384
	global_load_dwordx2 v[16:17], v[20:21], off
	s_waitcnt vmcnt(0)
	v_mul_f64 v[16:17], s[16:17], v[16:17]
	v_fma_f64 v[16:17], s[14:15], v[18:19], v[16:17]
	v_add_co_u32 v18, vcc_lo, v24, v0
	v_add_co_ci_u32_e64 v19, null, v25, v1, vcc_lo
	global_store_dwordx2 v[18:19], v[16:17], off
	global_load_dwordx2 v[16:17], v[20:21], off offset:128
	s_waitcnt vmcnt(0)
	v_mul_f64 v[16:17], s[16:17], v[16:17]
	v_fma_f64 v[14:15], s[14:15], v[14:15], v[16:17]
	global_store_dwordx2 v[18:19], v[14:15], off offset:128
	global_load_dwordx2 v[14:15], v[20:21], off offset:256
	s_waitcnt vmcnt(0)
	v_mul_f64 v[14:15], s[16:17], v[14:15]
	v_fma_f64 v[12:13], s[14:15], v[12:13], v[14:15]
	global_store_dwordx2 v[18:19], v[12:13], off offset:256
	global_load_dwordx2 v[12:13], v[20:21], off offset:384
	s_waitcnt vmcnt(0)
	v_mul_f64 v[12:13], s[16:17], v[12:13]
	v_fma_f64 v[10:11], s[14:15], v[10:11], v[12:13]
	v_add_co_u32 v12, vcc_lo, v22, s0
	v_add_co_ci_u32_e64 v13, null, s1, v23, vcc_lo
	v_add_co_u32 v12, vcc_lo, v12, v0
	v_add_co_ci_u32_e64 v13, null, v13, v1, vcc_lo
	global_store_dwordx2 v[18:19], v[10:11], off offset:384
	global_load_dwordx2 v[10:11], v[12:13], off
	s_waitcnt vmcnt(0)
	v_mul_f64 v[10:11], s[16:17], v[10:11]
	v_fma_f64 v[8:9], s[14:15], v[8:9], v[10:11]
	v_add_co_u32 v10, vcc_lo, v24, s2
	v_add_co_ci_u32_e64 v11, null, s3, v25, vcc_lo
	v_add_co_u32 v0, vcc_lo, v10, v0
	v_add_co_ci_u32_e64 v1, null, v11, v1, vcc_lo
	global_store_dwordx2 v[0:1], v[8:9], off
	global_load_dwordx2 v[8:9], v[12:13], off offset:128
	s_waitcnt vmcnt(0)
	v_mul_f64 v[8:9], s[16:17], v[8:9]
	v_fma_f64 v[6:7], s[14:15], v[6:7], v[8:9]
	global_store_dwordx2 v[0:1], v[6:7], off offset:128
	global_load_dwordx2 v[6:7], v[12:13], off offset:256
	s_waitcnt vmcnt(0)
	v_mul_f64 v[6:7], s[16:17], v[6:7]
	v_fma_f64 v[4:5], s[14:15], v[4:5], v[6:7]
	global_store_dwordx2 v[0:1], v[4:5], off offset:256
	;; [unrolled: 5-line block ×3, first 2 shown]
.LBB282_7:
	s_endpgm
.LBB282_8:
	s_branch .LBB282_6
	.section	.rodata,"a",@progbits
	.p2align	6, 0x0
	.amdhsa_kernel _ZN12_GLOBAL__N_127rocblas_gemm_batched_kernelIdLi16ELi16ELi64ELi64ELi4ELi64ELi4ELi4ELi64ELc84ELc84EKdS1_dEEvlllT_PT11_llS4_llS2_PT12_llPT13_lli
		.amdhsa_group_segment_fixed_size 4096
		.amdhsa_private_segment_fixed_size 0
		.amdhsa_kernarg_size 140
		.amdhsa_user_sgpr_count 6
		.amdhsa_user_sgpr_private_segment_buffer 1
		.amdhsa_user_sgpr_dispatch_ptr 0
		.amdhsa_user_sgpr_queue_ptr 0
		.amdhsa_user_sgpr_kernarg_segment_ptr 1
		.amdhsa_user_sgpr_dispatch_id 0
		.amdhsa_user_sgpr_flat_scratch_init 0
		.amdhsa_user_sgpr_private_segment_size 0
		.amdhsa_wavefront_size32 1
		.amdhsa_uses_dynamic_stack 0
		.amdhsa_system_sgpr_private_segment_wavefront_offset 0
		.amdhsa_system_sgpr_workgroup_id_x 1
		.amdhsa_system_sgpr_workgroup_id_y 1
		.amdhsa_system_sgpr_workgroup_id_z 1
		.amdhsa_system_sgpr_workgroup_info 0
		.amdhsa_system_vgpr_workitem_id 1
		.amdhsa_next_free_vgpr 78
		.amdhsa_next_free_sgpr 30
		.amdhsa_reserve_vcc 1
		.amdhsa_reserve_flat_scratch 0
		.amdhsa_float_round_mode_32 0
		.amdhsa_float_round_mode_16_64 0
		.amdhsa_float_denorm_mode_32 3
		.amdhsa_float_denorm_mode_16_64 3
		.amdhsa_dx10_clamp 1
		.amdhsa_ieee_mode 1
		.amdhsa_fp16_overflow 0
		.amdhsa_workgroup_processor_mode 1
		.amdhsa_memory_ordered 1
		.amdhsa_forward_progress 1
		.amdhsa_shared_vgpr_count 0
		.amdhsa_exception_fp_ieee_invalid_op 0
		.amdhsa_exception_fp_denorm_src 0
		.amdhsa_exception_fp_ieee_div_zero 0
		.amdhsa_exception_fp_ieee_overflow 0
		.amdhsa_exception_fp_ieee_underflow 0
		.amdhsa_exception_fp_ieee_inexact 0
		.amdhsa_exception_int_div_zero 0
	.end_amdhsa_kernel
	.section	.text._ZN12_GLOBAL__N_127rocblas_gemm_batched_kernelIdLi16ELi16ELi64ELi64ELi4ELi64ELi4ELi4ELi64ELc84ELc84EKdS1_dEEvlllT_PT11_llS4_llS2_PT12_llPT13_lli,"axG",@progbits,_ZN12_GLOBAL__N_127rocblas_gemm_batched_kernelIdLi16ELi16ELi64ELi64ELi4ELi64ELi4ELi4ELi64ELc84ELc84EKdS1_dEEvlllT_PT11_llS4_llS2_PT12_llPT13_lli,comdat
.Lfunc_end282:
	.size	_ZN12_GLOBAL__N_127rocblas_gemm_batched_kernelIdLi16ELi16ELi64ELi64ELi4ELi64ELi4ELi4ELi64ELc84ELc84EKdS1_dEEvlllT_PT11_llS4_llS2_PT12_llPT13_lli, .Lfunc_end282-_ZN12_GLOBAL__N_127rocblas_gemm_batched_kernelIdLi16ELi16ELi64ELi64ELi4ELi64ELi4ELi4ELi64ELc84ELc84EKdS1_dEEvlllT_PT11_llS4_llS2_PT12_llPT13_lli
                                        ; -- End function
	.set _ZN12_GLOBAL__N_127rocblas_gemm_batched_kernelIdLi16ELi16ELi64ELi64ELi4ELi64ELi4ELi4ELi64ELc84ELc84EKdS1_dEEvlllT_PT11_llS4_llS2_PT12_llPT13_lli.num_vgpr, 78
	.set _ZN12_GLOBAL__N_127rocblas_gemm_batched_kernelIdLi16ELi16ELi64ELi64ELi4ELi64ELi4ELi4ELi64ELc84ELc84EKdS1_dEEvlllT_PT11_llS4_llS2_PT12_llPT13_lli.num_agpr, 0
	.set _ZN12_GLOBAL__N_127rocblas_gemm_batched_kernelIdLi16ELi16ELi64ELi64ELi4ELi64ELi4ELi4ELi64ELc84ELc84EKdS1_dEEvlllT_PT11_llS4_llS2_PT12_llPT13_lli.numbered_sgpr, 30
	.set _ZN12_GLOBAL__N_127rocblas_gemm_batched_kernelIdLi16ELi16ELi64ELi64ELi4ELi64ELi4ELi4ELi64ELc84ELc84EKdS1_dEEvlllT_PT11_llS4_llS2_PT12_llPT13_lli.num_named_barrier, 0
	.set _ZN12_GLOBAL__N_127rocblas_gemm_batched_kernelIdLi16ELi16ELi64ELi64ELi4ELi64ELi4ELi4ELi64ELc84ELc84EKdS1_dEEvlllT_PT11_llS4_llS2_PT12_llPT13_lli.private_seg_size, 0
	.set _ZN12_GLOBAL__N_127rocblas_gemm_batched_kernelIdLi16ELi16ELi64ELi64ELi4ELi64ELi4ELi4ELi64ELc84ELc84EKdS1_dEEvlllT_PT11_llS4_llS2_PT12_llPT13_lli.uses_vcc, 1
	.set _ZN12_GLOBAL__N_127rocblas_gemm_batched_kernelIdLi16ELi16ELi64ELi64ELi4ELi64ELi4ELi4ELi64ELc84ELc84EKdS1_dEEvlllT_PT11_llS4_llS2_PT12_llPT13_lli.uses_flat_scratch, 0
	.set _ZN12_GLOBAL__N_127rocblas_gemm_batched_kernelIdLi16ELi16ELi64ELi64ELi4ELi64ELi4ELi4ELi64ELc84ELc84EKdS1_dEEvlllT_PT11_llS4_llS2_PT12_llPT13_lli.has_dyn_sized_stack, 0
	.set _ZN12_GLOBAL__N_127rocblas_gemm_batched_kernelIdLi16ELi16ELi64ELi64ELi4ELi64ELi4ELi4ELi64ELc84ELc84EKdS1_dEEvlllT_PT11_llS4_llS2_PT12_llPT13_lli.has_recursion, 0
	.set _ZN12_GLOBAL__N_127rocblas_gemm_batched_kernelIdLi16ELi16ELi64ELi64ELi4ELi64ELi4ELi4ELi64ELc84ELc84EKdS1_dEEvlllT_PT11_llS4_llS2_PT12_llPT13_lli.has_indirect_call, 0
	.section	.AMDGPU.csdata,"",@progbits
; Kernel info:
; codeLenInByte = 2896
; TotalNumSgprs: 32
; NumVgprs: 78
; ScratchSize: 0
; MemoryBound: 0
; FloatMode: 240
; IeeeMode: 1
; LDSByteSize: 4096 bytes/workgroup (compile time only)
; SGPRBlocks: 0
; VGPRBlocks: 9
; NumSGPRsForWavesPerEU: 32
; NumVGPRsForWavesPerEU: 78
; Occupancy: 12
; WaveLimiterHint : 1
; COMPUTE_PGM_RSRC2:SCRATCH_EN: 0
; COMPUTE_PGM_RSRC2:USER_SGPR: 6
; COMPUTE_PGM_RSRC2:TRAP_HANDLER: 0
; COMPUTE_PGM_RSRC2:TGID_X_EN: 1
; COMPUTE_PGM_RSRC2:TGID_Y_EN: 1
; COMPUTE_PGM_RSRC2:TGID_Z_EN: 1
; COMPUTE_PGM_RSRC2:TIDIG_COMP_CNT: 1
	.section	.text._ZN12_GLOBAL__N_127rocblas_gemm_batched_kernelIdLi16ELi16ELi64ELi64ELi4ELi64ELi4ELi4ELi64ELc67ELc67EKdS1_dEEvlllT_PT11_llS4_llS2_PT12_llPT13_lli,"axG",@progbits,_ZN12_GLOBAL__N_127rocblas_gemm_batched_kernelIdLi16ELi16ELi64ELi64ELi4ELi64ELi4ELi4ELi64ELc67ELc67EKdS1_dEEvlllT_PT11_llS4_llS2_PT12_llPT13_lli,comdat
	.globl	_ZN12_GLOBAL__N_127rocblas_gemm_batched_kernelIdLi16ELi16ELi64ELi64ELi4ELi64ELi4ELi4ELi64ELc67ELc67EKdS1_dEEvlllT_PT11_llS4_llS2_PT12_llPT13_lli ; -- Begin function _ZN12_GLOBAL__N_127rocblas_gemm_batched_kernelIdLi16ELi16ELi64ELi64ELi4ELi64ELi4ELi4ELi64ELc67ELc67EKdS1_dEEvlllT_PT11_llS4_llS2_PT12_llPT13_lli
	.p2align	8
	.type	_ZN12_GLOBAL__N_127rocblas_gemm_batched_kernelIdLi16ELi16ELi64ELi64ELi4ELi64ELi4ELi4ELi64ELc67ELc67EKdS1_dEEvlllT_PT11_llS4_llS2_PT12_llPT13_lli,@function
_ZN12_GLOBAL__N_127rocblas_gemm_batched_kernelIdLi16ELi16ELi64ELi64ELi4ELi64ELi4ELi4ELi64ELc67ELc67EKdS1_dEEvlllT_PT11_llS4_llS2_PT12_llPT13_lli: ; @_ZN12_GLOBAL__N_127rocblas_gemm_batched_kernelIdLi16ELi16ELi64ELi64ELi4ELi64ELi4ELi4ELi64ELc67ELc67EKdS1_dEEvlllT_PT11_llS4_llS2_PT12_llPT13_lli
; %bb.0:
	s_load_dwordx16 s[12:27], s[4:5], 0x10
	s_mov_b32 s0, s7
	v_mov_b32_e32 v3, 0
	s_ashr_i32 s7, s6, 31
	s_ashr_i32 s1, s0, 31
	s_lshl_b64 s[10:11], s[6:7], 6
	s_lshl_b64 s[28:29], s[0:1], 6
	s_waitcnt lgkmcnt(0)
	v_cmp_lt_i64_e64 s2, s[12:13], 1
	s_and_b32 vcc_lo, exec_lo, s2
	s_cbranch_vccnz .LBB283_3
; %bb.1:
	v_lshl_add_u32 v5, v1, 4, v0
	v_and_b32_e32 v6, 3, v0
	s_mul_i32 s0, s27, s8
	s_mul_hi_u32 s1, s26, s8
	v_mov_b32_e32 v12, 0
	v_lshrrev_b32_e32 v2, 2, v5
	v_and_b32_e32 v7, 63, v5
	v_lshlrev_b32_e32 v8, 3, v6
	s_add_i32 s1, s1, s0
	v_lshrrev_b32_e32 v9, 6, v5
	v_mad_u64_u32 v[3:4], null, s24, v6, v[2:3]
	v_lshlrev_b32_e32 v5, 3, v7
	v_add_co_u32 v7, s0, s10, v7
	v_lshl_or_b32 v8, v2, 5, v8
	v_add_co_ci_u32_e64 v10, null, s11, 0, s0
	v_mov_b32_e32 v2, v4
	v_lshl_or_b32 v39, v9, 9, v5
	v_add_nc_u32_e32 v40, 0x800, v8
	v_mul_lo_u32 v8, s19, v7
	v_mul_lo_u32 v10, s18, v10
	v_mad_u64_u32 v[4:5], null, s25, v6, v[2:3]
	v_mad_u64_u32 v[5:6], null, s18, v7, 0
	s_mul_i32 s0, s26, s8
	v_add_co_u32 v2, vcc_lo, v3, s28
	s_lshl_b64 s[0:1], s[0:1], 3
	v_add_co_ci_u32_e64 v3, null, s29, v4, vcc_lo
	v_add3_u32 v6, v6, v10, v8
	s_add_u32 s2, s22, s0
	s_addc_u32 s3, s23, s1
	s_mul_i32 s0, s21, s8
	s_mul_hi_u32 s1, s20, s8
	v_lshlrev_b64 v[4:5], 3, v[5:6]
	s_add_i32 s1, s1, s0
	s_mul_i32 s0, s20, s8
	v_lshlrev_b64 v[2:3], 3, v[2:3]
	s_lshl_b64 s[0:1], s[0:1], 3
	v_lshlrev_b32_e32 v6, 3, v9
	v_add_co_u32 v4, vcc_lo, v4, s0
	v_add_co_ci_u32_e64 v5, null, s1, v5, vcc_lo
	v_add_co_u32 v34, vcc_lo, s2, v2
	v_add_co_ci_u32_e64 v35, null, s3, v3, vcc_lo
	;; [unrolled: 2-line block ×3, first 2 shown]
	v_mov_b32_e32 v2, 0
	v_add_co_u32 v36, vcc_lo, s16, v36
	v_mov_b32_e32 v4, 0
	v_mov_b32_e32 v6, 0
	;; [unrolled: 1-line block ×14, first 2 shown]
	v_lshlrev_b32_e32 v38, 3, v0
	v_lshl_add_u32 v41, v1, 5, 0x800
	v_mov_b32_e32 v3, 0
	v_mov_b32_e32 v5, 0
	;; [unrolled: 1-line block ×16, first 2 shown]
	v_add_co_ci_u32_e64 v37, null, s17, v37, vcc_lo
	s_lshl_b64 s[0:1], s[24:25], 5
	s_mov_b64 s[2:3], 0
.LBB283_2:                              ; =>This Inner Loop Header: Depth=1
	global_load_dwordx2 v[42:43], v[36:37], off
	global_load_dwordx2 v[44:45], v[34:35], off
	s_add_u32 s2, s2, 4
	s_addc_u32 s3, s3, 0
	v_add_co_u32 v34, vcc_lo, v34, s0
	v_cmp_lt_i64_e64 s6, s[2:3], s[12:13]
	v_add_co_ci_u32_e64 v35, null, s1, v35, vcc_lo
	v_add_co_u32 v36, vcc_lo, v36, 32
	v_add_co_ci_u32_e64 v37, null, 0, v37, vcc_lo
	s_and_b32 vcc_lo, exec_lo, s6
	s_waitcnt vmcnt(1)
	ds_write_b64 v39, v[42:43]
	s_waitcnt vmcnt(0)
	ds_write_b64 v40, v[44:45]
	s_waitcnt lgkmcnt(0)
	s_barrier
	buffer_gl0_inv
	ds_read_b128 v[42:45], v41
	ds_read2_b64 v[46:49], v38 offset1:16
	ds_read_b128 v[50:53], v41 offset:512
	ds_read_b128 v[54:57], v41 offset:16
	;; [unrolled: 1-line block ×3, first 2 shown]
	s_waitcnt lgkmcnt(3)
	v_fma_f64 v[74:75], v[48:49], v[42:43], v[30:31]
	s_waitcnt lgkmcnt(2)
	v_fma_f64 v[76:77], v[46:47], v[50:51], v[28:29]
	ds_read_b128 v[28:31], v41 offset:1024
	ds_read_b128 v[62:65], v41 offset:1040
	;; [unrolled: 1-line block ×4, first 2 shown]
	v_fma_f64 v[32:33], v[46:47], v[42:43], v[32:33]
	v_fma_f64 v[22:23], v[48:49], v[50:51], v[22:23]
	s_waitcnt lgkmcnt(3)
	v_fma_f64 v[18:19], v[46:47], v[28:29], v[18:19]
	v_fma_f64 v[14:15], v[48:49], v[28:29], v[14:15]
	s_waitcnt lgkmcnt(1)
	v_fma_f64 v[46:47], v[46:47], v[66:67], v[8:9]
	v_fma_f64 v[48:49], v[48:49], v[66:67], v[6:7]
	ds_read2_b64 v[6:9], v38 offset0:32 offset1:48
	s_waitcnt lgkmcnt(0)
	v_fma_f64 v[26:27], v[6:7], v[42:43], v[26:27]
	v_fma_f64 v[24:25], v[8:9], v[42:43], v[24:25]
	v_fma_f64 v[12:13], v[6:7], v[28:29], v[12:13]
	v_fma_f64 v[10:11], v[8:9], v[28:29], v[10:11]
	v_fma_f64 v[20:21], v[6:7], v[50:51], v[20:21]
	v_fma_f64 v[16:17], v[8:9], v[50:51], v[16:17]
	v_fma_f64 v[28:29], v[6:7], v[66:67], v[4:5]
	v_fma_f64 v[42:43], v[8:9], v[66:67], v[2:3]
	ds_read2_b64 v[2:5], v38 offset0:64 offset1:80
	ds_read2_b64 v[6:9], v38 offset0:96 offset1:112
	s_waitcnt lgkmcnt(1)
	v_fma_f64 v[32:33], v[2:3], v[44:45], v[32:33]
	v_fma_f64 v[50:51], v[4:5], v[44:45], v[74:75]
	s_waitcnt lgkmcnt(0)
	v_fma_f64 v[26:27], v[6:7], v[44:45], v[26:27]
	v_fma_f64 v[24:25], v[8:9], v[44:45], v[24:25]
	v_fma_f64 v[44:45], v[2:3], v[52:53], v[76:77]
	v_fma_f64 v[22:23], v[4:5], v[52:53], v[22:23]
	v_fma_f64 v[18:19], v[2:3], v[30:31], v[18:19]
	v_fma_f64 v[14:15], v[4:5], v[30:31], v[14:15]
	v_fma_f64 v[12:13], v[6:7], v[30:31], v[12:13]
	v_fma_f64 v[10:11], v[8:9], v[30:31], v[10:11]
	v_fma_f64 v[30:31], v[2:3], v[68:69], v[46:47]
	v_fma_f64 v[46:47], v[4:5], v[68:69], v[48:49]
	ds_read2_b64 v[2:5], v38 offset0:128 offset1:144
	v_fma_f64 v[20:21], v[6:7], v[52:53], v[20:21]
	v_fma_f64 v[16:17], v[8:9], v[52:53], v[16:17]
	;; [unrolled: 1-line block ×4, first 2 shown]
	s_waitcnt lgkmcnt(0)
	v_fma_f64 v[28:29], v[2:3], v[54:55], v[32:33]
	v_fma_f64 v[42:43], v[4:5], v[54:55], v[50:51]
	;; [unrolled: 1-line block ×8, first 2 shown]
	ds_read2_b64 v[2:5], v38 offset0:160 offset1:176
	s_waitcnt lgkmcnt(0)
	v_fma_f64 v[26:27], v[2:3], v[54:55], v[26:27]
	v_fma_f64 v[24:25], v[4:5], v[54:55], v[24:25]
	;; [unrolled: 1-line block ×8, first 2 shown]
	ds_read2_b64 v[2:5], v38 offset0:192 offset1:208
	s_waitcnt lgkmcnt(0)
	v_fma_f64 v[30:31], v[4:5], v[56:57], v[42:43]
	ds_read2_b64 v[42:45], v38 offset0:224 offset1:240
	v_fma_f64 v[32:33], v[2:3], v[56:57], v[28:29]
	v_fma_f64 v[28:29], v[2:3], v[60:61], v[48:49]
	;; [unrolled: 1-line block ×7, first 2 shown]
	s_waitcnt lgkmcnt(0)
	s_barrier
	buffer_gl0_inv
	v_fma_f64 v[26:27], v[42:43], v[56:57], v[26:27]
	v_fma_f64 v[24:25], v[44:45], v[56:57], v[24:25]
	;; [unrolled: 1-line block ×8, first 2 shown]
	s_cbranch_vccnz .LBB283_2
	s_branch .LBB283_4
.LBB283_3:
	v_mov_b32_e32 v32, 0
	v_mov_b32_e32 v30, 0
	;; [unrolled: 1-line block ×32, first 2 shown]
.LBB283_4:
	s_clause 0x1
	s_load_dwordx8 s[16:23], s[4:5], 0x50
	s_load_dwordx8 s[0:7], s[4:5], 0x70
	s_waitcnt lgkmcnt(0)
	v_cmp_neq_f64_e64 s6, s[16:17], 0
	s_mul_i32 s5, s5, s8
	s_mul_hi_u32 s7, s4, s8
	s_mul_i32 s4, s4, s8
	s_add_i32 s5, s7, s5
	v_add_co_u32 v34, s7, s28, v1
	v_add_co_ci_u32_e64 v37, null, s29, 0, s7
	v_add_co_u32 v0, s7, s10, v0
	v_add_co_ci_u32_e64 v1, null, s11, 0, s7
	v_mul_lo_u32 v35, v37, s2
	v_mul_lo_u32 v36, v34, s3
	s_lshl_b64 s[4:5], s[4:5], 3
	v_lshlrev_b64 v[0:1], 3, v[0:1]
	s_add_u32 s0, s0, s4
	s_addc_u32 s1, s1, s5
	s_and_b32 vcc_lo, exec_lo, s6
	s_cbranch_vccnz .LBB283_8
; %bb.5:
	v_mad_u64_u32 v[38:39], null, v34, s2, 0
	v_mul_f64 v[40:41], s[14:15], v[32:33]
	v_mul_f64 v[42:43], s[14:15], v[30:31]
	;; [unrolled: 1-line block ×6, first 2 shown]
	v_add3_u32 v39, v39, v36, v35
	v_mul_f64 v[52:53], s[14:15], v[20:21]
	s_lshl_b64 s[4:5], s[2:3], 7
	v_lshlrev_b64 v[38:39], 3, v[38:39]
	v_add_co_u32 v54, vcc_lo, s0, v38
	v_add_co_ci_u32_e64 v55, null, s1, v39, vcc_lo
	v_mul_f64 v[38:39], s[14:15], v[16:17]
	v_add_co_u32 v58, vcc_lo, v54, s4
	v_add_co_ci_u32_e64 v59, null, s5, v55, vcc_lo
	v_add_co_u32 v54, vcc_lo, v54, v0
	v_add_co_ci_u32_e64 v55, null, v55, v1, vcc_lo
	;; [unrolled: 2-line block ×3, first 2 shown]
	global_store_dwordx2 v[54:55], v[40:41], off
	global_store_dwordx2 v[54:55], v[42:43], off offset:128
	global_store_dwordx2 v[54:55], v[44:45], off offset:256
	;; [unrolled: 1-line block ×3, first 2 shown]
	global_store_dwordx2 v[56:57], v[48:49], off
	global_store_dwordx2 v[56:57], v[50:51], off offset:128
	global_store_dwordx2 v[56:57], v[52:53], off offset:256
	v_mul_f64 v[40:41], s[14:15], v[18:19]
	v_mul_f64 v[54:55], s[14:15], v[2:3]
	;; [unrolled: 1-line block ×7, first 2 shown]
	v_add_co_u32 v58, vcc_lo, v58, s4
	v_mul_f64 v[52:53], s[14:15], v[4:5]
	v_add_co_ci_u32_e64 v59, null, s5, v59, vcc_lo
	global_store_dwordx2 v[56:57], v[38:39], off offset:384
	v_add_co_u32 v56, vcc_lo, v58, s4
	v_add_co_ci_u32_e64 v57, null, s5, v59, vcc_lo
	v_add_co_u32 v38, vcc_lo, v58, v0
	v_add_co_ci_u32_e64 v39, null, v59, v1, vcc_lo
	;; [unrolled: 2-line block ×3, first 2 shown]
	global_store_dwordx2 v[38:39], v[40:41], off
	global_store_dwordx2 v[38:39], v[42:43], off offset:128
	global_store_dwordx2 v[38:39], v[44:45], off offset:256
	;; [unrolled: 1-line block ×3, first 2 shown]
	global_store_dwordx2 v[56:57], v[48:49], off
	global_store_dwordx2 v[56:57], v[50:51], off offset:128
	global_store_dwordx2 v[56:57], v[52:53], off offset:256
	;; [unrolled: 1-line block ×3, first 2 shown]
	s_cbranch_execnz .LBB283_7
.LBB283_6:
	v_mul_lo_u32 v39, v37, s20
	v_mul_lo_u32 v40, v34, s21
	v_mad_u64_u32 v[37:38], null, v34, s20, 0
	s_mul_i32 s5, s23, s8
	s_mul_hi_u32 s6, s22, s8
	s_mul_i32 s4, s22, s8
	s_add_i32 s5, s6, s5
	v_mad_u64_u32 v[41:42], null, v34, s2, 0
	v_add3_u32 v38, v38, v40, v39
	s_lshl_b64 s[4:5], s[4:5], 3
	s_add_u32 s4, s18, s4
	s_addc_u32 s5, s19, s5
	v_lshlrev_b64 v[37:38], 3, v[37:38]
	v_add3_u32 v42, v42, v36, v35
	s_lshl_b64 s[2:3], s[2:3], 7
	v_lshlrev_b64 v[34:35], 3, v[41:42]
	v_add_co_u32 v43, vcc_lo, s4, v37
	v_add_co_ci_u32_e64 v44, null, s5, v38, vcc_lo
	v_add_co_u32 v37, vcc_lo, v43, v0
	v_add_co_ci_u32_e64 v38, null, v44, v1, vcc_lo
	v_add_co_u32 v36, vcc_lo, s0, v34
	global_load_dwordx2 v[39:40], v[37:38], off
	s_waitcnt vmcnt(0)
	v_mul_f64 v[39:40], s[16:17], v[39:40]
	v_fma_f64 v[32:33], s[14:15], v[32:33], v[39:40]
	v_add_co_ci_u32_e64 v39, null, s1, v35, vcc_lo
	v_add_co_u32 v34, vcc_lo, v36, v0
	s_lshl_b64 s[0:1], s[20:21], 7
	v_add_co_ci_u32_e64 v35, null, v39, v1, vcc_lo
	global_store_dwordx2 v[34:35], v[32:33], off
	global_load_dwordx2 v[32:33], v[37:38], off offset:128
	s_waitcnt vmcnt(0)
	v_mul_f64 v[32:33], s[16:17], v[32:33]
	v_fma_f64 v[30:31], s[14:15], v[30:31], v[32:33]
	global_store_dwordx2 v[34:35], v[30:31], off offset:128
	global_load_dwordx2 v[30:31], v[37:38], off offset:256
	s_waitcnt vmcnt(0)
	v_mul_f64 v[30:31], s[16:17], v[30:31]
	v_fma_f64 v[26:27], s[14:15], v[26:27], v[30:31]
	v_add_co_u32 v30, vcc_lo, v43, s0
	v_add_co_ci_u32_e64 v31, null, s1, v44, vcc_lo
	global_store_dwordx2 v[34:35], v[26:27], off offset:256
	global_load_dwordx2 v[26:27], v[37:38], off offset:384
	s_waitcnt vmcnt(0)
	v_mul_f64 v[26:27], s[16:17], v[26:27]
	v_fma_f64 v[24:25], s[14:15], v[24:25], v[26:27]
	v_add_co_u32 v26, vcc_lo, v30, v0
	v_add_co_ci_u32_e64 v27, null, v31, v1, vcc_lo
	v_add_co_u32 v32, vcc_lo, v36, s2
	v_add_co_ci_u32_e64 v33, null, s3, v39, vcc_lo
	global_store_dwordx2 v[34:35], v[24:25], off offset:384
	global_load_dwordx2 v[24:25], v[26:27], off
	s_waitcnt vmcnt(0)
	v_mul_f64 v[24:25], s[16:17], v[24:25]
	v_fma_f64 v[24:25], s[14:15], v[28:29], v[24:25]
	v_add_co_u32 v28, vcc_lo, v32, v0
	v_add_co_ci_u32_e64 v29, null, v33, v1, vcc_lo
	global_store_dwordx2 v[28:29], v[24:25], off
	global_load_dwordx2 v[24:25], v[26:27], off offset:128
	s_waitcnt vmcnt(0)
	v_mul_f64 v[24:25], s[16:17], v[24:25]
	v_fma_f64 v[22:23], s[14:15], v[22:23], v[24:25]
	global_store_dwordx2 v[28:29], v[22:23], off offset:128
	global_load_dwordx2 v[22:23], v[26:27], off offset:256
	s_waitcnt vmcnt(0)
	v_mul_f64 v[22:23], s[16:17], v[22:23]
	v_fma_f64 v[20:21], s[14:15], v[20:21], v[22:23]
	v_add_co_u32 v22, vcc_lo, v30, s0
	v_add_co_ci_u32_e64 v23, null, s1, v31, vcc_lo
	global_store_dwordx2 v[28:29], v[20:21], off offset:256
	global_load_dwordx2 v[20:21], v[26:27], off offset:384
	s_waitcnt vmcnt(0)
	v_mul_f64 v[20:21], s[16:17], v[20:21]
	v_fma_f64 v[16:17], s[14:15], v[16:17], v[20:21]
	v_add_co_u32 v20, vcc_lo, v22, v0
	v_add_co_ci_u32_e64 v21, null, v23, v1, vcc_lo
	v_add_co_u32 v24, vcc_lo, v32, s2
	v_add_co_ci_u32_e64 v25, null, s3, v33, vcc_lo
	global_store_dwordx2 v[28:29], v[16:17], off offset:384
	global_load_dwordx2 v[16:17], v[20:21], off
	s_waitcnt vmcnt(0)
	v_mul_f64 v[16:17], s[16:17], v[16:17]
	v_fma_f64 v[16:17], s[14:15], v[18:19], v[16:17]
	v_add_co_u32 v18, vcc_lo, v24, v0
	v_add_co_ci_u32_e64 v19, null, v25, v1, vcc_lo
	global_store_dwordx2 v[18:19], v[16:17], off
	global_load_dwordx2 v[16:17], v[20:21], off offset:128
	s_waitcnt vmcnt(0)
	v_mul_f64 v[16:17], s[16:17], v[16:17]
	v_fma_f64 v[14:15], s[14:15], v[14:15], v[16:17]
	global_store_dwordx2 v[18:19], v[14:15], off offset:128
	global_load_dwordx2 v[14:15], v[20:21], off offset:256
	s_waitcnt vmcnt(0)
	v_mul_f64 v[14:15], s[16:17], v[14:15]
	v_fma_f64 v[12:13], s[14:15], v[12:13], v[14:15]
	global_store_dwordx2 v[18:19], v[12:13], off offset:256
	global_load_dwordx2 v[12:13], v[20:21], off offset:384
	s_waitcnt vmcnt(0)
	v_mul_f64 v[12:13], s[16:17], v[12:13]
	v_fma_f64 v[10:11], s[14:15], v[10:11], v[12:13]
	v_add_co_u32 v12, vcc_lo, v22, s0
	v_add_co_ci_u32_e64 v13, null, s1, v23, vcc_lo
	v_add_co_u32 v12, vcc_lo, v12, v0
	v_add_co_ci_u32_e64 v13, null, v13, v1, vcc_lo
	global_store_dwordx2 v[18:19], v[10:11], off offset:384
	global_load_dwordx2 v[10:11], v[12:13], off
	s_waitcnt vmcnt(0)
	v_mul_f64 v[10:11], s[16:17], v[10:11]
	v_fma_f64 v[8:9], s[14:15], v[8:9], v[10:11]
	v_add_co_u32 v10, vcc_lo, v24, s2
	v_add_co_ci_u32_e64 v11, null, s3, v25, vcc_lo
	v_add_co_u32 v0, vcc_lo, v10, v0
	v_add_co_ci_u32_e64 v1, null, v11, v1, vcc_lo
	global_store_dwordx2 v[0:1], v[8:9], off
	global_load_dwordx2 v[8:9], v[12:13], off offset:128
	s_waitcnt vmcnt(0)
	v_mul_f64 v[8:9], s[16:17], v[8:9]
	v_fma_f64 v[6:7], s[14:15], v[6:7], v[8:9]
	global_store_dwordx2 v[0:1], v[6:7], off offset:128
	global_load_dwordx2 v[6:7], v[12:13], off offset:256
	s_waitcnt vmcnt(0)
	v_mul_f64 v[6:7], s[16:17], v[6:7]
	v_fma_f64 v[4:5], s[14:15], v[4:5], v[6:7]
	global_store_dwordx2 v[0:1], v[4:5], off offset:256
	global_load_dwordx2 v[4:5], v[12:13], off offset:384
	s_waitcnt vmcnt(0)
	v_mul_f64 v[4:5], s[16:17], v[4:5]
	v_fma_f64 v[2:3], s[14:15], v[2:3], v[4:5]
	global_store_dwordx2 v[0:1], v[2:3], off offset:384
.LBB283_7:
	s_endpgm
.LBB283_8:
	s_branch .LBB283_6
	.section	.rodata,"a",@progbits
	.p2align	6, 0x0
	.amdhsa_kernel _ZN12_GLOBAL__N_127rocblas_gemm_batched_kernelIdLi16ELi16ELi64ELi64ELi4ELi64ELi4ELi4ELi64ELc67ELc67EKdS1_dEEvlllT_PT11_llS4_llS2_PT12_llPT13_lli
		.amdhsa_group_segment_fixed_size 4096
		.amdhsa_private_segment_fixed_size 0
		.amdhsa_kernarg_size 140
		.amdhsa_user_sgpr_count 6
		.amdhsa_user_sgpr_private_segment_buffer 1
		.amdhsa_user_sgpr_dispatch_ptr 0
		.amdhsa_user_sgpr_queue_ptr 0
		.amdhsa_user_sgpr_kernarg_segment_ptr 1
		.amdhsa_user_sgpr_dispatch_id 0
		.amdhsa_user_sgpr_flat_scratch_init 0
		.amdhsa_user_sgpr_private_segment_size 0
		.amdhsa_wavefront_size32 1
		.amdhsa_uses_dynamic_stack 0
		.amdhsa_system_sgpr_private_segment_wavefront_offset 0
		.amdhsa_system_sgpr_workgroup_id_x 1
		.amdhsa_system_sgpr_workgroup_id_y 1
		.amdhsa_system_sgpr_workgroup_id_z 1
		.amdhsa_system_sgpr_workgroup_info 0
		.amdhsa_system_vgpr_workitem_id 1
		.amdhsa_next_free_vgpr 78
		.amdhsa_next_free_sgpr 30
		.amdhsa_reserve_vcc 1
		.amdhsa_reserve_flat_scratch 0
		.amdhsa_float_round_mode_32 0
		.amdhsa_float_round_mode_16_64 0
		.amdhsa_float_denorm_mode_32 3
		.amdhsa_float_denorm_mode_16_64 3
		.amdhsa_dx10_clamp 1
		.amdhsa_ieee_mode 1
		.amdhsa_fp16_overflow 0
		.amdhsa_workgroup_processor_mode 1
		.amdhsa_memory_ordered 1
		.amdhsa_forward_progress 1
		.amdhsa_shared_vgpr_count 0
		.amdhsa_exception_fp_ieee_invalid_op 0
		.amdhsa_exception_fp_denorm_src 0
		.amdhsa_exception_fp_ieee_div_zero 0
		.amdhsa_exception_fp_ieee_overflow 0
		.amdhsa_exception_fp_ieee_underflow 0
		.amdhsa_exception_fp_ieee_inexact 0
		.amdhsa_exception_int_div_zero 0
	.end_amdhsa_kernel
	.section	.text._ZN12_GLOBAL__N_127rocblas_gemm_batched_kernelIdLi16ELi16ELi64ELi64ELi4ELi64ELi4ELi4ELi64ELc67ELc67EKdS1_dEEvlllT_PT11_llS4_llS2_PT12_llPT13_lli,"axG",@progbits,_ZN12_GLOBAL__N_127rocblas_gemm_batched_kernelIdLi16ELi16ELi64ELi64ELi4ELi64ELi4ELi4ELi64ELc67ELc67EKdS1_dEEvlllT_PT11_llS4_llS2_PT12_llPT13_lli,comdat
.Lfunc_end283:
	.size	_ZN12_GLOBAL__N_127rocblas_gemm_batched_kernelIdLi16ELi16ELi64ELi64ELi4ELi64ELi4ELi4ELi64ELc67ELc67EKdS1_dEEvlllT_PT11_llS4_llS2_PT12_llPT13_lli, .Lfunc_end283-_ZN12_GLOBAL__N_127rocblas_gemm_batched_kernelIdLi16ELi16ELi64ELi64ELi4ELi64ELi4ELi4ELi64ELc67ELc67EKdS1_dEEvlllT_PT11_llS4_llS2_PT12_llPT13_lli
                                        ; -- End function
	.set _ZN12_GLOBAL__N_127rocblas_gemm_batched_kernelIdLi16ELi16ELi64ELi64ELi4ELi64ELi4ELi4ELi64ELc67ELc67EKdS1_dEEvlllT_PT11_llS4_llS2_PT12_llPT13_lli.num_vgpr, 78
	.set _ZN12_GLOBAL__N_127rocblas_gemm_batched_kernelIdLi16ELi16ELi64ELi64ELi4ELi64ELi4ELi4ELi64ELc67ELc67EKdS1_dEEvlllT_PT11_llS4_llS2_PT12_llPT13_lli.num_agpr, 0
	.set _ZN12_GLOBAL__N_127rocblas_gemm_batched_kernelIdLi16ELi16ELi64ELi64ELi4ELi64ELi4ELi4ELi64ELc67ELc67EKdS1_dEEvlllT_PT11_llS4_llS2_PT12_llPT13_lli.numbered_sgpr, 30
	.set _ZN12_GLOBAL__N_127rocblas_gemm_batched_kernelIdLi16ELi16ELi64ELi64ELi4ELi64ELi4ELi4ELi64ELc67ELc67EKdS1_dEEvlllT_PT11_llS4_llS2_PT12_llPT13_lli.num_named_barrier, 0
	.set _ZN12_GLOBAL__N_127rocblas_gemm_batched_kernelIdLi16ELi16ELi64ELi64ELi4ELi64ELi4ELi4ELi64ELc67ELc67EKdS1_dEEvlllT_PT11_llS4_llS2_PT12_llPT13_lli.private_seg_size, 0
	.set _ZN12_GLOBAL__N_127rocblas_gemm_batched_kernelIdLi16ELi16ELi64ELi64ELi4ELi64ELi4ELi4ELi64ELc67ELc67EKdS1_dEEvlllT_PT11_llS4_llS2_PT12_llPT13_lli.uses_vcc, 1
	.set _ZN12_GLOBAL__N_127rocblas_gemm_batched_kernelIdLi16ELi16ELi64ELi64ELi4ELi64ELi4ELi4ELi64ELc67ELc67EKdS1_dEEvlllT_PT11_llS4_llS2_PT12_llPT13_lli.uses_flat_scratch, 0
	.set _ZN12_GLOBAL__N_127rocblas_gemm_batched_kernelIdLi16ELi16ELi64ELi64ELi4ELi64ELi4ELi4ELi64ELc67ELc67EKdS1_dEEvlllT_PT11_llS4_llS2_PT12_llPT13_lli.has_dyn_sized_stack, 0
	.set _ZN12_GLOBAL__N_127rocblas_gemm_batched_kernelIdLi16ELi16ELi64ELi64ELi4ELi64ELi4ELi4ELi64ELc67ELc67EKdS1_dEEvlllT_PT11_llS4_llS2_PT12_llPT13_lli.has_recursion, 0
	.set _ZN12_GLOBAL__N_127rocblas_gemm_batched_kernelIdLi16ELi16ELi64ELi64ELi4ELi64ELi4ELi4ELi64ELc67ELc67EKdS1_dEEvlllT_PT11_llS4_llS2_PT12_llPT13_lli.has_indirect_call, 0
	.section	.AMDGPU.csdata,"",@progbits
; Kernel info:
; codeLenInByte = 2896
; TotalNumSgprs: 32
; NumVgprs: 78
; ScratchSize: 0
; MemoryBound: 0
; FloatMode: 240
; IeeeMode: 1
; LDSByteSize: 4096 bytes/workgroup (compile time only)
; SGPRBlocks: 0
; VGPRBlocks: 9
; NumSGPRsForWavesPerEU: 32
; NumVGPRsForWavesPerEU: 78
; Occupancy: 12
; WaveLimiterHint : 1
; COMPUTE_PGM_RSRC2:SCRATCH_EN: 0
; COMPUTE_PGM_RSRC2:USER_SGPR: 6
; COMPUTE_PGM_RSRC2:TRAP_HANDLER: 0
; COMPUTE_PGM_RSRC2:TGID_X_EN: 1
; COMPUTE_PGM_RSRC2:TGID_Y_EN: 1
; COMPUTE_PGM_RSRC2:TGID_Z_EN: 1
; COMPUTE_PGM_RSRC2:TIDIG_COMP_CNT: 1
	.section	.text._ZN12_GLOBAL__N_127rocblas_gemm_batched_kernelIdLi16ELi16ELi64ELi64ELi4ELi64ELi4ELi4ELi64ELc67ELc78EKdS1_dEEvlllT_PT11_llS4_llS2_PT12_llPT13_lli,"axG",@progbits,_ZN12_GLOBAL__N_127rocblas_gemm_batched_kernelIdLi16ELi16ELi64ELi64ELi4ELi64ELi4ELi4ELi64ELc67ELc78EKdS1_dEEvlllT_PT11_llS4_llS2_PT12_llPT13_lli,comdat
	.globl	_ZN12_GLOBAL__N_127rocblas_gemm_batched_kernelIdLi16ELi16ELi64ELi64ELi4ELi64ELi4ELi4ELi64ELc67ELc78EKdS1_dEEvlllT_PT11_llS4_llS2_PT12_llPT13_lli ; -- Begin function _ZN12_GLOBAL__N_127rocblas_gemm_batched_kernelIdLi16ELi16ELi64ELi64ELi4ELi64ELi4ELi4ELi64ELc67ELc78EKdS1_dEEvlllT_PT11_llS4_llS2_PT12_llPT13_lli
	.p2align	8
	.type	_ZN12_GLOBAL__N_127rocblas_gemm_batched_kernelIdLi16ELi16ELi64ELi64ELi4ELi64ELi4ELi4ELi64ELc67ELc78EKdS1_dEEvlllT_PT11_llS4_llS2_PT12_llPT13_lli,@function
_ZN12_GLOBAL__N_127rocblas_gemm_batched_kernelIdLi16ELi16ELi64ELi64ELi4ELi64ELi4ELi4ELi64ELc67ELc78EKdS1_dEEvlllT_PT11_llS4_llS2_PT12_llPT13_lli: ; @_ZN12_GLOBAL__N_127rocblas_gemm_batched_kernelIdLi16ELi16ELi64ELi64ELi4ELi64ELi4ELi4ELi64ELc67ELc78EKdS1_dEEvlllT_PT11_llS4_llS2_PT12_llPT13_lli
; %bb.0:
	s_load_dwordx16 s[12:27], s[4:5], 0x10
	s_mov_b32 s0, s7
	s_ashr_i32 s7, s6, 31
	s_ashr_i32 s1, s0, 31
	s_lshl_b64 s[10:11], s[6:7], 6
	s_lshl_b64 s[28:29], s[0:1], 6
	s_waitcnt lgkmcnt(0)
	v_cmp_lt_i64_e64 s2, s[12:13], 1
	s_and_b32 vcc_lo, exec_lo, s2
	s_cbranch_vccnz .LBB284_3
; %bb.1:
	v_lshl_add_u32 v2, v1, 4, v0
	v_and_b32_e32 v3, 3, v0
	s_mul_hi_u32 s1, s26, s8
	v_mov_b32_e32 v12, 0
	v_mov_b32_e32 v14, 0
	v_lshrrev_b32_e32 v4, 2, v2
	v_and_b32_e32 v5, 63, v2
	v_lshlrev_b32_e32 v9, 3, v3
	v_lshrrev_b32_e32 v8, 6, v2
	v_mov_b32_e32 v18, 0
	v_add_co_u32 v6, s0, v4, s28
	v_add_co_ci_u32_e64 v7, null, 0, s29, s0
	v_lshlrev_b32_e32 v10, 3, v5
	v_mul_lo_u32 v11, s25, v6
	v_mad_u64_u32 v[2:3], null, s24, v6, 0
	v_mul_lo_u32 v7, s24, v7
	v_add_co_u32 v5, s0, s10, v5
	v_lshl_or_b32 v4, v4, 5, v9
	v_add_co_ci_u32_e64 v6, null, s11, 0, s0
	s_mul_i32 s0, s27, s8
	v_lshl_or_b32 v39, v8, 9, v10
	v_add_nc_u32_e32 v40, 0x800, v4
	v_add3_u32 v3, v3, v7, v11
	v_mul_lo_u32 v7, s19, v5
	v_mul_lo_u32 v6, s18, v6
	v_mad_u64_u32 v[4:5], null, s18, v5, 0
	v_lshlrev_b64 v[2:3], 3, v[2:3]
	s_add_i32 s1, s1, s0
	s_mul_i32 s0, s26, s8
	v_mov_b32_e32 v10, 0
	s_lshl_b64 s[0:1], s[0:1], 3
	v_mov_b32_e32 v16, 0
	v_add3_u32 v5, v5, v6, v7
	v_add_co_u32 v6, vcc_lo, v2, s0
	v_add_co_ci_u32_e64 v7, null, s1, v3, vcc_lo
	s_mul_i32 s0, s21, s8
	s_mul_hi_u32 s1, s20, s8
	v_lshlrev_b64 v[2:3], 3, v[4:5]
	s_add_i32 s1, s1, s0
	s_mul_i32 s0, s20, s8
	v_add_co_u32 v4, vcc_lo, v6, v9
	s_lshl_b64 s[0:1], s[0:1], 3
	v_add_co_ci_u32_e64 v5, null, 0, v7, vcc_lo
	v_add_co_u32 v2, vcc_lo, v2, s0
	v_lshlrev_b32_e32 v6, 3, v8
	v_add_co_ci_u32_e64 v3, null, s1, v3, vcc_lo
	v_add_co_u32 v34, vcc_lo, s22, v4
	v_add_co_ci_u32_e64 v35, null, s23, v5, vcc_lo
	v_add_co_u32 v36, vcc_lo, v2, v6
	v_add_co_ci_u32_e64 v37, null, 0, v3, vcc_lo
	v_mov_b32_e32 v2, 0
	v_add_co_u32 v36, vcc_lo, s16, v36
	v_mov_b32_e32 v4, 0
	v_mov_b32_e32 v6, 0
	;; [unrolled: 1-line block ×10, first 2 shown]
	v_lshlrev_b32_e32 v38, 3, v0
	v_lshl_add_u32 v41, v1, 5, 0x800
	v_mov_b32_e32 v3, 0
	v_mov_b32_e32 v5, 0
	;; [unrolled: 1-line block ×16, first 2 shown]
	v_add_co_ci_u32_e64 v37, null, s17, v37, vcc_lo
	s_mov_b64 s[0:1], 0
.LBB284_2:                              ; =>This Inner Loop Header: Depth=1
	global_load_dwordx2 v[42:43], v[36:37], off
	global_load_dwordx2 v[44:45], v[34:35], off
	s_add_u32 s0, s0, 4
	s_addc_u32 s1, s1, 0
	v_add_co_u32 v34, vcc_lo, v34, 32
	v_cmp_lt_i64_e64 s2, s[0:1], s[12:13]
	v_add_co_ci_u32_e64 v35, null, 0, v35, vcc_lo
	v_add_co_u32 v36, vcc_lo, v36, 32
	v_add_co_ci_u32_e64 v37, null, 0, v37, vcc_lo
	s_and_b32 vcc_lo, exec_lo, s2
	s_waitcnt vmcnt(1)
	ds_write_b64 v39, v[42:43]
	s_waitcnt vmcnt(0)
	ds_write_b64 v40, v[44:45]
	s_waitcnt lgkmcnt(0)
	s_barrier
	buffer_gl0_inv
	ds_read_b128 v[42:45], v41
	ds_read2_b64 v[46:49], v38 offset1:16
	ds_read_b128 v[50:53], v41 offset:512
	ds_read_b128 v[54:57], v41 offset:16
	;; [unrolled: 1-line block ×3, first 2 shown]
	s_waitcnt lgkmcnt(3)
	v_fma_f64 v[74:75], v[48:49], v[42:43], v[30:31]
	s_waitcnt lgkmcnt(2)
	v_fma_f64 v[76:77], v[46:47], v[50:51], v[28:29]
	ds_read_b128 v[28:31], v41 offset:1024
	ds_read_b128 v[62:65], v41 offset:1040
	;; [unrolled: 1-line block ×4, first 2 shown]
	v_fma_f64 v[32:33], v[46:47], v[42:43], v[32:33]
	v_fma_f64 v[22:23], v[48:49], v[50:51], v[22:23]
	s_waitcnt lgkmcnt(3)
	v_fma_f64 v[18:19], v[46:47], v[28:29], v[18:19]
	v_fma_f64 v[14:15], v[48:49], v[28:29], v[14:15]
	s_waitcnt lgkmcnt(1)
	v_fma_f64 v[46:47], v[46:47], v[66:67], v[8:9]
	v_fma_f64 v[48:49], v[48:49], v[66:67], v[6:7]
	ds_read2_b64 v[6:9], v38 offset0:32 offset1:48
	s_waitcnt lgkmcnt(0)
	v_fma_f64 v[26:27], v[6:7], v[42:43], v[26:27]
	v_fma_f64 v[24:25], v[8:9], v[42:43], v[24:25]
	;; [unrolled: 1-line block ×8, first 2 shown]
	ds_read2_b64 v[2:5], v38 offset0:64 offset1:80
	ds_read2_b64 v[6:9], v38 offset0:96 offset1:112
	s_waitcnt lgkmcnt(1)
	v_fma_f64 v[32:33], v[2:3], v[44:45], v[32:33]
	v_fma_f64 v[50:51], v[4:5], v[44:45], v[74:75]
	s_waitcnt lgkmcnt(0)
	v_fma_f64 v[26:27], v[6:7], v[44:45], v[26:27]
	v_fma_f64 v[24:25], v[8:9], v[44:45], v[24:25]
	;; [unrolled: 1-line block ×10, first 2 shown]
	ds_read2_b64 v[2:5], v38 offset0:128 offset1:144
	v_fma_f64 v[20:21], v[6:7], v[52:53], v[20:21]
	v_fma_f64 v[16:17], v[8:9], v[52:53], v[16:17]
	;; [unrolled: 1-line block ×4, first 2 shown]
	s_waitcnt lgkmcnt(0)
	v_fma_f64 v[28:29], v[2:3], v[54:55], v[32:33]
	v_fma_f64 v[42:43], v[4:5], v[54:55], v[50:51]
	;; [unrolled: 1-line block ×8, first 2 shown]
	ds_read2_b64 v[2:5], v38 offset0:160 offset1:176
	s_waitcnt lgkmcnt(0)
	v_fma_f64 v[26:27], v[2:3], v[54:55], v[26:27]
	v_fma_f64 v[24:25], v[4:5], v[54:55], v[24:25]
	;; [unrolled: 1-line block ×8, first 2 shown]
	ds_read2_b64 v[2:5], v38 offset0:192 offset1:208
	s_waitcnt lgkmcnt(0)
	v_fma_f64 v[30:31], v[4:5], v[56:57], v[42:43]
	ds_read2_b64 v[42:45], v38 offset0:224 offset1:240
	v_fma_f64 v[32:33], v[2:3], v[56:57], v[28:29]
	v_fma_f64 v[28:29], v[2:3], v[60:61], v[48:49]
	;; [unrolled: 1-line block ×7, first 2 shown]
	s_waitcnt lgkmcnt(0)
	s_barrier
	buffer_gl0_inv
	v_fma_f64 v[26:27], v[42:43], v[56:57], v[26:27]
	v_fma_f64 v[24:25], v[44:45], v[56:57], v[24:25]
	;; [unrolled: 1-line block ×8, first 2 shown]
	s_cbranch_vccnz .LBB284_2
	s_branch .LBB284_4
.LBB284_3:
	v_mov_b32_e32 v32, 0
	v_mov_b32_e32 v30, 0
	;; [unrolled: 1-line block ×32, first 2 shown]
.LBB284_4:
	s_clause 0x1
	s_load_dwordx8 s[16:23], s[4:5], 0x50
	s_load_dwordx8 s[0:7], s[4:5], 0x70
	s_waitcnt lgkmcnt(0)
	v_cmp_neq_f64_e64 s6, s[16:17], 0
	s_mul_i32 s5, s5, s8
	s_mul_hi_u32 s7, s4, s8
	s_mul_i32 s4, s4, s8
	s_add_i32 s5, s7, s5
	v_add_co_u32 v34, s7, s28, v1
	v_add_co_ci_u32_e64 v37, null, s29, 0, s7
	v_add_co_u32 v0, s7, s10, v0
	v_add_co_ci_u32_e64 v1, null, s11, 0, s7
	v_mul_lo_u32 v35, v37, s2
	v_mul_lo_u32 v36, v34, s3
	s_lshl_b64 s[4:5], s[4:5], 3
	v_lshlrev_b64 v[0:1], 3, v[0:1]
	s_add_u32 s0, s0, s4
	s_addc_u32 s1, s1, s5
	s_and_b32 vcc_lo, exec_lo, s6
	s_cbranch_vccnz .LBB284_8
; %bb.5:
	v_mad_u64_u32 v[38:39], null, v34, s2, 0
	v_mul_f64 v[40:41], s[14:15], v[32:33]
	v_mul_f64 v[42:43], s[14:15], v[30:31]
	;; [unrolled: 1-line block ×6, first 2 shown]
	v_add3_u32 v39, v39, v36, v35
	v_mul_f64 v[52:53], s[14:15], v[20:21]
	s_lshl_b64 s[4:5], s[2:3], 7
	v_lshlrev_b64 v[38:39], 3, v[38:39]
	v_add_co_u32 v54, vcc_lo, s0, v38
	v_add_co_ci_u32_e64 v55, null, s1, v39, vcc_lo
	v_mul_f64 v[38:39], s[14:15], v[16:17]
	v_add_co_u32 v58, vcc_lo, v54, s4
	v_add_co_ci_u32_e64 v59, null, s5, v55, vcc_lo
	v_add_co_u32 v54, vcc_lo, v54, v0
	v_add_co_ci_u32_e64 v55, null, v55, v1, vcc_lo
	;; [unrolled: 2-line block ×3, first 2 shown]
	global_store_dwordx2 v[54:55], v[40:41], off
	global_store_dwordx2 v[54:55], v[42:43], off offset:128
	global_store_dwordx2 v[54:55], v[44:45], off offset:256
	;; [unrolled: 1-line block ×3, first 2 shown]
	global_store_dwordx2 v[56:57], v[48:49], off
	global_store_dwordx2 v[56:57], v[50:51], off offset:128
	global_store_dwordx2 v[56:57], v[52:53], off offset:256
	v_mul_f64 v[40:41], s[14:15], v[18:19]
	v_mul_f64 v[54:55], s[14:15], v[2:3]
	;; [unrolled: 1-line block ×7, first 2 shown]
	v_add_co_u32 v58, vcc_lo, v58, s4
	v_mul_f64 v[52:53], s[14:15], v[4:5]
	v_add_co_ci_u32_e64 v59, null, s5, v59, vcc_lo
	global_store_dwordx2 v[56:57], v[38:39], off offset:384
	v_add_co_u32 v56, vcc_lo, v58, s4
	v_add_co_ci_u32_e64 v57, null, s5, v59, vcc_lo
	v_add_co_u32 v38, vcc_lo, v58, v0
	v_add_co_ci_u32_e64 v39, null, v59, v1, vcc_lo
	;; [unrolled: 2-line block ×3, first 2 shown]
	global_store_dwordx2 v[38:39], v[40:41], off
	global_store_dwordx2 v[38:39], v[42:43], off offset:128
	global_store_dwordx2 v[38:39], v[44:45], off offset:256
	;; [unrolled: 1-line block ×3, first 2 shown]
	global_store_dwordx2 v[56:57], v[48:49], off
	global_store_dwordx2 v[56:57], v[50:51], off offset:128
	global_store_dwordx2 v[56:57], v[52:53], off offset:256
	;; [unrolled: 1-line block ×3, first 2 shown]
	s_cbranch_execnz .LBB284_7
.LBB284_6:
	v_mul_lo_u32 v39, v37, s20
	v_mul_lo_u32 v40, v34, s21
	v_mad_u64_u32 v[37:38], null, v34, s20, 0
	s_mul_i32 s5, s23, s8
	s_mul_hi_u32 s6, s22, s8
	s_mul_i32 s4, s22, s8
	s_add_i32 s5, s6, s5
	v_mad_u64_u32 v[41:42], null, v34, s2, 0
	v_add3_u32 v38, v38, v40, v39
	s_lshl_b64 s[4:5], s[4:5], 3
	s_add_u32 s4, s18, s4
	s_addc_u32 s5, s19, s5
	v_lshlrev_b64 v[37:38], 3, v[37:38]
	v_add3_u32 v42, v42, v36, v35
	s_lshl_b64 s[2:3], s[2:3], 7
	v_lshlrev_b64 v[34:35], 3, v[41:42]
	v_add_co_u32 v43, vcc_lo, s4, v37
	v_add_co_ci_u32_e64 v44, null, s5, v38, vcc_lo
	v_add_co_u32 v37, vcc_lo, v43, v0
	v_add_co_ci_u32_e64 v38, null, v44, v1, vcc_lo
	v_add_co_u32 v36, vcc_lo, s0, v34
	global_load_dwordx2 v[39:40], v[37:38], off
	s_waitcnt vmcnt(0)
	v_mul_f64 v[39:40], s[16:17], v[39:40]
	v_fma_f64 v[32:33], s[14:15], v[32:33], v[39:40]
	v_add_co_ci_u32_e64 v39, null, s1, v35, vcc_lo
	v_add_co_u32 v34, vcc_lo, v36, v0
	s_lshl_b64 s[0:1], s[20:21], 7
	v_add_co_ci_u32_e64 v35, null, v39, v1, vcc_lo
	global_store_dwordx2 v[34:35], v[32:33], off
	global_load_dwordx2 v[32:33], v[37:38], off offset:128
	s_waitcnt vmcnt(0)
	v_mul_f64 v[32:33], s[16:17], v[32:33]
	v_fma_f64 v[30:31], s[14:15], v[30:31], v[32:33]
	global_store_dwordx2 v[34:35], v[30:31], off offset:128
	global_load_dwordx2 v[30:31], v[37:38], off offset:256
	s_waitcnt vmcnt(0)
	v_mul_f64 v[30:31], s[16:17], v[30:31]
	v_fma_f64 v[26:27], s[14:15], v[26:27], v[30:31]
	v_add_co_u32 v30, vcc_lo, v43, s0
	v_add_co_ci_u32_e64 v31, null, s1, v44, vcc_lo
	global_store_dwordx2 v[34:35], v[26:27], off offset:256
	global_load_dwordx2 v[26:27], v[37:38], off offset:384
	s_waitcnt vmcnt(0)
	v_mul_f64 v[26:27], s[16:17], v[26:27]
	v_fma_f64 v[24:25], s[14:15], v[24:25], v[26:27]
	v_add_co_u32 v26, vcc_lo, v30, v0
	v_add_co_ci_u32_e64 v27, null, v31, v1, vcc_lo
	v_add_co_u32 v32, vcc_lo, v36, s2
	v_add_co_ci_u32_e64 v33, null, s3, v39, vcc_lo
	global_store_dwordx2 v[34:35], v[24:25], off offset:384
	global_load_dwordx2 v[24:25], v[26:27], off
	s_waitcnt vmcnt(0)
	v_mul_f64 v[24:25], s[16:17], v[24:25]
	v_fma_f64 v[24:25], s[14:15], v[28:29], v[24:25]
	v_add_co_u32 v28, vcc_lo, v32, v0
	v_add_co_ci_u32_e64 v29, null, v33, v1, vcc_lo
	global_store_dwordx2 v[28:29], v[24:25], off
	global_load_dwordx2 v[24:25], v[26:27], off offset:128
	s_waitcnt vmcnt(0)
	v_mul_f64 v[24:25], s[16:17], v[24:25]
	v_fma_f64 v[22:23], s[14:15], v[22:23], v[24:25]
	global_store_dwordx2 v[28:29], v[22:23], off offset:128
	global_load_dwordx2 v[22:23], v[26:27], off offset:256
	s_waitcnt vmcnt(0)
	v_mul_f64 v[22:23], s[16:17], v[22:23]
	v_fma_f64 v[20:21], s[14:15], v[20:21], v[22:23]
	v_add_co_u32 v22, vcc_lo, v30, s0
	v_add_co_ci_u32_e64 v23, null, s1, v31, vcc_lo
	global_store_dwordx2 v[28:29], v[20:21], off offset:256
	global_load_dwordx2 v[20:21], v[26:27], off offset:384
	s_waitcnt vmcnt(0)
	v_mul_f64 v[20:21], s[16:17], v[20:21]
	v_fma_f64 v[16:17], s[14:15], v[16:17], v[20:21]
	v_add_co_u32 v20, vcc_lo, v22, v0
	v_add_co_ci_u32_e64 v21, null, v23, v1, vcc_lo
	v_add_co_u32 v24, vcc_lo, v32, s2
	v_add_co_ci_u32_e64 v25, null, s3, v33, vcc_lo
	global_store_dwordx2 v[28:29], v[16:17], off offset:384
	global_load_dwordx2 v[16:17], v[20:21], off
	s_waitcnt vmcnt(0)
	v_mul_f64 v[16:17], s[16:17], v[16:17]
	v_fma_f64 v[16:17], s[14:15], v[18:19], v[16:17]
	v_add_co_u32 v18, vcc_lo, v24, v0
	v_add_co_ci_u32_e64 v19, null, v25, v1, vcc_lo
	global_store_dwordx2 v[18:19], v[16:17], off
	global_load_dwordx2 v[16:17], v[20:21], off offset:128
	s_waitcnt vmcnt(0)
	v_mul_f64 v[16:17], s[16:17], v[16:17]
	v_fma_f64 v[14:15], s[14:15], v[14:15], v[16:17]
	global_store_dwordx2 v[18:19], v[14:15], off offset:128
	global_load_dwordx2 v[14:15], v[20:21], off offset:256
	s_waitcnt vmcnt(0)
	v_mul_f64 v[14:15], s[16:17], v[14:15]
	v_fma_f64 v[12:13], s[14:15], v[12:13], v[14:15]
	global_store_dwordx2 v[18:19], v[12:13], off offset:256
	global_load_dwordx2 v[12:13], v[20:21], off offset:384
	s_waitcnt vmcnt(0)
	v_mul_f64 v[12:13], s[16:17], v[12:13]
	v_fma_f64 v[10:11], s[14:15], v[10:11], v[12:13]
	v_add_co_u32 v12, vcc_lo, v22, s0
	v_add_co_ci_u32_e64 v13, null, s1, v23, vcc_lo
	v_add_co_u32 v12, vcc_lo, v12, v0
	v_add_co_ci_u32_e64 v13, null, v13, v1, vcc_lo
	global_store_dwordx2 v[18:19], v[10:11], off offset:384
	global_load_dwordx2 v[10:11], v[12:13], off
	s_waitcnt vmcnt(0)
	v_mul_f64 v[10:11], s[16:17], v[10:11]
	v_fma_f64 v[8:9], s[14:15], v[8:9], v[10:11]
	v_add_co_u32 v10, vcc_lo, v24, s2
	v_add_co_ci_u32_e64 v11, null, s3, v25, vcc_lo
	v_add_co_u32 v0, vcc_lo, v10, v0
	v_add_co_ci_u32_e64 v1, null, v11, v1, vcc_lo
	global_store_dwordx2 v[0:1], v[8:9], off
	global_load_dwordx2 v[8:9], v[12:13], off offset:128
	s_waitcnt vmcnt(0)
	v_mul_f64 v[8:9], s[16:17], v[8:9]
	v_fma_f64 v[6:7], s[14:15], v[6:7], v[8:9]
	global_store_dwordx2 v[0:1], v[6:7], off offset:128
	global_load_dwordx2 v[6:7], v[12:13], off offset:256
	s_waitcnt vmcnt(0)
	v_mul_f64 v[6:7], s[16:17], v[6:7]
	v_fma_f64 v[4:5], s[14:15], v[4:5], v[6:7]
	global_store_dwordx2 v[0:1], v[4:5], off offset:256
	global_load_dwordx2 v[4:5], v[12:13], off offset:384
	s_waitcnt vmcnt(0)
	v_mul_f64 v[4:5], s[16:17], v[4:5]
	v_fma_f64 v[2:3], s[14:15], v[2:3], v[4:5]
	global_store_dwordx2 v[0:1], v[2:3], off offset:384
.LBB284_7:
	s_endpgm
.LBB284_8:
	s_branch .LBB284_6
	.section	.rodata,"a",@progbits
	.p2align	6, 0x0
	.amdhsa_kernel _ZN12_GLOBAL__N_127rocblas_gemm_batched_kernelIdLi16ELi16ELi64ELi64ELi4ELi64ELi4ELi4ELi64ELc67ELc78EKdS1_dEEvlllT_PT11_llS4_llS2_PT12_llPT13_lli
		.amdhsa_group_segment_fixed_size 4096
		.amdhsa_private_segment_fixed_size 0
		.amdhsa_kernarg_size 140
		.amdhsa_user_sgpr_count 6
		.amdhsa_user_sgpr_private_segment_buffer 1
		.amdhsa_user_sgpr_dispatch_ptr 0
		.amdhsa_user_sgpr_queue_ptr 0
		.amdhsa_user_sgpr_kernarg_segment_ptr 1
		.amdhsa_user_sgpr_dispatch_id 0
		.amdhsa_user_sgpr_flat_scratch_init 0
		.amdhsa_user_sgpr_private_segment_size 0
		.amdhsa_wavefront_size32 1
		.amdhsa_uses_dynamic_stack 0
		.amdhsa_system_sgpr_private_segment_wavefront_offset 0
		.amdhsa_system_sgpr_workgroup_id_x 1
		.amdhsa_system_sgpr_workgroup_id_y 1
		.amdhsa_system_sgpr_workgroup_id_z 1
		.amdhsa_system_sgpr_workgroup_info 0
		.amdhsa_system_vgpr_workitem_id 1
		.amdhsa_next_free_vgpr 78
		.amdhsa_next_free_sgpr 30
		.amdhsa_reserve_vcc 1
		.amdhsa_reserve_flat_scratch 0
		.amdhsa_float_round_mode_32 0
		.amdhsa_float_round_mode_16_64 0
		.amdhsa_float_denorm_mode_32 3
		.amdhsa_float_denorm_mode_16_64 3
		.amdhsa_dx10_clamp 1
		.amdhsa_ieee_mode 1
		.amdhsa_fp16_overflow 0
		.amdhsa_workgroup_processor_mode 1
		.amdhsa_memory_ordered 1
		.amdhsa_forward_progress 1
		.amdhsa_shared_vgpr_count 0
		.amdhsa_exception_fp_ieee_invalid_op 0
		.amdhsa_exception_fp_denorm_src 0
		.amdhsa_exception_fp_ieee_div_zero 0
		.amdhsa_exception_fp_ieee_overflow 0
		.amdhsa_exception_fp_ieee_underflow 0
		.amdhsa_exception_fp_ieee_inexact 0
		.amdhsa_exception_int_div_zero 0
	.end_amdhsa_kernel
	.section	.text._ZN12_GLOBAL__N_127rocblas_gemm_batched_kernelIdLi16ELi16ELi64ELi64ELi4ELi64ELi4ELi4ELi64ELc67ELc78EKdS1_dEEvlllT_PT11_llS4_llS2_PT12_llPT13_lli,"axG",@progbits,_ZN12_GLOBAL__N_127rocblas_gemm_batched_kernelIdLi16ELi16ELi64ELi64ELi4ELi64ELi4ELi4ELi64ELc67ELc78EKdS1_dEEvlllT_PT11_llS4_llS2_PT12_llPT13_lli,comdat
.Lfunc_end284:
	.size	_ZN12_GLOBAL__N_127rocblas_gemm_batched_kernelIdLi16ELi16ELi64ELi64ELi4ELi64ELi4ELi4ELi64ELc67ELc78EKdS1_dEEvlllT_PT11_llS4_llS2_PT12_llPT13_lli, .Lfunc_end284-_ZN12_GLOBAL__N_127rocblas_gemm_batched_kernelIdLi16ELi16ELi64ELi64ELi4ELi64ELi4ELi4ELi64ELc67ELc78EKdS1_dEEvlllT_PT11_llS4_llS2_PT12_llPT13_lli
                                        ; -- End function
	.set _ZN12_GLOBAL__N_127rocblas_gemm_batched_kernelIdLi16ELi16ELi64ELi64ELi4ELi64ELi4ELi4ELi64ELc67ELc78EKdS1_dEEvlllT_PT11_llS4_llS2_PT12_llPT13_lli.num_vgpr, 78
	.set _ZN12_GLOBAL__N_127rocblas_gemm_batched_kernelIdLi16ELi16ELi64ELi64ELi4ELi64ELi4ELi4ELi64ELc67ELc78EKdS1_dEEvlllT_PT11_llS4_llS2_PT12_llPT13_lli.num_agpr, 0
	.set _ZN12_GLOBAL__N_127rocblas_gemm_batched_kernelIdLi16ELi16ELi64ELi64ELi4ELi64ELi4ELi4ELi64ELc67ELc78EKdS1_dEEvlllT_PT11_llS4_llS2_PT12_llPT13_lli.numbered_sgpr, 30
	.set _ZN12_GLOBAL__N_127rocblas_gemm_batched_kernelIdLi16ELi16ELi64ELi64ELi4ELi64ELi4ELi4ELi64ELc67ELc78EKdS1_dEEvlllT_PT11_llS4_llS2_PT12_llPT13_lli.num_named_barrier, 0
	.set _ZN12_GLOBAL__N_127rocblas_gemm_batched_kernelIdLi16ELi16ELi64ELi64ELi4ELi64ELi4ELi4ELi64ELc67ELc78EKdS1_dEEvlllT_PT11_llS4_llS2_PT12_llPT13_lli.private_seg_size, 0
	.set _ZN12_GLOBAL__N_127rocblas_gemm_batched_kernelIdLi16ELi16ELi64ELi64ELi4ELi64ELi4ELi4ELi64ELc67ELc78EKdS1_dEEvlllT_PT11_llS4_llS2_PT12_llPT13_lli.uses_vcc, 1
	.set _ZN12_GLOBAL__N_127rocblas_gemm_batched_kernelIdLi16ELi16ELi64ELi64ELi4ELi64ELi4ELi4ELi64ELc67ELc78EKdS1_dEEvlllT_PT11_llS4_llS2_PT12_llPT13_lli.uses_flat_scratch, 0
	.set _ZN12_GLOBAL__N_127rocblas_gemm_batched_kernelIdLi16ELi16ELi64ELi64ELi4ELi64ELi4ELi4ELi64ELc67ELc78EKdS1_dEEvlllT_PT11_llS4_llS2_PT12_llPT13_lli.has_dyn_sized_stack, 0
	.set _ZN12_GLOBAL__N_127rocblas_gemm_batched_kernelIdLi16ELi16ELi64ELi64ELi4ELi64ELi4ELi4ELi64ELc67ELc78EKdS1_dEEvlllT_PT11_llS4_llS2_PT12_llPT13_lli.has_recursion, 0
	.set _ZN12_GLOBAL__N_127rocblas_gemm_batched_kernelIdLi16ELi16ELi64ELi64ELi4ELi64ELi4ELi4ELi64ELc67ELc78EKdS1_dEEvlllT_PT11_llS4_llS2_PT12_llPT13_lli.has_indirect_call, 0
	.section	.AMDGPU.csdata,"",@progbits
; Kernel info:
; codeLenInByte = 2924
; TotalNumSgprs: 32
; NumVgprs: 78
; ScratchSize: 0
; MemoryBound: 0
; FloatMode: 240
; IeeeMode: 1
; LDSByteSize: 4096 bytes/workgroup (compile time only)
; SGPRBlocks: 0
; VGPRBlocks: 9
; NumSGPRsForWavesPerEU: 32
; NumVGPRsForWavesPerEU: 78
; Occupancy: 12
; WaveLimiterHint : 1
; COMPUTE_PGM_RSRC2:SCRATCH_EN: 0
; COMPUTE_PGM_RSRC2:USER_SGPR: 6
; COMPUTE_PGM_RSRC2:TRAP_HANDLER: 0
; COMPUTE_PGM_RSRC2:TGID_X_EN: 1
; COMPUTE_PGM_RSRC2:TGID_Y_EN: 1
; COMPUTE_PGM_RSRC2:TGID_Z_EN: 1
; COMPUTE_PGM_RSRC2:TIDIG_COMP_CNT: 1
	.section	.text._ZN12_GLOBAL__N_127rocblas_gemm_batched_kernelIdLi16ELi16ELi64ELi64ELi4ELi64ELi4ELi4ELi64ELc67ELc84EKdS1_dEEvlllT_PT11_llS4_llS2_PT12_llPT13_lli,"axG",@progbits,_ZN12_GLOBAL__N_127rocblas_gemm_batched_kernelIdLi16ELi16ELi64ELi64ELi4ELi64ELi4ELi4ELi64ELc67ELc84EKdS1_dEEvlllT_PT11_llS4_llS2_PT12_llPT13_lli,comdat
	.globl	_ZN12_GLOBAL__N_127rocblas_gemm_batched_kernelIdLi16ELi16ELi64ELi64ELi4ELi64ELi4ELi4ELi64ELc67ELc84EKdS1_dEEvlllT_PT11_llS4_llS2_PT12_llPT13_lli ; -- Begin function _ZN12_GLOBAL__N_127rocblas_gemm_batched_kernelIdLi16ELi16ELi64ELi64ELi4ELi64ELi4ELi4ELi64ELc67ELc84EKdS1_dEEvlllT_PT11_llS4_llS2_PT12_llPT13_lli
	.p2align	8
	.type	_ZN12_GLOBAL__N_127rocblas_gemm_batched_kernelIdLi16ELi16ELi64ELi64ELi4ELi64ELi4ELi4ELi64ELc67ELc84EKdS1_dEEvlllT_PT11_llS4_llS2_PT12_llPT13_lli,@function
_ZN12_GLOBAL__N_127rocblas_gemm_batched_kernelIdLi16ELi16ELi64ELi64ELi4ELi64ELi4ELi4ELi64ELc67ELc84EKdS1_dEEvlllT_PT11_llS4_llS2_PT12_llPT13_lli: ; @_ZN12_GLOBAL__N_127rocblas_gemm_batched_kernelIdLi16ELi16ELi64ELi64ELi4ELi64ELi4ELi4ELi64ELc67ELc84EKdS1_dEEvlllT_PT11_llS4_llS2_PT12_llPT13_lli
; %bb.0:
	s_load_dwordx16 s[12:27], s[4:5], 0x10
	s_mov_b32 s0, s7
	v_mov_b32_e32 v3, 0
	s_ashr_i32 s7, s6, 31
	s_ashr_i32 s1, s0, 31
	s_lshl_b64 s[10:11], s[6:7], 6
	s_lshl_b64 s[28:29], s[0:1], 6
	s_waitcnt lgkmcnt(0)
	v_cmp_lt_i64_e64 s2, s[12:13], 1
	s_and_b32 vcc_lo, exec_lo, s2
	s_cbranch_vccnz .LBB285_3
; %bb.1:
	v_lshl_add_u32 v5, v1, 4, v0
	v_and_b32_e32 v6, 3, v0
	s_mul_i32 s0, s27, s8
	s_mul_hi_u32 s1, s26, s8
	v_mov_b32_e32 v12, 0
	v_lshrrev_b32_e32 v2, 2, v5
	v_and_b32_e32 v7, 63, v5
	v_lshlrev_b32_e32 v8, 3, v6
	s_add_i32 s1, s1, s0
	v_lshrrev_b32_e32 v9, 6, v5
	v_mad_u64_u32 v[3:4], null, s24, v6, v[2:3]
	v_lshlrev_b32_e32 v5, 3, v7
	v_add_co_u32 v7, s0, s10, v7
	v_lshl_or_b32 v8, v2, 5, v8
	v_add_co_ci_u32_e64 v10, null, s11, 0, s0
	v_mov_b32_e32 v2, v4
	v_lshl_or_b32 v39, v9, 9, v5
	v_add_nc_u32_e32 v40, 0x800, v8
	v_mul_lo_u32 v8, s19, v7
	v_mul_lo_u32 v10, s18, v10
	v_mad_u64_u32 v[4:5], null, s25, v6, v[2:3]
	v_mad_u64_u32 v[5:6], null, s18, v7, 0
	s_mul_i32 s0, s26, s8
	v_add_co_u32 v2, vcc_lo, v3, s28
	s_lshl_b64 s[0:1], s[0:1], 3
	v_add_co_ci_u32_e64 v3, null, s29, v4, vcc_lo
	v_add3_u32 v6, v6, v10, v8
	s_add_u32 s2, s22, s0
	s_addc_u32 s3, s23, s1
	s_mul_i32 s0, s21, s8
	s_mul_hi_u32 s1, s20, s8
	v_lshlrev_b64 v[4:5], 3, v[5:6]
	s_add_i32 s1, s1, s0
	s_mul_i32 s0, s20, s8
	v_lshlrev_b64 v[2:3], 3, v[2:3]
	s_lshl_b64 s[0:1], s[0:1], 3
	v_lshlrev_b32_e32 v6, 3, v9
	v_add_co_u32 v4, vcc_lo, v4, s0
	v_add_co_ci_u32_e64 v5, null, s1, v5, vcc_lo
	v_add_co_u32 v34, vcc_lo, s2, v2
	v_add_co_ci_u32_e64 v35, null, s3, v3, vcc_lo
	;; [unrolled: 2-line block ×3, first 2 shown]
	v_mov_b32_e32 v2, 0
	v_add_co_u32 v36, vcc_lo, s16, v36
	v_mov_b32_e32 v4, 0
	v_mov_b32_e32 v6, 0
	;; [unrolled: 1-line block ×14, first 2 shown]
	v_lshlrev_b32_e32 v38, 3, v0
	v_lshl_add_u32 v41, v1, 5, 0x800
	v_mov_b32_e32 v3, 0
	v_mov_b32_e32 v5, 0
	;; [unrolled: 1-line block ×16, first 2 shown]
	v_add_co_ci_u32_e64 v37, null, s17, v37, vcc_lo
	s_lshl_b64 s[0:1], s[24:25], 5
	s_mov_b64 s[2:3], 0
.LBB285_2:                              ; =>This Inner Loop Header: Depth=1
	global_load_dwordx2 v[42:43], v[36:37], off
	global_load_dwordx2 v[44:45], v[34:35], off
	s_add_u32 s2, s2, 4
	s_addc_u32 s3, s3, 0
	v_add_co_u32 v34, vcc_lo, v34, s0
	v_cmp_lt_i64_e64 s6, s[2:3], s[12:13]
	v_add_co_ci_u32_e64 v35, null, s1, v35, vcc_lo
	v_add_co_u32 v36, vcc_lo, v36, 32
	v_add_co_ci_u32_e64 v37, null, 0, v37, vcc_lo
	s_and_b32 vcc_lo, exec_lo, s6
	s_waitcnt vmcnt(1)
	ds_write_b64 v39, v[42:43]
	s_waitcnt vmcnt(0)
	ds_write_b64 v40, v[44:45]
	s_waitcnt lgkmcnt(0)
	s_barrier
	buffer_gl0_inv
	ds_read_b128 v[42:45], v41
	ds_read2_b64 v[46:49], v38 offset1:16
	ds_read_b128 v[50:53], v41 offset:512
	ds_read_b128 v[54:57], v41 offset:16
	;; [unrolled: 1-line block ×3, first 2 shown]
	s_waitcnt lgkmcnt(3)
	v_fma_f64 v[74:75], v[48:49], v[42:43], v[30:31]
	s_waitcnt lgkmcnt(2)
	v_fma_f64 v[76:77], v[46:47], v[50:51], v[28:29]
	ds_read_b128 v[28:31], v41 offset:1024
	ds_read_b128 v[62:65], v41 offset:1040
	ds_read_b128 v[66:69], v41 offset:1536
	ds_read_b128 v[70:73], v41 offset:1552
	v_fma_f64 v[32:33], v[46:47], v[42:43], v[32:33]
	v_fma_f64 v[22:23], v[48:49], v[50:51], v[22:23]
	s_waitcnt lgkmcnt(3)
	v_fma_f64 v[18:19], v[46:47], v[28:29], v[18:19]
	v_fma_f64 v[14:15], v[48:49], v[28:29], v[14:15]
	s_waitcnt lgkmcnt(1)
	v_fma_f64 v[46:47], v[46:47], v[66:67], v[8:9]
	v_fma_f64 v[48:49], v[48:49], v[66:67], v[6:7]
	ds_read2_b64 v[6:9], v38 offset0:32 offset1:48
	s_waitcnt lgkmcnt(0)
	v_fma_f64 v[26:27], v[6:7], v[42:43], v[26:27]
	v_fma_f64 v[24:25], v[8:9], v[42:43], v[24:25]
	v_fma_f64 v[12:13], v[6:7], v[28:29], v[12:13]
	v_fma_f64 v[10:11], v[8:9], v[28:29], v[10:11]
	v_fma_f64 v[20:21], v[6:7], v[50:51], v[20:21]
	v_fma_f64 v[16:17], v[8:9], v[50:51], v[16:17]
	v_fma_f64 v[28:29], v[6:7], v[66:67], v[4:5]
	v_fma_f64 v[42:43], v[8:9], v[66:67], v[2:3]
	ds_read2_b64 v[2:5], v38 offset0:64 offset1:80
	ds_read2_b64 v[6:9], v38 offset0:96 offset1:112
	s_waitcnt lgkmcnt(1)
	v_fma_f64 v[32:33], v[2:3], v[44:45], v[32:33]
	v_fma_f64 v[50:51], v[4:5], v[44:45], v[74:75]
	s_waitcnt lgkmcnt(0)
	v_fma_f64 v[26:27], v[6:7], v[44:45], v[26:27]
	v_fma_f64 v[24:25], v[8:9], v[44:45], v[24:25]
	;; [unrolled: 1-line block ×10, first 2 shown]
	ds_read2_b64 v[2:5], v38 offset0:128 offset1:144
	v_fma_f64 v[20:21], v[6:7], v[52:53], v[20:21]
	v_fma_f64 v[16:17], v[8:9], v[52:53], v[16:17]
	;; [unrolled: 1-line block ×4, first 2 shown]
	s_waitcnt lgkmcnt(0)
	v_fma_f64 v[28:29], v[2:3], v[54:55], v[32:33]
	v_fma_f64 v[42:43], v[4:5], v[54:55], v[50:51]
	;; [unrolled: 1-line block ×8, first 2 shown]
	ds_read2_b64 v[2:5], v38 offset0:160 offset1:176
	s_waitcnt lgkmcnt(0)
	v_fma_f64 v[26:27], v[2:3], v[54:55], v[26:27]
	v_fma_f64 v[24:25], v[4:5], v[54:55], v[24:25]
	;; [unrolled: 1-line block ×8, first 2 shown]
	ds_read2_b64 v[2:5], v38 offset0:192 offset1:208
	s_waitcnt lgkmcnt(0)
	v_fma_f64 v[30:31], v[4:5], v[56:57], v[42:43]
	ds_read2_b64 v[42:45], v38 offset0:224 offset1:240
	v_fma_f64 v[32:33], v[2:3], v[56:57], v[28:29]
	v_fma_f64 v[28:29], v[2:3], v[60:61], v[48:49]
	;; [unrolled: 1-line block ×7, first 2 shown]
	s_waitcnt lgkmcnt(0)
	s_barrier
	buffer_gl0_inv
	v_fma_f64 v[26:27], v[42:43], v[56:57], v[26:27]
	v_fma_f64 v[24:25], v[44:45], v[56:57], v[24:25]
	;; [unrolled: 1-line block ×8, first 2 shown]
	s_cbranch_vccnz .LBB285_2
	s_branch .LBB285_4
.LBB285_3:
	v_mov_b32_e32 v32, 0
	v_mov_b32_e32 v30, 0
	;; [unrolled: 1-line block ×32, first 2 shown]
.LBB285_4:
	s_clause 0x1
	s_load_dwordx8 s[16:23], s[4:5], 0x50
	s_load_dwordx8 s[0:7], s[4:5], 0x70
	s_waitcnt lgkmcnt(0)
	v_cmp_neq_f64_e64 s6, s[16:17], 0
	s_mul_i32 s5, s5, s8
	s_mul_hi_u32 s7, s4, s8
	s_mul_i32 s4, s4, s8
	s_add_i32 s5, s7, s5
	v_add_co_u32 v34, s7, s28, v1
	v_add_co_ci_u32_e64 v37, null, s29, 0, s7
	v_add_co_u32 v0, s7, s10, v0
	v_add_co_ci_u32_e64 v1, null, s11, 0, s7
	v_mul_lo_u32 v35, v37, s2
	v_mul_lo_u32 v36, v34, s3
	s_lshl_b64 s[4:5], s[4:5], 3
	v_lshlrev_b64 v[0:1], 3, v[0:1]
	s_add_u32 s0, s0, s4
	s_addc_u32 s1, s1, s5
	s_and_b32 vcc_lo, exec_lo, s6
	s_cbranch_vccnz .LBB285_8
; %bb.5:
	v_mad_u64_u32 v[38:39], null, v34, s2, 0
	v_mul_f64 v[40:41], s[14:15], v[32:33]
	v_mul_f64 v[42:43], s[14:15], v[30:31]
	;; [unrolled: 1-line block ×6, first 2 shown]
	v_add3_u32 v39, v39, v36, v35
	v_mul_f64 v[52:53], s[14:15], v[20:21]
	s_lshl_b64 s[4:5], s[2:3], 7
	v_lshlrev_b64 v[38:39], 3, v[38:39]
	v_add_co_u32 v54, vcc_lo, s0, v38
	v_add_co_ci_u32_e64 v55, null, s1, v39, vcc_lo
	v_mul_f64 v[38:39], s[14:15], v[16:17]
	v_add_co_u32 v58, vcc_lo, v54, s4
	v_add_co_ci_u32_e64 v59, null, s5, v55, vcc_lo
	v_add_co_u32 v54, vcc_lo, v54, v0
	v_add_co_ci_u32_e64 v55, null, v55, v1, vcc_lo
	;; [unrolled: 2-line block ×3, first 2 shown]
	global_store_dwordx2 v[54:55], v[40:41], off
	global_store_dwordx2 v[54:55], v[42:43], off offset:128
	global_store_dwordx2 v[54:55], v[44:45], off offset:256
	;; [unrolled: 1-line block ×3, first 2 shown]
	global_store_dwordx2 v[56:57], v[48:49], off
	global_store_dwordx2 v[56:57], v[50:51], off offset:128
	global_store_dwordx2 v[56:57], v[52:53], off offset:256
	v_mul_f64 v[40:41], s[14:15], v[18:19]
	v_mul_f64 v[54:55], s[14:15], v[2:3]
	;; [unrolled: 1-line block ×7, first 2 shown]
	v_add_co_u32 v58, vcc_lo, v58, s4
	v_mul_f64 v[52:53], s[14:15], v[4:5]
	v_add_co_ci_u32_e64 v59, null, s5, v59, vcc_lo
	global_store_dwordx2 v[56:57], v[38:39], off offset:384
	v_add_co_u32 v56, vcc_lo, v58, s4
	v_add_co_ci_u32_e64 v57, null, s5, v59, vcc_lo
	v_add_co_u32 v38, vcc_lo, v58, v0
	v_add_co_ci_u32_e64 v39, null, v59, v1, vcc_lo
	;; [unrolled: 2-line block ×3, first 2 shown]
	global_store_dwordx2 v[38:39], v[40:41], off
	global_store_dwordx2 v[38:39], v[42:43], off offset:128
	global_store_dwordx2 v[38:39], v[44:45], off offset:256
	;; [unrolled: 1-line block ×3, first 2 shown]
	global_store_dwordx2 v[56:57], v[48:49], off
	global_store_dwordx2 v[56:57], v[50:51], off offset:128
	global_store_dwordx2 v[56:57], v[52:53], off offset:256
	;; [unrolled: 1-line block ×3, first 2 shown]
	s_cbranch_execnz .LBB285_7
.LBB285_6:
	v_mul_lo_u32 v39, v37, s20
	v_mul_lo_u32 v40, v34, s21
	v_mad_u64_u32 v[37:38], null, v34, s20, 0
	s_mul_i32 s5, s23, s8
	s_mul_hi_u32 s6, s22, s8
	s_mul_i32 s4, s22, s8
	s_add_i32 s5, s6, s5
	v_mad_u64_u32 v[41:42], null, v34, s2, 0
	v_add3_u32 v38, v38, v40, v39
	s_lshl_b64 s[4:5], s[4:5], 3
	s_add_u32 s4, s18, s4
	s_addc_u32 s5, s19, s5
	v_lshlrev_b64 v[37:38], 3, v[37:38]
	v_add3_u32 v42, v42, v36, v35
	s_lshl_b64 s[2:3], s[2:3], 7
	v_lshlrev_b64 v[34:35], 3, v[41:42]
	v_add_co_u32 v43, vcc_lo, s4, v37
	v_add_co_ci_u32_e64 v44, null, s5, v38, vcc_lo
	v_add_co_u32 v37, vcc_lo, v43, v0
	v_add_co_ci_u32_e64 v38, null, v44, v1, vcc_lo
	v_add_co_u32 v36, vcc_lo, s0, v34
	global_load_dwordx2 v[39:40], v[37:38], off
	s_waitcnt vmcnt(0)
	v_mul_f64 v[39:40], s[16:17], v[39:40]
	v_fma_f64 v[32:33], s[14:15], v[32:33], v[39:40]
	v_add_co_ci_u32_e64 v39, null, s1, v35, vcc_lo
	v_add_co_u32 v34, vcc_lo, v36, v0
	s_lshl_b64 s[0:1], s[20:21], 7
	v_add_co_ci_u32_e64 v35, null, v39, v1, vcc_lo
	global_store_dwordx2 v[34:35], v[32:33], off
	global_load_dwordx2 v[32:33], v[37:38], off offset:128
	s_waitcnt vmcnt(0)
	v_mul_f64 v[32:33], s[16:17], v[32:33]
	v_fma_f64 v[30:31], s[14:15], v[30:31], v[32:33]
	global_store_dwordx2 v[34:35], v[30:31], off offset:128
	global_load_dwordx2 v[30:31], v[37:38], off offset:256
	s_waitcnt vmcnt(0)
	v_mul_f64 v[30:31], s[16:17], v[30:31]
	v_fma_f64 v[26:27], s[14:15], v[26:27], v[30:31]
	v_add_co_u32 v30, vcc_lo, v43, s0
	v_add_co_ci_u32_e64 v31, null, s1, v44, vcc_lo
	global_store_dwordx2 v[34:35], v[26:27], off offset:256
	global_load_dwordx2 v[26:27], v[37:38], off offset:384
	s_waitcnt vmcnt(0)
	v_mul_f64 v[26:27], s[16:17], v[26:27]
	v_fma_f64 v[24:25], s[14:15], v[24:25], v[26:27]
	v_add_co_u32 v26, vcc_lo, v30, v0
	v_add_co_ci_u32_e64 v27, null, v31, v1, vcc_lo
	v_add_co_u32 v32, vcc_lo, v36, s2
	v_add_co_ci_u32_e64 v33, null, s3, v39, vcc_lo
	global_store_dwordx2 v[34:35], v[24:25], off offset:384
	global_load_dwordx2 v[24:25], v[26:27], off
	s_waitcnt vmcnt(0)
	v_mul_f64 v[24:25], s[16:17], v[24:25]
	v_fma_f64 v[24:25], s[14:15], v[28:29], v[24:25]
	v_add_co_u32 v28, vcc_lo, v32, v0
	v_add_co_ci_u32_e64 v29, null, v33, v1, vcc_lo
	global_store_dwordx2 v[28:29], v[24:25], off
	global_load_dwordx2 v[24:25], v[26:27], off offset:128
	s_waitcnt vmcnt(0)
	v_mul_f64 v[24:25], s[16:17], v[24:25]
	v_fma_f64 v[22:23], s[14:15], v[22:23], v[24:25]
	global_store_dwordx2 v[28:29], v[22:23], off offset:128
	global_load_dwordx2 v[22:23], v[26:27], off offset:256
	s_waitcnt vmcnt(0)
	v_mul_f64 v[22:23], s[16:17], v[22:23]
	v_fma_f64 v[20:21], s[14:15], v[20:21], v[22:23]
	v_add_co_u32 v22, vcc_lo, v30, s0
	v_add_co_ci_u32_e64 v23, null, s1, v31, vcc_lo
	global_store_dwordx2 v[28:29], v[20:21], off offset:256
	global_load_dwordx2 v[20:21], v[26:27], off offset:384
	s_waitcnt vmcnt(0)
	v_mul_f64 v[20:21], s[16:17], v[20:21]
	v_fma_f64 v[16:17], s[14:15], v[16:17], v[20:21]
	v_add_co_u32 v20, vcc_lo, v22, v0
	v_add_co_ci_u32_e64 v21, null, v23, v1, vcc_lo
	v_add_co_u32 v24, vcc_lo, v32, s2
	v_add_co_ci_u32_e64 v25, null, s3, v33, vcc_lo
	global_store_dwordx2 v[28:29], v[16:17], off offset:384
	global_load_dwordx2 v[16:17], v[20:21], off
	s_waitcnt vmcnt(0)
	v_mul_f64 v[16:17], s[16:17], v[16:17]
	v_fma_f64 v[16:17], s[14:15], v[18:19], v[16:17]
	v_add_co_u32 v18, vcc_lo, v24, v0
	v_add_co_ci_u32_e64 v19, null, v25, v1, vcc_lo
	global_store_dwordx2 v[18:19], v[16:17], off
	global_load_dwordx2 v[16:17], v[20:21], off offset:128
	s_waitcnt vmcnt(0)
	v_mul_f64 v[16:17], s[16:17], v[16:17]
	v_fma_f64 v[14:15], s[14:15], v[14:15], v[16:17]
	global_store_dwordx2 v[18:19], v[14:15], off offset:128
	global_load_dwordx2 v[14:15], v[20:21], off offset:256
	s_waitcnt vmcnt(0)
	v_mul_f64 v[14:15], s[16:17], v[14:15]
	v_fma_f64 v[12:13], s[14:15], v[12:13], v[14:15]
	global_store_dwordx2 v[18:19], v[12:13], off offset:256
	global_load_dwordx2 v[12:13], v[20:21], off offset:384
	s_waitcnt vmcnt(0)
	v_mul_f64 v[12:13], s[16:17], v[12:13]
	v_fma_f64 v[10:11], s[14:15], v[10:11], v[12:13]
	v_add_co_u32 v12, vcc_lo, v22, s0
	v_add_co_ci_u32_e64 v13, null, s1, v23, vcc_lo
	v_add_co_u32 v12, vcc_lo, v12, v0
	v_add_co_ci_u32_e64 v13, null, v13, v1, vcc_lo
	global_store_dwordx2 v[18:19], v[10:11], off offset:384
	global_load_dwordx2 v[10:11], v[12:13], off
	s_waitcnt vmcnt(0)
	v_mul_f64 v[10:11], s[16:17], v[10:11]
	v_fma_f64 v[8:9], s[14:15], v[8:9], v[10:11]
	v_add_co_u32 v10, vcc_lo, v24, s2
	v_add_co_ci_u32_e64 v11, null, s3, v25, vcc_lo
	v_add_co_u32 v0, vcc_lo, v10, v0
	v_add_co_ci_u32_e64 v1, null, v11, v1, vcc_lo
	global_store_dwordx2 v[0:1], v[8:9], off
	global_load_dwordx2 v[8:9], v[12:13], off offset:128
	s_waitcnt vmcnt(0)
	v_mul_f64 v[8:9], s[16:17], v[8:9]
	v_fma_f64 v[6:7], s[14:15], v[6:7], v[8:9]
	global_store_dwordx2 v[0:1], v[6:7], off offset:128
	global_load_dwordx2 v[6:7], v[12:13], off offset:256
	s_waitcnt vmcnt(0)
	v_mul_f64 v[6:7], s[16:17], v[6:7]
	v_fma_f64 v[4:5], s[14:15], v[4:5], v[6:7]
	global_store_dwordx2 v[0:1], v[4:5], off offset:256
	;; [unrolled: 5-line block ×3, first 2 shown]
.LBB285_7:
	s_endpgm
.LBB285_8:
	s_branch .LBB285_6
	.section	.rodata,"a",@progbits
	.p2align	6, 0x0
	.amdhsa_kernel _ZN12_GLOBAL__N_127rocblas_gemm_batched_kernelIdLi16ELi16ELi64ELi64ELi4ELi64ELi4ELi4ELi64ELc67ELc84EKdS1_dEEvlllT_PT11_llS4_llS2_PT12_llPT13_lli
		.amdhsa_group_segment_fixed_size 4096
		.amdhsa_private_segment_fixed_size 0
		.amdhsa_kernarg_size 140
		.amdhsa_user_sgpr_count 6
		.amdhsa_user_sgpr_private_segment_buffer 1
		.amdhsa_user_sgpr_dispatch_ptr 0
		.amdhsa_user_sgpr_queue_ptr 0
		.amdhsa_user_sgpr_kernarg_segment_ptr 1
		.amdhsa_user_sgpr_dispatch_id 0
		.amdhsa_user_sgpr_flat_scratch_init 0
		.amdhsa_user_sgpr_private_segment_size 0
		.amdhsa_wavefront_size32 1
		.amdhsa_uses_dynamic_stack 0
		.amdhsa_system_sgpr_private_segment_wavefront_offset 0
		.amdhsa_system_sgpr_workgroup_id_x 1
		.amdhsa_system_sgpr_workgroup_id_y 1
		.amdhsa_system_sgpr_workgroup_id_z 1
		.amdhsa_system_sgpr_workgroup_info 0
		.amdhsa_system_vgpr_workitem_id 1
		.amdhsa_next_free_vgpr 78
		.amdhsa_next_free_sgpr 30
		.amdhsa_reserve_vcc 1
		.amdhsa_reserve_flat_scratch 0
		.amdhsa_float_round_mode_32 0
		.amdhsa_float_round_mode_16_64 0
		.amdhsa_float_denorm_mode_32 3
		.amdhsa_float_denorm_mode_16_64 3
		.amdhsa_dx10_clamp 1
		.amdhsa_ieee_mode 1
		.amdhsa_fp16_overflow 0
		.amdhsa_workgroup_processor_mode 1
		.amdhsa_memory_ordered 1
		.amdhsa_forward_progress 1
		.amdhsa_shared_vgpr_count 0
		.amdhsa_exception_fp_ieee_invalid_op 0
		.amdhsa_exception_fp_denorm_src 0
		.amdhsa_exception_fp_ieee_div_zero 0
		.amdhsa_exception_fp_ieee_overflow 0
		.amdhsa_exception_fp_ieee_underflow 0
		.amdhsa_exception_fp_ieee_inexact 0
		.amdhsa_exception_int_div_zero 0
	.end_amdhsa_kernel
	.section	.text._ZN12_GLOBAL__N_127rocblas_gemm_batched_kernelIdLi16ELi16ELi64ELi64ELi4ELi64ELi4ELi4ELi64ELc67ELc84EKdS1_dEEvlllT_PT11_llS4_llS2_PT12_llPT13_lli,"axG",@progbits,_ZN12_GLOBAL__N_127rocblas_gemm_batched_kernelIdLi16ELi16ELi64ELi64ELi4ELi64ELi4ELi4ELi64ELc67ELc84EKdS1_dEEvlllT_PT11_llS4_llS2_PT12_llPT13_lli,comdat
.Lfunc_end285:
	.size	_ZN12_GLOBAL__N_127rocblas_gemm_batched_kernelIdLi16ELi16ELi64ELi64ELi4ELi64ELi4ELi4ELi64ELc67ELc84EKdS1_dEEvlllT_PT11_llS4_llS2_PT12_llPT13_lli, .Lfunc_end285-_ZN12_GLOBAL__N_127rocblas_gemm_batched_kernelIdLi16ELi16ELi64ELi64ELi4ELi64ELi4ELi4ELi64ELc67ELc84EKdS1_dEEvlllT_PT11_llS4_llS2_PT12_llPT13_lli
                                        ; -- End function
	.set _ZN12_GLOBAL__N_127rocblas_gemm_batched_kernelIdLi16ELi16ELi64ELi64ELi4ELi64ELi4ELi4ELi64ELc67ELc84EKdS1_dEEvlllT_PT11_llS4_llS2_PT12_llPT13_lli.num_vgpr, 78
	.set _ZN12_GLOBAL__N_127rocblas_gemm_batched_kernelIdLi16ELi16ELi64ELi64ELi4ELi64ELi4ELi4ELi64ELc67ELc84EKdS1_dEEvlllT_PT11_llS4_llS2_PT12_llPT13_lli.num_agpr, 0
	.set _ZN12_GLOBAL__N_127rocblas_gemm_batched_kernelIdLi16ELi16ELi64ELi64ELi4ELi64ELi4ELi4ELi64ELc67ELc84EKdS1_dEEvlllT_PT11_llS4_llS2_PT12_llPT13_lli.numbered_sgpr, 30
	.set _ZN12_GLOBAL__N_127rocblas_gemm_batched_kernelIdLi16ELi16ELi64ELi64ELi4ELi64ELi4ELi4ELi64ELc67ELc84EKdS1_dEEvlllT_PT11_llS4_llS2_PT12_llPT13_lli.num_named_barrier, 0
	.set _ZN12_GLOBAL__N_127rocblas_gemm_batched_kernelIdLi16ELi16ELi64ELi64ELi4ELi64ELi4ELi4ELi64ELc67ELc84EKdS1_dEEvlllT_PT11_llS4_llS2_PT12_llPT13_lli.private_seg_size, 0
	.set _ZN12_GLOBAL__N_127rocblas_gemm_batched_kernelIdLi16ELi16ELi64ELi64ELi4ELi64ELi4ELi4ELi64ELc67ELc84EKdS1_dEEvlllT_PT11_llS4_llS2_PT12_llPT13_lli.uses_vcc, 1
	.set _ZN12_GLOBAL__N_127rocblas_gemm_batched_kernelIdLi16ELi16ELi64ELi64ELi4ELi64ELi4ELi4ELi64ELc67ELc84EKdS1_dEEvlllT_PT11_llS4_llS2_PT12_llPT13_lli.uses_flat_scratch, 0
	.set _ZN12_GLOBAL__N_127rocblas_gemm_batched_kernelIdLi16ELi16ELi64ELi64ELi4ELi64ELi4ELi4ELi64ELc67ELc84EKdS1_dEEvlllT_PT11_llS4_llS2_PT12_llPT13_lli.has_dyn_sized_stack, 0
	.set _ZN12_GLOBAL__N_127rocblas_gemm_batched_kernelIdLi16ELi16ELi64ELi64ELi4ELi64ELi4ELi4ELi64ELc67ELc84EKdS1_dEEvlllT_PT11_llS4_llS2_PT12_llPT13_lli.has_recursion, 0
	.set _ZN12_GLOBAL__N_127rocblas_gemm_batched_kernelIdLi16ELi16ELi64ELi64ELi4ELi64ELi4ELi4ELi64ELc67ELc84EKdS1_dEEvlllT_PT11_llS4_llS2_PT12_llPT13_lli.has_indirect_call, 0
	.section	.AMDGPU.csdata,"",@progbits
; Kernel info:
; codeLenInByte = 2896
; TotalNumSgprs: 32
; NumVgprs: 78
; ScratchSize: 0
; MemoryBound: 0
; FloatMode: 240
; IeeeMode: 1
; LDSByteSize: 4096 bytes/workgroup (compile time only)
; SGPRBlocks: 0
; VGPRBlocks: 9
; NumSGPRsForWavesPerEU: 32
; NumVGPRsForWavesPerEU: 78
; Occupancy: 12
; WaveLimiterHint : 1
; COMPUTE_PGM_RSRC2:SCRATCH_EN: 0
; COMPUTE_PGM_RSRC2:USER_SGPR: 6
; COMPUTE_PGM_RSRC2:TRAP_HANDLER: 0
; COMPUTE_PGM_RSRC2:TGID_X_EN: 1
; COMPUTE_PGM_RSRC2:TGID_Y_EN: 1
; COMPUTE_PGM_RSRC2:TGID_Z_EN: 1
; COMPUTE_PGM_RSRC2:TIDIG_COMP_CNT: 1
	.section	.text._ZN12_GLOBAL__N_127rocblas_gemm_batched_kernelIdLi16ELi16ELi64ELi64ELi4ELi64ELi4ELi4ELi64ELc78ELc67EKdS1_dEEvlllT_PT11_llS4_llS2_PT12_llPT13_lli,"axG",@progbits,_ZN12_GLOBAL__N_127rocblas_gemm_batched_kernelIdLi16ELi16ELi64ELi64ELi4ELi64ELi4ELi4ELi64ELc78ELc67EKdS1_dEEvlllT_PT11_llS4_llS2_PT12_llPT13_lli,comdat
	.globl	_ZN12_GLOBAL__N_127rocblas_gemm_batched_kernelIdLi16ELi16ELi64ELi64ELi4ELi64ELi4ELi4ELi64ELc78ELc67EKdS1_dEEvlllT_PT11_llS4_llS2_PT12_llPT13_lli ; -- Begin function _ZN12_GLOBAL__N_127rocblas_gemm_batched_kernelIdLi16ELi16ELi64ELi64ELi4ELi64ELi4ELi4ELi64ELc78ELc67EKdS1_dEEvlllT_PT11_llS4_llS2_PT12_llPT13_lli
	.p2align	8
	.type	_ZN12_GLOBAL__N_127rocblas_gemm_batched_kernelIdLi16ELi16ELi64ELi64ELi4ELi64ELi4ELi4ELi64ELc78ELc67EKdS1_dEEvlllT_PT11_llS4_llS2_PT12_llPT13_lli,@function
_ZN12_GLOBAL__N_127rocblas_gemm_batched_kernelIdLi16ELi16ELi64ELi64ELi4ELi64ELi4ELi4ELi64ELc78ELc67EKdS1_dEEvlllT_PT11_llS4_llS2_PT12_llPT13_lli: ; @_ZN12_GLOBAL__N_127rocblas_gemm_batched_kernelIdLi16ELi16ELi64ELi64ELi4ELi64ELi4ELi4ELi64ELc78ELc67EKdS1_dEEvlllT_PT11_llS4_llS2_PT12_llPT13_lli
; %bb.0:
	s_load_dwordx16 s[12:27], s[4:5], 0x10
	s_mov_b32 s0, s7
	v_mov_b32_e32 v3, 0
	s_ashr_i32 s7, s6, 31
	s_ashr_i32 s1, s0, 31
	s_lshl_b64 s[10:11], s[6:7], 6
	s_lshl_b64 s[28:29], s[0:1], 6
	s_waitcnt lgkmcnt(0)
	v_cmp_lt_i64_e64 s2, s[12:13], 1
	s_and_b32 vcc_lo, exec_lo, s2
	s_cbranch_vccnz .LBB286_3
; %bb.1:
	v_lshl_add_u32 v5, v1, 4, v0
	v_and_b32_e32 v6, 3, v0
	s_mul_i32 s1, s27, s8
	s_mul_hi_u32 s2, s26, s8
	s_mul_i32 s0, s26, s8
	v_lshrrev_b32_e32 v2, 2, v5
	v_and_b32_e32 v8, 63, v5
	v_lshrrev_b32_e32 v7, 6, v5
	v_lshlrev_b32_e32 v9, 3, v6
	s_add_i32 s1, s2, s1
	v_mad_u64_u32 v[3:4], null, s24, v6, v[2:3]
	v_lshlrev_b32_e32 v10, 3, v8
	v_lshl_or_b32 v9, v2, 5, v9
	s_lshl_b64 s[0:1], s[0:1], 3
	s_mul_i32 s3, s21, s8
	s_add_u32 s0, s22, s0
	v_lshl_or_b32 v40, v7, 9, v10
	v_mad_u64_u32 v[4:5], null, s25, v6, v[4:5]
	v_mad_u64_u32 v[5:6], null, s18, v7, s[10:11]
	v_add_co_u32 v3, vcc_lo, v3, s28
	s_addc_u32 s1, s23, s1
	s_mul_hi_u32 s6, s20, s8
	v_add_co_ci_u32_e64 v4, null, s29, v4, vcc_lo
	v_mov_b32_e32 v2, v6
	s_add_i32 s3, s6, s3
	s_mul_i32 s2, s20, s8
	v_lshlrev_b64 v[3:4], 3, v[3:4]
	s_lshl_b64 s[2:3], s[2:3], 3
	v_add_nc_u32_e32 v41, 0x800, v9
	v_mov_b32_e32 v10, 0
	v_mov_b32_e32 v12, 0
	;; [unrolled: 1-line block ×3, first 2 shown]
	v_mad_u64_u32 v[6:7], null, s19, v7, v[2:3]
	v_add_co_u32 v34, vcc_lo, s0, v3
	v_add_co_ci_u32_e64 v35, null, s1, v4, vcc_lo
	v_add_co_u32 v2, vcc_lo, v5, v8
	v_add_co_ci_u32_e64 v3, null, 0, v6, vcc_lo
	s_lshl_b64 s[0:1], s[24:25], 5
	s_add_u32 s2, s16, s2
	s_addc_u32 s3, s17, s3
	v_lshlrev_b64 v[36:37], 3, v[2:3]
	v_mov_b32_e32 v2, 0
	v_mov_b32_e32 v4, 0
	;; [unrolled: 1-line block ×5, first 2 shown]
	v_add_co_u32 v36, vcc_lo, s2, v36
	v_mov_b32_e32 v16, 0
	v_mov_b32_e32 v20, 0
	;; [unrolled: 1-line block ×8, first 2 shown]
	v_lshlrev_b32_e32 v38, 3, v0
	v_lshl_add_u32 v39, v1, 5, 0x800
	v_mov_b32_e32 v3, 0
	v_mov_b32_e32 v5, 0
	;; [unrolled: 1-line block ×16, first 2 shown]
	v_add_co_ci_u32_e64 v37, null, s3, v37, vcc_lo
	s_lshl_b64 s[2:3], s[18:19], 5
	s_mov_b64 s[6:7], 0
.LBB286_2:                              ; =>This Inner Loop Header: Depth=1
	global_load_dwordx2 v[42:43], v[36:37], off
	global_load_dwordx2 v[44:45], v[34:35], off
	s_add_u32 s6, s6, 4
	s_addc_u32 s7, s7, 0
	v_add_co_u32 v34, vcc_lo, v34, s0
	v_cmp_lt_i64_e64 s9, s[6:7], s[12:13]
	v_add_co_ci_u32_e64 v35, null, s1, v35, vcc_lo
	v_add_co_u32 v36, vcc_lo, v36, s2
	v_add_co_ci_u32_e64 v37, null, s3, v37, vcc_lo
	s_and_b32 vcc_lo, exec_lo, s9
	s_waitcnt vmcnt(1)
	ds_write_b64 v40, v[42:43]
	s_waitcnt vmcnt(0)
	ds_write_b64 v41, v[44:45]
	s_waitcnt lgkmcnt(0)
	s_barrier
	buffer_gl0_inv
	ds_read_b128 v[42:45], v39
	ds_read2_b64 v[46:49], v38 offset1:16
	ds_read_b128 v[50:53], v39 offset:512
	ds_read_b128 v[54:57], v39 offset:16
	;; [unrolled: 1-line block ×3, first 2 shown]
	s_waitcnt lgkmcnt(3)
	v_fma_f64 v[74:75], v[48:49], v[42:43], v[30:31]
	s_waitcnt lgkmcnt(2)
	v_fma_f64 v[76:77], v[46:47], v[50:51], v[28:29]
	ds_read_b128 v[28:31], v39 offset:1024
	ds_read_b128 v[62:65], v39 offset:1040
	;; [unrolled: 1-line block ×4, first 2 shown]
	v_fma_f64 v[32:33], v[46:47], v[42:43], v[32:33]
	v_fma_f64 v[22:23], v[48:49], v[50:51], v[22:23]
	s_waitcnt lgkmcnt(3)
	v_fma_f64 v[18:19], v[46:47], v[28:29], v[18:19]
	v_fma_f64 v[14:15], v[48:49], v[28:29], v[14:15]
	s_waitcnt lgkmcnt(1)
	v_fma_f64 v[46:47], v[46:47], v[66:67], v[8:9]
	v_fma_f64 v[48:49], v[48:49], v[66:67], v[6:7]
	ds_read2_b64 v[6:9], v38 offset0:32 offset1:48
	s_waitcnt lgkmcnt(0)
	v_fma_f64 v[26:27], v[6:7], v[42:43], v[26:27]
	v_fma_f64 v[24:25], v[8:9], v[42:43], v[24:25]
	;; [unrolled: 1-line block ×8, first 2 shown]
	ds_read2_b64 v[2:5], v38 offset0:64 offset1:80
	ds_read2_b64 v[6:9], v38 offset0:96 offset1:112
	s_waitcnt lgkmcnt(1)
	v_fma_f64 v[32:33], v[2:3], v[44:45], v[32:33]
	v_fma_f64 v[50:51], v[4:5], v[44:45], v[74:75]
	s_waitcnt lgkmcnt(0)
	v_fma_f64 v[26:27], v[6:7], v[44:45], v[26:27]
	v_fma_f64 v[24:25], v[8:9], v[44:45], v[24:25]
	;; [unrolled: 1-line block ×10, first 2 shown]
	ds_read2_b64 v[2:5], v38 offset0:128 offset1:144
	v_fma_f64 v[20:21], v[6:7], v[52:53], v[20:21]
	v_fma_f64 v[16:17], v[8:9], v[52:53], v[16:17]
	;; [unrolled: 1-line block ×4, first 2 shown]
	s_waitcnt lgkmcnt(0)
	v_fma_f64 v[28:29], v[2:3], v[54:55], v[32:33]
	v_fma_f64 v[42:43], v[4:5], v[54:55], v[50:51]
	;; [unrolled: 1-line block ×8, first 2 shown]
	ds_read2_b64 v[2:5], v38 offset0:160 offset1:176
	s_waitcnt lgkmcnt(0)
	v_fma_f64 v[26:27], v[2:3], v[54:55], v[26:27]
	v_fma_f64 v[24:25], v[4:5], v[54:55], v[24:25]
	;; [unrolled: 1-line block ×8, first 2 shown]
	ds_read2_b64 v[2:5], v38 offset0:192 offset1:208
	s_waitcnt lgkmcnt(0)
	v_fma_f64 v[30:31], v[4:5], v[56:57], v[42:43]
	ds_read2_b64 v[42:45], v38 offset0:224 offset1:240
	v_fma_f64 v[32:33], v[2:3], v[56:57], v[28:29]
	v_fma_f64 v[28:29], v[2:3], v[60:61], v[48:49]
	;; [unrolled: 1-line block ×7, first 2 shown]
	s_waitcnt lgkmcnt(0)
	s_barrier
	buffer_gl0_inv
	v_fma_f64 v[26:27], v[42:43], v[56:57], v[26:27]
	v_fma_f64 v[24:25], v[44:45], v[56:57], v[24:25]
	;; [unrolled: 1-line block ×8, first 2 shown]
	s_cbranch_vccnz .LBB286_2
	s_branch .LBB286_4
.LBB286_3:
	v_mov_b32_e32 v32, 0
	v_mov_b32_e32 v30, 0
	;; [unrolled: 1-line block ×32, first 2 shown]
.LBB286_4:
	s_clause 0x1
	s_load_dwordx8 s[16:23], s[4:5], 0x50
	s_load_dwordx8 s[0:7], s[4:5], 0x70
	s_waitcnt lgkmcnt(0)
	v_cmp_neq_f64_e64 s6, s[16:17], 0
	s_mul_i32 s5, s5, s8
	s_mul_hi_u32 s7, s4, s8
	s_mul_i32 s4, s4, s8
	s_add_i32 s5, s7, s5
	v_add_co_u32 v34, s7, s28, v1
	v_add_co_ci_u32_e64 v37, null, s29, 0, s7
	v_add_co_u32 v0, s7, s10, v0
	v_add_co_ci_u32_e64 v1, null, s11, 0, s7
	v_mul_lo_u32 v35, v37, s2
	v_mul_lo_u32 v36, v34, s3
	s_lshl_b64 s[4:5], s[4:5], 3
	v_lshlrev_b64 v[0:1], 3, v[0:1]
	s_add_u32 s0, s0, s4
	s_addc_u32 s1, s1, s5
	s_and_b32 vcc_lo, exec_lo, s6
	s_cbranch_vccnz .LBB286_8
; %bb.5:
	v_mad_u64_u32 v[38:39], null, v34, s2, 0
	v_mul_f64 v[40:41], s[14:15], v[32:33]
	v_mul_f64 v[42:43], s[14:15], v[30:31]
	;; [unrolled: 1-line block ×6, first 2 shown]
	v_add3_u32 v39, v39, v36, v35
	v_mul_f64 v[52:53], s[14:15], v[20:21]
	s_lshl_b64 s[4:5], s[2:3], 7
	v_lshlrev_b64 v[38:39], 3, v[38:39]
	v_add_co_u32 v54, vcc_lo, s0, v38
	v_add_co_ci_u32_e64 v55, null, s1, v39, vcc_lo
	v_mul_f64 v[38:39], s[14:15], v[16:17]
	v_add_co_u32 v58, vcc_lo, v54, s4
	v_add_co_ci_u32_e64 v59, null, s5, v55, vcc_lo
	v_add_co_u32 v54, vcc_lo, v54, v0
	v_add_co_ci_u32_e64 v55, null, v55, v1, vcc_lo
	;; [unrolled: 2-line block ×3, first 2 shown]
	global_store_dwordx2 v[54:55], v[40:41], off
	global_store_dwordx2 v[54:55], v[42:43], off offset:128
	global_store_dwordx2 v[54:55], v[44:45], off offset:256
	;; [unrolled: 1-line block ×3, first 2 shown]
	global_store_dwordx2 v[56:57], v[48:49], off
	global_store_dwordx2 v[56:57], v[50:51], off offset:128
	global_store_dwordx2 v[56:57], v[52:53], off offset:256
	v_mul_f64 v[40:41], s[14:15], v[18:19]
	v_mul_f64 v[54:55], s[14:15], v[2:3]
	;; [unrolled: 1-line block ×7, first 2 shown]
	v_add_co_u32 v58, vcc_lo, v58, s4
	v_mul_f64 v[52:53], s[14:15], v[4:5]
	v_add_co_ci_u32_e64 v59, null, s5, v59, vcc_lo
	global_store_dwordx2 v[56:57], v[38:39], off offset:384
	v_add_co_u32 v56, vcc_lo, v58, s4
	v_add_co_ci_u32_e64 v57, null, s5, v59, vcc_lo
	v_add_co_u32 v38, vcc_lo, v58, v0
	v_add_co_ci_u32_e64 v39, null, v59, v1, vcc_lo
	;; [unrolled: 2-line block ×3, first 2 shown]
	global_store_dwordx2 v[38:39], v[40:41], off
	global_store_dwordx2 v[38:39], v[42:43], off offset:128
	global_store_dwordx2 v[38:39], v[44:45], off offset:256
	;; [unrolled: 1-line block ×3, first 2 shown]
	global_store_dwordx2 v[56:57], v[48:49], off
	global_store_dwordx2 v[56:57], v[50:51], off offset:128
	global_store_dwordx2 v[56:57], v[52:53], off offset:256
	;; [unrolled: 1-line block ×3, first 2 shown]
	s_cbranch_execnz .LBB286_7
.LBB286_6:
	v_mul_lo_u32 v39, v37, s20
	v_mul_lo_u32 v40, v34, s21
	v_mad_u64_u32 v[37:38], null, v34, s20, 0
	s_mul_i32 s5, s23, s8
	s_mul_hi_u32 s6, s22, s8
	s_mul_i32 s4, s22, s8
	s_add_i32 s5, s6, s5
	v_mad_u64_u32 v[41:42], null, v34, s2, 0
	v_add3_u32 v38, v38, v40, v39
	s_lshl_b64 s[4:5], s[4:5], 3
	s_add_u32 s4, s18, s4
	s_addc_u32 s5, s19, s5
	v_lshlrev_b64 v[37:38], 3, v[37:38]
	v_add3_u32 v42, v42, v36, v35
	s_lshl_b64 s[2:3], s[2:3], 7
	v_lshlrev_b64 v[34:35], 3, v[41:42]
	v_add_co_u32 v43, vcc_lo, s4, v37
	v_add_co_ci_u32_e64 v44, null, s5, v38, vcc_lo
	v_add_co_u32 v37, vcc_lo, v43, v0
	v_add_co_ci_u32_e64 v38, null, v44, v1, vcc_lo
	v_add_co_u32 v36, vcc_lo, s0, v34
	global_load_dwordx2 v[39:40], v[37:38], off
	s_waitcnt vmcnt(0)
	v_mul_f64 v[39:40], s[16:17], v[39:40]
	v_fma_f64 v[32:33], s[14:15], v[32:33], v[39:40]
	v_add_co_ci_u32_e64 v39, null, s1, v35, vcc_lo
	v_add_co_u32 v34, vcc_lo, v36, v0
	s_lshl_b64 s[0:1], s[20:21], 7
	v_add_co_ci_u32_e64 v35, null, v39, v1, vcc_lo
	global_store_dwordx2 v[34:35], v[32:33], off
	global_load_dwordx2 v[32:33], v[37:38], off offset:128
	s_waitcnt vmcnt(0)
	v_mul_f64 v[32:33], s[16:17], v[32:33]
	v_fma_f64 v[30:31], s[14:15], v[30:31], v[32:33]
	global_store_dwordx2 v[34:35], v[30:31], off offset:128
	global_load_dwordx2 v[30:31], v[37:38], off offset:256
	s_waitcnt vmcnt(0)
	v_mul_f64 v[30:31], s[16:17], v[30:31]
	v_fma_f64 v[26:27], s[14:15], v[26:27], v[30:31]
	v_add_co_u32 v30, vcc_lo, v43, s0
	v_add_co_ci_u32_e64 v31, null, s1, v44, vcc_lo
	global_store_dwordx2 v[34:35], v[26:27], off offset:256
	global_load_dwordx2 v[26:27], v[37:38], off offset:384
	s_waitcnt vmcnt(0)
	v_mul_f64 v[26:27], s[16:17], v[26:27]
	v_fma_f64 v[24:25], s[14:15], v[24:25], v[26:27]
	v_add_co_u32 v26, vcc_lo, v30, v0
	v_add_co_ci_u32_e64 v27, null, v31, v1, vcc_lo
	v_add_co_u32 v32, vcc_lo, v36, s2
	v_add_co_ci_u32_e64 v33, null, s3, v39, vcc_lo
	global_store_dwordx2 v[34:35], v[24:25], off offset:384
	global_load_dwordx2 v[24:25], v[26:27], off
	s_waitcnt vmcnt(0)
	v_mul_f64 v[24:25], s[16:17], v[24:25]
	v_fma_f64 v[24:25], s[14:15], v[28:29], v[24:25]
	v_add_co_u32 v28, vcc_lo, v32, v0
	v_add_co_ci_u32_e64 v29, null, v33, v1, vcc_lo
	global_store_dwordx2 v[28:29], v[24:25], off
	global_load_dwordx2 v[24:25], v[26:27], off offset:128
	s_waitcnt vmcnt(0)
	v_mul_f64 v[24:25], s[16:17], v[24:25]
	v_fma_f64 v[22:23], s[14:15], v[22:23], v[24:25]
	global_store_dwordx2 v[28:29], v[22:23], off offset:128
	global_load_dwordx2 v[22:23], v[26:27], off offset:256
	s_waitcnt vmcnt(0)
	v_mul_f64 v[22:23], s[16:17], v[22:23]
	v_fma_f64 v[20:21], s[14:15], v[20:21], v[22:23]
	v_add_co_u32 v22, vcc_lo, v30, s0
	v_add_co_ci_u32_e64 v23, null, s1, v31, vcc_lo
	global_store_dwordx2 v[28:29], v[20:21], off offset:256
	global_load_dwordx2 v[20:21], v[26:27], off offset:384
	s_waitcnt vmcnt(0)
	v_mul_f64 v[20:21], s[16:17], v[20:21]
	v_fma_f64 v[16:17], s[14:15], v[16:17], v[20:21]
	v_add_co_u32 v20, vcc_lo, v22, v0
	v_add_co_ci_u32_e64 v21, null, v23, v1, vcc_lo
	v_add_co_u32 v24, vcc_lo, v32, s2
	v_add_co_ci_u32_e64 v25, null, s3, v33, vcc_lo
	global_store_dwordx2 v[28:29], v[16:17], off offset:384
	global_load_dwordx2 v[16:17], v[20:21], off
	s_waitcnt vmcnt(0)
	v_mul_f64 v[16:17], s[16:17], v[16:17]
	v_fma_f64 v[16:17], s[14:15], v[18:19], v[16:17]
	v_add_co_u32 v18, vcc_lo, v24, v0
	v_add_co_ci_u32_e64 v19, null, v25, v1, vcc_lo
	global_store_dwordx2 v[18:19], v[16:17], off
	global_load_dwordx2 v[16:17], v[20:21], off offset:128
	s_waitcnt vmcnt(0)
	v_mul_f64 v[16:17], s[16:17], v[16:17]
	v_fma_f64 v[14:15], s[14:15], v[14:15], v[16:17]
	global_store_dwordx2 v[18:19], v[14:15], off offset:128
	global_load_dwordx2 v[14:15], v[20:21], off offset:256
	s_waitcnt vmcnt(0)
	v_mul_f64 v[14:15], s[16:17], v[14:15]
	v_fma_f64 v[12:13], s[14:15], v[12:13], v[14:15]
	global_store_dwordx2 v[18:19], v[12:13], off offset:256
	global_load_dwordx2 v[12:13], v[20:21], off offset:384
	s_waitcnt vmcnt(0)
	v_mul_f64 v[12:13], s[16:17], v[12:13]
	v_fma_f64 v[10:11], s[14:15], v[10:11], v[12:13]
	v_add_co_u32 v12, vcc_lo, v22, s0
	v_add_co_ci_u32_e64 v13, null, s1, v23, vcc_lo
	v_add_co_u32 v12, vcc_lo, v12, v0
	v_add_co_ci_u32_e64 v13, null, v13, v1, vcc_lo
	global_store_dwordx2 v[18:19], v[10:11], off offset:384
	global_load_dwordx2 v[10:11], v[12:13], off
	s_waitcnt vmcnt(0)
	v_mul_f64 v[10:11], s[16:17], v[10:11]
	v_fma_f64 v[8:9], s[14:15], v[8:9], v[10:11]
	v_add_co_u32 v10, vcc_lo, v24, s2
	v_add_co_ci_u32_e64 v11, null, s3, v25, vcc_lo
	v_add_co_u32 v0, vcc_lo, v10, v0
	v_add_co_ci_u32_e64 v1, null, v11, v1, vcc_lo
	global_store_dwordx2 v[0:1], v[8:9], off
	global_load_dwordx2 v[8:9], v[12:13], off offset:128
	s_waitcnt vmcnt(0)
	v_mul_f64 v[8:9], s[16:17], v[8:9]
	v_fma_f64 v[6:7], s[14:15], v[6:7], v[8:9]
	global_store_dwordx2 v[0:1], v[6:7], off offset:128
	global_load_dwordx2 v[6:7], v[12:13], off offset:256
	s_waitcnt vmcnt(0)
	v_mul_f64 v[6:7], s[16:17], v[6:7]
	v_fma_f64 v[4:5], s[14:15], v[4:5], v[6:7]
	global_store_dwordx2 v[0:1], v[4:5], off offset:256
	global_load_dwordx2 v[4:5], v[12:13], off offset:384
	s_waitcnt vmcnt(0)
	v_mul_f64 v[4:5], s[16:17], v[4:5]
	v_fma_f64 v[2:3], s[14:15], v[2:3], v[4:5]
	global_store_dwordx2 v[0:1], v[2:3], off offset:384
.LBB286_7:
	s_endpgm
.LBB286_8:
	s_branch .LBB286_6
	.section	.rodata,"a",@progbits
	.p2align	6, 0x0
	.amdhsa_kernel _ZN12_GLOBAL__N_127rocblas_gemm_batched_kernelIdLi16ELi16ELi64ELi64ELi4ELi64ELi4ELi4ELi64ELc78ELc67EKdS1_dEEvlllT_PT11_llS4_llS2_PT12_llPT13_lli
		.amdhsa_group_segment_fixed_size 4096
		.amdhsa_private_segment_fixed_size 0
		.amdhsa_kernarg_size 140
		.amdhsa_user_sgpr_count 6
		.amdhsa_user_sgpr_private_segment_buffer 1
		.amdhsa_user_sgpr_dispatch_ptr 0
		.amdhsa_user_sgpr_queue_ptr 0
		.amdhsa_user_sgpr_kernarg_segment_ptr 1
		.amdhsa_user_sgpr_dispatch_id 0
		.amdhsa_user_sgpr_flat_scratch_init 0
		.amdhsa_user_sgpr_private_segment_size 0
		.amdhsa_wavefront_size32 1
		.amdhsa_uses_dynamic_stack 0
		.amdhsa_system_sgpr_private_segment_wavefront_offset 0
		.amdhsa_system_sgpr_workgroup_id_x 1
		.amdhsa_system_sgpr_workgroup_id_y 1
		.amdhsa_system_sgpr_workgroup_id_z 1
		.amdhsa_system_sgpr_workgroup_info 0
		.amdhsa_system_vgpr_workitem_id 1
		.amdhsa_next_free_vgpr 78
		.amdhsa_next_free_sgpr 30
		.amdhsa_reserve_vcc 1
		.amdhsa_reserve_flat_scratch 0
		.amdhsa_float_round_mode_32 0
		.amdhsa_float_round_mode_16_64 0
		.amdhsa_float_denorm_mode_32 3
		.amdhsa_float_denorm_mode_16_64 3
		.amdhsa_dx10_clamp 1
		.amdhsa_ieee_mode 1
		.amdhsa_fp16_overflow 0
		.amdhsa_workgroup_processor_mode 1
		.amdhsa_memory_ordered 1
		.amdhsa_forward_progress 1
		.amdhsa_shared_vgpr_count 0
		.amdhsa_exception_fp_ieee_invalid_op 0
		.amdhsa_exception_fp_denorm_src 0
		.amdhsa_exception_fp_ieee_div_zero 0
		.amdhsa_exception_fp_ieee_overflow 0
		.amdhsa_exception_fp_ieee_underflow 0
		.amdhsa_exception_fp_ieee_inexact 0
		.amdhsa_exception_int_div_zero 0
	.end_amdhsa_kernel
	.section	.text._ZN12_GLOBAL__N_127rocblas_gemm_batched_kernelIdLi16ELi16ELi64ELi64ELi4ELi64ELi4ELi4ELi64ELc78ELc67EKdS1_dEEvlllT_PT11_llS4_llS2_PT12_llPT13_lli,"axG",@progbits,_ZN12_GLOBAL__N_127rocblas_gemm_batched_kernelIdLi16ELi16ELi64ELi64ELi4ELi64ELi4ELi4ELi64ELc78ELc67EKdS1_dEEvlllT_PT11_llS4_llS2_PT12_llPT13_lli,comdat
.Lfunc_end286:
	.size	_ZN12_GLOBAL__N_127rocblas_gemm_batched_kernelIdLi16ELi16ELi64ELi64ELi4ELi64ELi4ELi4ELi64ELc78ELc67EKdS1_dEEvlllT_PT11_llS4_llS2_PT12_llPT13_lli, .Lfunc_end286-_ZN12_GLOBAL__N_127rocblas_gemm_batched_kernelIdLi16ELi16ELi64ELi64ELi4ELi64ELi4ELi4ELi64ELc78ELc67EKdS1_dEEvlllT_PT11_llS4_llS2_PT12_llPT13_lli
                                        ; -- End function
	.set _ZN12_GLOBAL__N_127rocblas_gemm_batched_kernelIdLi16ELi16ELi64ELi64ELi4ELi64ELi4ELi4ELi64ELc78ELc67EKdS1_dEEvlllT_PT11_llS4_llS2_PT12_llPT13_lli.num_vgpr, 78
	.set _ZN12_GLOBAL__N_127rocblas_gemm_batched_kernelIdLi16ELi16ELi64ELi64ELi4ELi64ELi4ELi4ELi64ELc78ELc67EKdS1_dEEvlllT_PT11_llS4_llS2_PT12_llPT13_lli.num_agpr, 0
	.set _ZN12_GLOBAL__N_127rocblas_gemm_batched_kernelIdLi16ELi16ELi64ELi64ELi4ELi64ELi4ELi4ELi64ELc78ELc67EKdS1_dEEvlllT_PT11_llS4_llS2_PT12_llPT13_lli.numbered_sgpr, 30
	.set _ZN12_GLOBAL__N_127rocblas_gemm_batched_kernelIdLi16ELi16ELi64ELi64ELi4ELi64ELi4ELi4ELi64ELc78ELc67EKdS1_dEEvlllT_PT11_llS4_llS2_PT12_llPT13_lli.num_named_barrier, 0
	.set _ZN12_GLOBAL__N_127rocblas_gemm_batched_kernelIdLi16ELi16ELi64ELi64ELi4ELi64ELi4ELi4ELi64ELc78ELc67EKdS1_dEEvlllT_PT11_llS4_llS2_PT12_llPT13_lli.private_seg_size, 0
	.set _ZN12_GLOBAL__N_127rocblas_gemm_batched_kernelIdLi16ELi16ELi64ELi64ELi4ELi64ELi4ELi4ELi64ELc78ELc67EKdS1_dEEvlllT_PT11_llS4_llS2_PT12_llPT13_lli.uses_vcc, 1
	.set _ZN12_GLOBAL__N_127rocblas_gemm_batched_kernelIdLi16ELi16ELi64ELi64ELi4ELi64ELi4ELi4ELi64ELc78ELc67EKdS1_dEEvlllT_PT11_llS4_llS2_PT12_llPT13_lli.uses_flat_scratch, 0
	.set _ZN12_GLOBAL__N_127rocblas_gemm_batched_kernelIdLi16ELi16ELi64ELi64ELi4ELi64ELi4ELi4ELi64ELc78ELc67EKdS1_dEEvlllT_PT11_llS4_llS2_PT12_llPT13_lli.has_dyn_sized_stack, 0
	.set _ZN12_GLOBAL__N_127rocblas_gemm_batched_kernelIdLi16ELi16ELi64ELi64ELi4ELi64ELi4ELi4ELi64ELc78ELc67EKdS1_dEEvlllT_PT11_llS4_llS2_PT12_llPT13_lli.has_recursion, 0
	.set _ZN12_GLOBAL__N_127rocblas_gemm_batched_kernelIdLi16ELi16ELi64ELi64ELi4ELi64ELi4ELi4ELi64ELc78ELc67EKdS1_dEEvlllT_PT11_llS4_llS2_PT12_llPT13_lli.has_indirect_call, 0
	.section	.AMDGPU.csdata,"",@progbits
; Kernel info:
; codeLenInByte = 2856
; TotalNumSgprs: 32
; NumVgprs: 78
; ScratchSize: 0
; MemoryBound: 0
; FloatMode: 240
; IeeeMode: 1
; LDSByteSize: 4096 bytes/workgroup (compile time only)
; SGPRBlocks: 0
; VGPRBlocks: 9
; NumSGPRsForWavesPerEU: 32
; NumVGPRsForWavesPerEU: 78
; Occupancy: 12
; WaveLimiterHint : 1
; COMPUTE_PGM_RSRC2:SCRATCH_EN: 0
; COMPUTE_PGM_RSRC2:USER_SGPR: 6
; COMPUTE_PGM_RSRC2:TRAP_HANDLER: 0
; COMPUTE_PGM_RSRC2:TGID_X_EN: 1
; COMPUTE_PGM_RSRC2:TGID_Y_EN: 1
; COMPUTE_PGM_RSRC2:TGID_Z_EN: 1
; COMPUTE_PGM_RSRC2:TIDIG_COMP_CNT: 1
	.section	.text._ZN12_GLOBAL__N_127rocblas_gemm_batched_kernelIdLi16ELi16ELi64ELi64ELi4ELi64ELi4ELi4ELi64ELc84ELc67EKdS1_dEEvlllT_PT11_llS4_llS2_PT12_llPT13_lli,"axG",@progbits,_ZN12_GLOBAL__N_127rocblas_gemm_batched_kernelIdLi16ELi16ELi64ELi64ELi4ELi64ELi4ELi4ELi64ELc84ELc67EKdS1_dEEvlllT_PT11_llS4_llS2_PT12_llPT13_lli,comdat
	.globl	_ZN12_GLOBAL__N_127rocblas_gemm_batched_kernelIdLi16ELi16ELi64ELi64ELi4ELi64ELi4ELi4ELi64ELc84ELc67EKdS1_dEEvlllT_PT11_llS4_llS2_PT12_llPT13_lli ; -- Begin function _ZN12_GLOBAL__N_127rocblas_gemm_batched_kernelIdLi16ELi16ELi64ELi64ELi4ELi64ELi4ELi4ELi64ELc84ELc67EKdS1_dEEvlllT_PT11_llS4_llS2_PT12_llPT13_lli
	.p2align	8
	.type	_ZN12_GLOBAL__N_127rocblas_gemm_batched_kernelIdLi16ELi16ELi64ELi64ELi4ELi64ELi4ELi4ELi64ELc84ELc67EKdS1_dEEvlllT_PT11_llS4_llS2_PT12_llPT13_lli,@function
_ZN12_GLOBAL__N_127rocblas_gemm_batched_kernelIdLi16ELi16ELi64ELi64ELi4ELi64ELi4ELi4ELi64ELc84ELc67EKdS1_dEEvlllT_PT11_llS4_llS2_PT12_llPT13_lli: ; @_ZN12_GLOBAL__N_127rocblas_gemm_batched_kernelIdLi16ELi16ELi64ELi64ELi4ELi64ELi4ELi4ELi64ELc84ELc67EKdS1_dEEvlllT_PT11_llS4_llS2_PT12_llPT13_lli
; %bb.0:
	s_load_dwordx16 s[12:27], s[4:5], 0x10
	s_mov_b32 s0, s7
	v_mov_b32_e32 v3, 0
	s_ashr_i32 s7, s6, 31
	s_ashr_i32 s1, s0, 31
	s_lshl_b64 s[10:11], s[6:7], 6
	s_lshl_b64 s[28:29], s[0:1], 6
	s_waitcnt lgkmcnt(0)
	v_cmp_lt_i64_e64 s2, s[12:13], 1
	s_and_b32 vcc_lo, exec_lo, s2
	s_cbranch_vccnz .LBB287_3
; %bb.1:
	v_lshl_add_u32 v5, v1, 4, v0
	v_and_b32_e32 v6, 3, v0
	s_mul_i32 s0, s27, s8
	s_mul_hi_u32 s1, s26, s8
	v_mov_b32_e32 v12, 0
	v_lshrrev_b32_e32 v2, 2, v5
	v_and_b32_e32 v7, 63, v5
	v_lshlrev_b32_e32 v8, 3, v6
	s_add_i32 s1, s1, s0
	v_lshrrev_b32_e32 v9, 6, v5
	v_mad_u64_u32 v[3:4], null, s24, v6, v[2:3]
	v_lshlrev_b32_e32 v5, 3, v7
	v_add_co_u32 v7, s0, s10, v7
	v_lshl_or_b32 v8, v2, 5, v8
	v_add_co_ci_u32_e64 v10, null, s11, 0, s0
	v_mov_b32_e32 v2, v4
	v_lshl_or_b32 v39, v9, 9, v5
	v_add_nc_u32_e32 v40, 0x800, v8
	v_mul_lo_u32 v8, s19, v7
	v_mul_lo_u32 v10, s18, v10
	v_mad_u64_u32 v[4:5], null, s25, v6, v[2:3]
	v_mad_u64_u32 v[5:6], null, s18, v7, 0
	s_mul_i32 s0, s26, s8
	v_add_co_u32 v2, vcc_lo, v3, s28
	s_lshl_b64 s[0:1], s[0:1], 3
	v_add_co_ci_u32_e64 v3, null, s29, v4, vcc_lo
	v_add3_u32 v6, v6, v10, v8
	s_add_u32 s2, s22, s0
	s_addc_u32 s3, s23, s1
	s_mul_i32 s0, s21, s8
	s_mul_hi_u32 s1, s20, s8
	v_lshlrev_b64 v[4:5], 3, v[5:6]
	s_add_i32 s1, s1, s0
	s_mul_i32 s0, s20, s8
	v_lshlrev_b64 v[2:3], 3, v[2:3]
	s_lshl_b64 s[0:1], s[0:1], 3
	v_lshlrev_b32_e32 v6, 3, v9
	v_add_co_u32 v4, vcc_lo, v4, s0
	v_add_co_ci_u32_e64 v5, null, s1, v5, vcc_lo
	v_add_co_u32 v34, vcc_lo, s2, v2
	v_add_co_ci_u32_e64 v35, null, s3, v3, vcc_lo
	;; [unrolled: 2-line block ×3, first 2 shown]
	v_mov_b32_e32 v2, 0
	v_add_co_u32 v36, vcc_lo, s16, v36
	v_mov_b32_e32 v4, 0
	v_mov_b32_e32 v6, 0
	;; [unrolled: 1-line block ×14, first 2 shown]
	v_lshlrev_b32_e32 v38, 3, v0
	v_lshl_add_u32 v41, v1, 5, 0x800
	v_mov_b32_e32 v3, 0
	v_mov_b32_e32 v5, 0
	;; [unrolled: 1-line block ×16, first 2 shown]
	v_add_co_ci_u32_e64 v37, null, s17, v37, vcc_lo
	s_lshl_b64 s[0:1], s[24:25], 5
	s_mov_b64 s[2:3], 0
.LBB287_2:                              ; =>This Inner Loop Header: Depth=1
	global_load_dwordx2 v[42:43], v[36:37], off
	global_load_dwordx2 v[44:45], v[34:35], off
	s_add_u32 s2, s2, 4
	s_addc_u32 s3, s3, 0
	v_add_co_u32 v34, vcc_lo, v34, s0
	v_cmp_lt_i64_e64 s6, s[2:3], s[12:13]
	v_add_co_ci_u32_e64 v35, null, s1, v35, vcc_lo
	v_add_co_u32 v36, vcc_lo, v36, 32
	v_add_co_ci_u32_e64 v37, null, 0, v37, vcc_lo
	s_and_b32 vcc_lo, exec_lo, s6
	s_waitcnt vmcnt(1)
	ds_write_b64 v39, v[42:43]
	s_waitcnt vmcnt(0)
	ds_write_b64 v40, v[44:45]
	s_waitcnt lgkmcnt(0)
	s_barrier
	buffer_gl0_inv
	ds_read_b128 v[42:45], v41
	ds_read2_b64 v[46:49], v38 offset1:16
	ds_read_b128 v[50:53], v41 offset:512
	ds_read_b128 v[54:57], v41 offset:16
	;; [unrolled: 1-line block ×3, first 2 shown]
	s_waitcnt lgkmcnt(3)
	v_fma_f64 v[74:75], v[48:49], v[42:43], v[30:31]
	s_waitcnt lgkmcnt(2)
	v_fma_f64 v[76:77], v[46:47], v[50:51], v[28:29]
	ds_read_b128 v[28:31], v41 offset:1024
	ds_read_b128 v[62:65], v41 offset:1040
	ds_read_b128 v[66:69], v41 offset:1536
	ds_read_b128 v[70:73], v41 offset:1552
	v_fma_f64 v[32:33], v[46:47], v[42:43], v[32:33]
	v_fma_f64 v[22:23], v[48:49], v[50:51], v[22:23]
	s_waitcnt lgkmcnt(3)
	v_fma_f64 v[18:19], v[46:47], v[28:29], v[18:19]
	v_fma_f64 v[14:15], v[48:49], v[28:29], v[14:15]
	s_waitcnt lgkmcnt(1)
	v_fma_f64 v[46:47], v[46:47], v[66:67], v[8:9]
	v_fma_f64 v[48:49], v[48:49], v[66:67], v[6:7]
	ds_read2_b64 v[6:9], v38 offset0:32 offset1:48
	s_waitcnt lgkmcnt(0)
	v_fma_f64 v[26:27], v[6:7], v[42:43], v[26:27]
	v_fma_f64 v[24:25], v[8:9], v[42:43], v[24:25]
	;; [unrolled: 1-line block ×8, first 2 shown]
	ds_read2_b64 v[2:5], v38 offset0:64 offset1:80
	ds_read2_b64 v[6:9], v38 offset0:96 offset1:112
	s_waitcnt lgkmcnt(1)
	v_fma_f64 v[32:33], v[2:3], v[44:45], v[32:33]
	v_fma_f64 v[50:51], v[4:5], v[44:45], v[74:75]
	s_waitcnt lgkmcnt(0)
	v_fma_f64 v[26:27], v[6:7], v[44:45], v[26:27]
	v_fma_f64 v[24:25], v[8:9], v[44:45], v[24:25]
	;; [unrolled: 1-line block ×10, first 2 shown]
	ds_read2_b64 v[2:5], v38 offset0:128 offset1:144
	v_fma_f64 v[20:21], v[6:7], v[52:53], v[20:21]
	v_fma_f64 v[16:17], v[8:9], v[52:53], v[16:17]
	v_fma_f64 v[6:7], v[6:7], v[68:69], v[28:29]
	v_fma_f64 v[8:9], v[8:9], v[68:69], v[42:43]
	s_waitcnt lgkmcnt(0)
	v_fma_f64 v[28:29], v[2:3], v[54:55], v[32:33]
	v_fma_f64 v[42:43], v[4:5], v[54:55], v[50:51]
	;; [unrolled: 1-line block ×8, first 2 shown]
	ds_read2_b64 v[2:5], v38 offset0:160 offset1:176
	s_waitcnt lgkmcnt(0)
	v_fma_f64 v[26:27], v[2:3], v[54:55], v[26:27]
	v_fma_f64 v[24:25], v[4:5], v[54:55], v[24:25]
	;; [unrolled: 1-line block ×8, first 2 shown]
	ds_read2_b64 v[2:5], v38 offset0:192 offset1:208
	s_waitcnt lgkmcnt(0)
	v_fma_f64 v[30:31], v[4:5], v[56:57], v[42:43]
	ds_read2_b64 v[42:45], v38 offset0:224 offset1:240
	v_fma_f64 v[32:33], v[2:3], v[56:57], v[28:29]
	v_fma_f64 v[28:29], v[2:3], v[60:61], v[48:49]
	;; [unrolled: 1-line block ×7, first 2 shown]
	s_waitcnt lgkmcnt(0)
	s_barrier
	buffer_gl0_inv
	v_fma_f64 v[26:27], v[42:43], v[56:57], v[26:27]
	v_fma_f64 v[24:25], v[44:45], v[56:57], v[24:25]
	;; [unrolled: 1-line block ×8, first 2 shown]
	s_cbranch_vccnz .LBB287_2
	s_branch .LBB287_4
.LBB287_3:
	v_mov_b32_e32 v32, 0
	v_mov_b32_e32 v30, 0
	;; [unrolled: 1-line block ×32, first 2 shown]
.LBB287_4:
	s_clause 0x1
	s_load_dwordx8 s[16:23], s[4:5], 0x50
	s_load_dwordx8 s[0:7], s[4:5], 0x70
	s_waitcnt lgkmcnt(0)
	v_cmp_neq_f64_e64 s6, s[16:17], 0
	s_mul_i32 s5, s5, s8
	s_mul_hi_u32 s7, s4, s8
	s_mul_i32 s4, s4, s8
	s_add_i32 s5, s7, s5
	v_add_co_u32 v34, s7, s28, v1
	v_add_co_ci_u32_e64 v37, null, s29, 0, s7
	v_add_co_u32 v0, s7, s10, v0
	v_add_co_ci_u32_e64 v1, null, s11, 0, s7
	v_mul_lo_u32 v35, v37, s2
	v_mul_lo_u32 v36, v34, s3
	s_lshl_b64 s[4:5], s[4:5], 3
	v_lshlrev_b64 v[0:1], 3, v[0:1]
	s_add_u32 s0, s0, s4
	s_addc_u32 s1, s1, s5
	s_and_b32 vcc_lo, exec_lo, s6
	s_cbranch_vccnz .LBB287_8
; %bb.5:
	v_mad_u64_u32 v[38:39], null, v34, s2, 0
	v_mul_f64 v[40:41], s[14:15], v[32:33]
	v_mul_f64 v[42:43], s[14:15], v[30:31]
	;; [unrolled: 1-line block ×6, first 2 shown]
	v_add3_u32 v39, v39, v36, v35
	v_mul_f64 v[52:53], s[14:15], v[20:21]
	s_lshl_b64 s[4:5], s[2:3], 7
	v_lshlrev_b64 v[38:39], 3, v[38:39]
	v_add_co_u32 v54, vcc_lo, s0, v38
	v_add_co_ci_u32_e64 v55, null, s1, v39, vcc_lo
	v_mul_f64 v[38:39], s[14:15], v[16:17]
	v_add_co_u32 v58, vcc_lo, v54, s4
	v_add_co_ci_u32_e64 v59, null, s5, v55, vcc_lo
	v_add_co_u32 v54, vcc_lo, v54, v0
	v_add_co_ci_u32_e64 v55, null, v55, v1, vcc_lo
	v_add_co_u32 v56, vcc_lo, v58, v0
	v_add_co_ci_u32_e64 v57, null, v59, v1, vcc_lo
	global_store_dwordx2 v[54:55], v[40:41], off
	global_store_dwordx2 v[54:55], v[42:43], off offset:128
	global_store_dwordx2 v[54:55], v[44:45], off offset:256
	;; [unrolled: 1-line block ×3, first 2 shown]
	global_store_dwordx2 v[56:57], v[48:49], off
	global_store_dwordx2 v[56:57], v[50:51], off offset:128
	global_store_dwordx2 v[56:57], v[52:53], off offset:256
	v_mul_f64 v[40:41], s[14:15], v[18:19]
	v_mul_f64 v[54:55], s[14:15], v[2:3]
	v_mul_f64 v[42:43], s[14:15], v[14:15]
	v_mul_f64 v[44:45], s[14:15], v[12:13]
	v_mul_f64 v[46:47], s[14:15], v[10:11]
	v_mul_f64 v[48:49], s[14:15], v[8:9]
	v_mul_f64 v[50:51], s[14:15], v[6:7]
	v_add_co_u32 v58, vcc_lo, v58, s4
	v_mul_f64 v[52:53], s[14:15], v[4:5]
	v_add_co_ci_u32_e64 v59, null, s5, v59, vcc_lo
	global_store_dwordx2 v[56:57], v[38:39], off offset:384
	v_add_co_u32 v56, vcc_lo, v58, s4
	v_add_co_ci_u32_e64 v57, null, s5, v59, vcc_lo
	v_add_co_u32 v38, vcc_lo, v58, v0
	v_add_co_ci_u32_e64 v39, null, v59, v1, vcc_lo
	;; [unrolled: 2-line block ×3, first 2 shown]
	global_store_dwordx2 v[38:39], v[40:41], off
	global_store_dwordx2 v[38:39], v[42:43], off offset:128
	global_store_dwordx2 v[38:39], v[44:45], off offset:256
	;; [unrolled: 1-line block ×3, first 2 shown]
	global_store_dwordx2 v[56:57], v[48:49], off
	global_store_dwordx2 v[56:57], v[50:51], off offset:128
	global_store_dwordx2 v[56:57], v[52:53], off offset:256
	;; [unrolled: 1-line block ×3, first 2 shown]
	s_cbranch_execnz .LBB287_7
.LBB287_6:
	v_mul_lo_u32 v39, v37, s20
	v_mul_lo_u32 v40, v34, s21
	v_mad_u64_u32 v[37:38], null, v34, s20, 0
	s_mul_i32 s5, s23, s8
	s_mul_hi_u32 s6, s22, s8
	s_mul_i32 s4, s22, s8
	s_add_i32 s5, s6, s5
	v_mad_u64_u32 v[41:42], null, v34, s2, 0
	v_add3_u32 v38, v38, v40, v39
	s_lshl_b64 s[4:5], s[4:5], 3
	s_add_u32 s4, s18, s4
	s_addc_u32 s5, s19, s5
	v_lshlrev_b64 v[37:38], 3, v[37:38]
	v_add3_u32 v42, v42, v36, v35
	s_lshl_b64 s[2:3], s[2:3], 7
	v_lshlrev_b64 v[34:35], 3, v[41:42]
	v_add_co_u32 v43, vcc_lo, s4, v37
	v_add_co_ci_u32_e64 v44, null, s5, v38, vcc_lo
	v_add_co_u32 v37, vcc_lo, v43, v0
	v_add_co_ci_u32_e64 v38, null, v44, v1, vcc_lo
	v_add_co_u32 v36, vcc_lo, s0, v34
	global_load_dwordx2 v[39:40], v[37:38], off
	s_waitcnt vmcnt(0)
	v_mul_f64 v[39:40], s[16:17], v[39:40]
	v_fma_f64 v[32:33], s[14:15], v[32:33], v[39:40]
	v_add_co_ci_u32_e64 v39, null, s1, v35, vcc_lo
	v_add_co_u32 v34, vcc_lo, v36, v0
	s_lshl_b64 s[0:1], s[20:21], 7
	v_add_co_ci_u32_e64 v35, null, v39, v1, vcc_lo
	global_store_dwordx2 v[34:35], v[32:33], off
	global_load_dwordx2 v[32:33], v[37:38], off offset:128
	s_waitcnt vmcnt(0)
	v_mul_f64 v[32:33], s[16:17], v[32:33]
	v_fma_f64 v[30:31], s[14:15], v[30:31], v[32:33]
	global_store_dwordx2 v[34:35], v[30:31], off offset:128
	global_load_dwordx2 v[30:31], v[37:38], off offset:256
	s_waitcnt vmcnt(0)
	v_mul_f64 v[30:31], s[16:17], v[30:31]
	v_fma_f64 v[26:27], s[14:15], v[26:27], v[30:31]
	v_add_co_u32 v30, vcc_lo, v43, s0
	v_add_co_ci_u32_e64 v31, null, s1, v44, vcc_lo
	global_store_dwordx2 v[34:35], v[26:27], off offset:256
	global_load_dwordx2 v[26:27], v[37:38], off offset:384
	s_waitcnt vmcnt(0)
	v_mul_f64 v[26:27], s[16:17], v[26:27]
	v_fma_f64 v[24:25], s[14:15], v[24:25], v[26:27]
	v_add_co_u32 v26, vcc_lo, v30, v0
	v_add_co_ci_u32_e64 v27, null, v31, v1, vcc_lo
	v_add_co_u32 v32, vcc_lo, v36, s2
	v_add_co_ci_u32_e64 v33, null, s3, v39, vcc_lo
	global_store_dwordx2 v[34:35], v[24:25], off offset:384
	global_load_dwordx2 v[24:25], v[26:27], off
	s_waitcnt vmcnt(0)
	v_mul_f64 v[24:25], s[16:17], v[24:25]
	v_fma_f64 v[24:25], s[14:15], v[28:29], v[24:25]
	v_add_co_u32 v28, vcc_lo, v32, v0
	v_add_co_ci_u32_e64 v29, null, v33, v1, vcc_lo
	global_store_dwordx2 v[28:29], v[24:25], off
	global_load_dwordx2 v[24:25], v[26:27], off offset:128
	s_waitcnt vmcnt(0)
	v_mul_f64 v[24:25], s[16:17], v[24:25]
	v_fma_f64 v[22:23], s[14:15], v[22:23], v[24:25]
	global_store_dwordx2 v[28:29], v[22:23], off offset:128
	global_load_dwordx2 v[22:23], v[26:27], off offset:256
	s_waitcnt vmcnt(0)
	v_mul_f64 v[22:23], s[16:17], v[22:23]
	v_fma_f64 v[20:21], s[14:15], v[20:21], v[22:23]
	v_add_co_u32 v22, vcc_lo, v30, s0
	v_add_co_ci_u32_e64 v23, null, s1, v31, vcc_lo
	global_store_dwordx2 v[28:29], v[20:21], off offset:256
	global_load_dwordx2 v[20:21], v[26:27], off offset:384
	s_waitcnt vmcnt(0)
	v_mul_f64 v[20:21], s[16:17], v[20:21]
	v_fma_f64 v[16:17], s[14:15], v[16:17], v[20:21]
	v_add_co_u32 v20, vcc_lo, v22, v0
	v_add_co_ci_u32_e64 v21, null, v23, v1, vcc_lo
	v_add_co_u32 v24, vcc_lo, v32, s2
	v_add_co_ci_u32_e64 v25, null, s3, v33, vcc_lo
	global_store_dwordx2 v[28:29], v[16:17], off offset:384
	global_load_dwordx2 v[16:17], v[20:21], off
	s_waitcnt vmcnt(0)
	v_mul_f64 v[16:17], s[16:17], v[16:17]
	v_fma_f64 v[16:17], s[14:15], v[18:19], v[16:17]
	v_add_co_u32 v18, vcc_lo, v24, v0
	v_add_co_ci_u32_e64 v19, null, v25, v1, vcc_lo
	global_store_dwordx2 v[18:19], v[16:17], off
	global_load_dwordx2 v[16:17], v[20:21], off offset:128
	s_waitcnt vmcnt(0)
	v_mul_f64 v[16:17], s[16:17], v[16:17]
	v_fma_f64 v[14:15], s[14:15], v[14:15], v[16:17]
	global_store_dwordx2 v[18:19], v[14:15], off offset:128
	global_load_dwordx2 v[14:15], v[20:21], off offset:256
	s_waitcnt vmcnt(0)
	v_mul_f64 v[14:15], s[16:17], v[14:15]
	v_fma_f64 v[12:13], s[14:15], v[12:13], v[14:15]
	global_store_dwordx2 v[18:19], v[12:13], off offset:256
	global_load_dwordx2 v[12:13], v[20:21], off offset:384
	s_waitcnt vmcnt(0)
	v_mul_f64 v[12:13], s[16:17], v[12:13]
	v_fma_f64 v[10:11], s[14:15], v[10:11], v[12:13]
	v_add_co_u32 v12, vcc_lo, v22, s0
	v_add_co_ci_u32_e64 v13, null, s1, v23, vcc_lo
	v_add_co_u32 v12, vcc_lo, v12, v0
	v_add_co_ci_u32_e64 v13, null, v13, v1, vcc_lo
	global_store_dwordx2 v[18:19], v[10:11], off offset:384
	global_load_dwordx2 v[10:11], v[12:13], off
	s_waitcnt vmcnt(0)
	v_mul_f64 v[10:11], s[16:17], v[10:11]
	v_fma_f64 v[8:9], s[14:15], v[8:9], v[10:11]
	v_add_co_u32 v10, vcc_lo, v24, s2
	v_add_co_ci_u32_e64 v11, null, s3, v25, vcc_lo
	v_add_co_u32 v0, vcc_lo, v10, v0
	v_add_co_ci_u32_e64 v1, null, v11, v1, vcc_lo
	global_store_dwordx2 v[0:1], v[8:9], off
	global_load_dwordx2 v[8:9], v[12:13], off offset:128
	s_waitcnt vmcnt(0)
	v_mul_f64 v[8:9], s[16:17], v[8:9]
	v_fma_f64 v[6:7], s[14:15], v[6:7], v[8:9]
	global_store_dwordx2 v[0:1], v[6:7], off offset:128
	global_load_dwordx2 v[6:7], v[12:13], off offset:256
	s_waitcnt vmcnt(0)
	v_mul_f64 v[6:7], s[16:17], v[6:7]
	v_fma_f64 v[4:5], s[14:15], v[4:5], v[6:7]
	global_store_dwordx2 v[0:1], v[4:5], off offset:256
	;; [unrolled: 5-line block ×3, first 2 shown]
.LBB287_7:
	s_endpgm
.LBB287_8:
	s_branch .LBB287_6
	.section	.rodata,"a",@progbits
	.p2align	6, 0x0
	.amdhsa_kernel _ZN12_GLOBAL__N_127rocblas_gemm_batched_kernelIdLi16ELi16ELi64ELi64ELi4ELi64ELi4ELi4ELi64ELc84ELc67EKdS1_dEEvlllT_PT11_llS4_llS2_PT12_llPT13_lli
		.amdhsa_group_segment_fixed_size 4096
		.amdhsa_private_segment_fixed_size 0
		.amdhsa_kernarg_size 140
		.amdhsa_user_sgpr_count 6
		.amdhsa_user_sgpr_private_segment_buffer 1
		.amdhsa_user_sgpr_dispatch_ptr 0
		.amdhsa_user_sgpr_queue_ptr 0
		.amdhsa_user_sgpr_kernarg_segment_ptr 1
		.amdhsa_user_sgpr_dispatch_id 0
		.amdhsa_user_sgpr_flat_scratch_init 0
		.amdhsa_user_sgpr_private_segment_size 0
		.amdhsa_wavefront_size32 1
		.amdhsa_uses_dynamic_stack 0
		.amdhsa_system_sgpr_private_segment_wavefront_offset 0
		.amdhsa_system_sgpr_workgroup_id_x 1
		.amdhsa_system_sgpr_workgroup_id_y 1
		.amdhsa_system_sgpr_workgroup_id_z 1
		.amdhsa_system_sgpr_workgroup_info 0
		.amdhsa_system_vgpr_workitem_id 1
		.amdhsa_next_free_vgpr 78
		.amdhsa_next_free_sgpr 30
		.amdhsa_reserve_vcc 1
		.amdhsa_reserve_flat_scratch 0
		.amdhsa_float_round_mode_32 0
		.amdhsa_float_round_mode_16_64 0
		.amdhsa_float_denorm_mode_32 3
		.amdhsa_float_denorm_mode_16_64 3
		.amdhsa_dx10_clamp 1
		.amdhsa_ieee_mode 1
		.amdhsa_fp16_overflow 0
		.amdhsa_workgroup_processor_mode 1
		.amdhsa_memory_ordered 1
		.amdhsa_forward_progress 1
		.amdhsa_shared_vgpr_count 0
		.amdhsa_exception_fp_ieee_invalid_op 0
		.amdhsa_exception_fp_denorm_src 0
		.amdhsa_exception_fp_ieee_div_zero 0
		.amdhsa_exception_fp_ieee_overflow 0
		.amdhsa_exception_fp_ieee_underflow 0
		.amdhsa_exception_fp_ieee_inexact 0
		.amdhsa_exception_int_div_zero 0
	.end_amdhsa_kernel
	.section	.text._ZN12_GLOBAL__N_127rocblas_gemm_batched_kernelIdLi16ELi16ELi64ELi64ELi4ELi64ELi4ELi4ELi64ELc84ELc67EKdS1_dEEvlllT_PT11_llS4_llS2_PT12_llPT13_lli,"axG",@progbits,_ZN12_GLOBAL__N_127rocblas_gemm_batched_kernelIdLi16ELi16ELi64ELi64ELi4ELi64ELi4ELi4ELi64ELc84ELc67EKdS1_dEEvlllT_PT11_llS4_llS2_PT12_llPT13_lli,comdat
.Lfunc_end287:
	.size	_ZN12_GLOBAL__N_127rocblas_gemm_batched_kernelIdLi16ELi16ELi64ELi64ELi4ELi64ELi4ELi4ELi64ELc84ELc67EKdS1_dEEvlllT_PT11_llS4_llS2_PT12_llPT13_lli, .Lfunc_end287-_ZN12_GLOBAL__N_127rocblas_gemm_batched_kernelIdLi16ELi16ELi64ELi64ELi4ELi64ELi4ELi4ELi64ELc84ELc67EKdS1_dEEvlllT_PT11_llS4_llS2_PT12_llPT13_lli
                                        ; -- End function
	.set _ZN12_GLOBAL__N_127rocblas_gemm_batched_kernelIdLi16ELi16ELi64ELi64ELi4ELi64ELi4ELi4ELi64ELc84ELc67EKdS1_dEEvlllT_PT11_llS4_llS2_PT12_llPT13_lli.num_vgpr, 78
	.set _ZN12_GLOBAL__N_127rocblas_gemm_batched_kernelIdLi16ELi16ELi64ELi64ELi4ELi64ELi4ELi4ELi64ELc84ELc67EKdS1_dEEvlllT_PT11_llS4_llS2_PT12_llPT13_lli.num_agpr, 0
	.set _ZN12_GLOBAL__N_127rocblas_gemm_batched_kernelIdLi16ELi16ELi64ELi64ELi4ELi64ELi4ELi4ELi64ELc84ELc67EKdS1_dEEvlllT_PT11_llS4_llS2_PT12_llPT13_lli.numbered_sgpr, 30
	.set _ZN12_GLOBAL__N_127rocblas_gemm_batched_kernelIdLi16ELi16ELi64ELi64ELi4ELi64ELi4ELi4ELi64ELc84ELc67EKdS1_dEEvlllT_PT11_llS4_llS2_PT12_llPT13_lli.num_named_barrier, 0
	.set _ZN12_GLOBAL__N_127rocblas_gemm_batched_kernelIdLi16ELi16ELi64ELi64ELi4ELi64ELi4ELi4ELi64ELc84ELc67EKdS1_dEEvlllT_PT11_llS4_llS2_PT12_llPT13_lli.private_seg_size, 0
	.set _ZN12_GLOBAL__N_127rocblas_gemm_batched_kernelIdLi16ELi16ELi64ELi64ELi4ELi64ELi4ELi4ELi64ELc84ELc67EKdS1_dEEvlllT_PT11_llS4_llS2_PT12_llPT13_lli.uses_vcc, 1
	.set _ZN12_GLOBAL__N_127rocblas_gemm_batched_kernelIdLi16ELi16ELi64ELi64ELi4ELi64ELi4ELi4ELi64ELc84ELc67EKdS1_dEEvlllT_PT11_llS4_llS2_PT12_llPT13_lli.uses_flat_scratch, 0
	.set _ZN12_GLOBAL__N_127rocblas_gemm_batched_kernelIdLi16ELi16ELi64ELi64ELi4ELi64ELi4ELi4ELi64ELc84ELc67EKdS1_dEEvlllT_PT11_llS4_llS2_PT12_llPT13_lli.has_dyn_sized_stack, 0
	.set _ZN12_GLOBAL__N_127rocblas_gemm_batched_kernelIdLi16ELi16ELi64ELi64ELi4ELi64ELi4ELi4ELi64ELc84ELc67EKdS1_dEEvlllT_PT11_llS4_llS2_PT12_llPT13_lli.has_recursion, 0
	.set _ZN12_GLOBAL__N_127rocblas_gemm_batched_kernelIdLi16ELi16ELi64ELi64ELi4ELi64ELi4ELi4ELi64ELc84ELc67EKdS1_dEEvlllT_PT11_llS4_llS2_PT12_llPT13_lli.has_indirect_call, 0
	.section	.AMDGPU.csdata,"",@progbits
; Kernel info:
; codeLenInByte = 2896
; TotalNumSgprs: 32
; NumVgprs: 78
; ScratchSize: 0
; MemoryBound: 0
; FloatMode: 240
; IeeeMode: 1
; LDSByteSize: 4096 bytes/workgroup (compile time only)
; SGPRBlocks: 0
; VGPRBlocks: 9
; NumSGPRsForWavesPerEU: 32
; NumVGPRsForWavesPerEU: 78
; Occupancy: 12
; WaveLimiterHint : 1
; COMPUTE_PGM_RSRC2:SCRATCH_EN: 0
; COMPUTE_PGM_RSRC2:USER_SGPR: 6
; COMPUTE_PGM_RSRC2:TRAP_HANDLER: 0
; COMPUTE_PGM_RSRC2:TGID_X_EN: 1
; COMPUTE_PGM_RSRC2:TGID_Y_EN: 1
; COMPUTE_PGM_RSRC2:TGID_Z_EN: 1
; COMPUTE_PGM_RSRC2:TIDIG_COMP_CNT: 1
	.section	.text._ZN12_GLOBAL__N_127rocblas_gemm_batched_kernelIdLi16ELi16ELi32ELi32ELi8ELi32ELi8ELi8ELi32ELc78ELc78EKdS1_dEEvlllT_PT11_llS4_llS2_PT12_llPT13_lli,"axG",@progbits,_ZN12_GLOBAL__N_127rocblas_gemm_batched_kernelIdLi16ELi16ELi32ELi32ELi8ELi32ELi8ELi8ELi32ELc78ELc78EKdS1_dEEvlllT_PT11_llS4_llS2_PT12_llPT13_lli,comdat
	.globl	_ZN12_GLOBAL__N_127rocblas_gemm_batched_kernelIdLi16ELi16ELi32ELi32ELi8ELi32ELi8ELi8ELi32ELc78ELc78EKdS1_dEEvlllT_PT11_llS4_llS2_PT12_llPT13_lli ; -- Begin function _ZN12_GLOBAL__N_127rocblas_gemm_batched_kernelIdLi16ELi16ELi32ELi32ELi8ELi32ELi8ELi8ELi32ELc78ELc78EKdS1_dEEvlllT_PT11_llS4_llS2_PT12_llPT13_lli
	.p2align	8
	.type	_ZN12_GLOBAL__N_127rocblas_gemm_batched_kernelIdLi16ELi16ELi32ELi32ELi8ELi32ELi8ELi8ELi32ELc78ELc78EKdS1_dEEvlllT_PT11_llS4_llS2_PT12_llPT13_lli,@function
_ZN12_GLOBAL__N_127rocblas_gemm_batched_kernelIdLi16ELi16ELi32ELi32ELi8ELi32ELi8ELi8ELi32ELc78ELc78EKdS1_dEEvlllT_PT11_llS4_llS2_PT12_llPT13_lli: ; @_ZN12_GLOBAL__N_127rocblas_gemm_batched_kernelIdLi16ELi16ELi32ELi32ELi8ELi32ELi8ELi8ELi32ELc78ELc78EKdS1_dEEvlllT_PT11_llS4_llS2_PT12_llPT13_lli
; %bb.0:
	s_load_dwordx16 s[12:27], s[4:5], 0x10
	s_mov_b32 s0, s7
	s_ashr_i32 s7, s6, 31
	s_ashr_i32 s1, s0, 31
	s_lshl_b64 s[10:11], s[6:7], 5
	s_lshl_b64 s[28:29], s[0:1], 5
	s_waitcnt lgkmcnt(0)
	v_cmp_lt_i64_e64 s2, s[12:13], 1
	s_and_b32 vcc_lo, exec_lo, s2
	s_cbranch_vccnz .LBB288_3
; %bb.1:
	v_lshl_add_u32 v4, v1, 4, v0
	v_and_b32_e32 v5, 7, v0
	s_mul_i32 s1, s27, s8
	s_mul_hi_u32 s2, s26, s8
	s_mul_i32 s3, s21, s8
	v_lshrrev_b32_e32 v6, 3, v4
	v_lshlrev_b32_e32 v11, 3, v5
	v_lshrrev_b32_e32 v9, 5, v4
	v_and_b32_e32 v10, 31, v4
	s_add_i32 s1, s2, s1
	v_add_co_u32 v2, s0, v6, s28
	v_add_co_ci_u32_e64 v3, null, 0, s29, s0
	v_lshl_or_b32 v6, v6, 6, v11
	v_mul_lo_u32 v7, s25, v2
	s_mul_i32 s0, s26, s8
	v_mul_lo_u32 v8, s24, v3
	v_mad_u64_u32 v[2:3], null, s24, v2, 0
	v_mad_u64_u32 v[4:5], null, s18, v9, s[10:11]
	s_lshl_b64 s[0:1], s[0:1], 3
	v_add_nc_u32_e32 v17, 0x800, v6
	s_mul_hi_u32 s6, s20, s8
	v_lshlrev_b32_e32 v14, 3, v0
	v_add3_u32 v3, v3, v8, v7
	v_lshlrev_b32_e32 v7, 3, v10
	v_lshl_add_u32 v15, v1, 6, 0x800
	v_lshlrev_b64 v[2:3], 3, v[2:3]
	v_lshl_or_b32 v16, v9, 8, v7
	v_add_co_u32 v6, vcc_lo, v2, s0
	v_add_co_ci_u32_e64 v7, null, s1, v3, vcc_lo
	s_add_i32 s1, s6, s3
	v_mad_u64_u32 v[2:3], null, s19, v9, v[5:6]
	v_add_co_u32 v5, vcc_lo, v6, v11
	v_add_co_ci_u32_e64 v6, null, 0, v7, vcc_lo
	v_add_co_u32 v3, vcc_lo, v4, v10
	v_add_co_ci_u32_e64 v4, null, 0, v2, vcc_lo
	s_mul_i32 s0, s20, s8
	v_add_co_u32 v10, vcc_lo, s22, v5
	v_lshlrev_b64 v[12:13], 3, v[3:4]
	s_lshl_b64 s[0:1], s[0:1], 3
	v_add_co_ci_u32_e64 v11, null, s23, v6, vcc_lo
	s_add_u32 s0, s16, s0
	s_addc_u32 s1, s17, s1
	v_add_co_u32 v12, vcc_lo, s0, v12
	v_mov_b32_e32 v2, 0
	v_mov_b32_e32 v4, 0
	;; [unrolled: 1-line block ×8, first 2 shown]
	v_add_co_ci_u32_e64 v13, null, s1, v13, vcc_lo
	s_lshl_b64 s[0:1], s[18:19], 6
	s_mov_b64 s[2:3], 0
.LBB288_2:                              ; =>This Inner Loop Header: Depth=1
	global_load_dwordx2 v[18:19], v[12:13], off
	global_load_dwordx2 v[20:21], v[10:11], off
	s_add_u32 s2, s2, 8
	s_addc_u32 s3, s3, 0
	v_add_co_u32 v10, vcc_lo, v10, 64
	v_cmp_lt_i64_e64 s6, s[2:3], s[12:13]
	v_add_co_ci_u32_e64 v11, null, 0, v11, vcc_lo
	v_add_co_u32 v12, vcc_lo, v12, s0
	v_add_co_ci_u32_e64 v13, null, s1, v13, vcc_lo
	s_and_b32 vcc_lo, exec_lo, s6
	s_waitcnt vmcnt(1)
	ds_write_b64 v16, v[18:19]
	s_waitcnt vmcnt(0)
	ds_write_b64 v17, v[20:21]
	s_waitcnt lgkmcnt(0)
	s_barrier
	buffer_gl0_inv
	ds_read_b128 v[18:21], v15
	ds_read2_b64 v[22:25], v14 offset1:16
	ds_read_b128 v[26:29], v15 offset:1024
	ds_read_b128 v[30:33], v15 offset:16
	;; [unrolled: 1-line block ×3, first 2 shown]
	s_waitcnt lgkmcnt(3)
	v_fma_f64 v[8:9], v[22:23], v[18:19], v[8:9]
	v_fma_f64 v[6:7], v[24:25], v[18:19], v[6:7]
	s_waitcnt lgkmcnt(2)
	v_fma_f64 v[18:19], v[22:23], v[26:27], v[4:5]
	v_fma_f64 v[22:23], v[24:25], v[26:27], v[2:3]
	ds_read2_b64 v[2:5], v14 offset0:32 offset1:48
	s_waitcnt lgkmcnt(0)
	v_fma_f64 v[8:9], v[2:3], v[20:21], v[8:9]
	v_fma_f64 v[6:7], v[4:5], v[20:21], v[6:7]
	;; [unrolled: 1-line block ×4, first 2 shown]
	ds_read2_b64 v[2:5], v14 offset0:64 offset1:80
	s_waitcnt lgkmcnt(0)
	v_fma_f64 v[22:23], v[2:3], v[30:31], v[8:9]
	v_fma_f64 v[24:25], v[4:5], v[30:31], v[6:7]
	v_fma_f64 v[26:27], v[2:3], v[34:35], v[18:19]
	v_fma_f64 v[28:29], v[4:5], v[34:35], v[20:21]
	ds_read2_b64 v[2:5], v14 offset0:96 offset1:112
	ds_read_b128 v[6:9], v15 offset:32
	ds_read2_b64 v[18:21], v14 offset0:128 offset1:144
	s_waitcnt lgkmcnt(2)
	v_fma_f64 v[30:31], v[2:3], v[32:33], v[22:23]
	v_fma_f64 v[32:33], v[4:5], v[32:33], v[24:25]
	;; [unrolled: 1-line block ×4, first 2 shown]
	ds_read_b128 v[2:5], v15 offset:1056
	ds_read_b128 v[22:25], v15 offset:48
	;; [unrolled: 1-line block ×3, first 2 shown]
	s_waitcnt lgkmcnt(3)
	v_fma_f64 v[30:31], v[18:19], v[6:7], v[30:31]
	v_fma_f64 v[6:7], v[20:21], v[6:7], v[32:33]
	s_waitcnt lgkmcnt(2)
	v_fma_f64 v[32:33], v[18:19], v[2:3], v[34:35]
	v_fma_f64 v[2:3], v[20:21], v[2:3], v[36:37]
	ds_read2_b64 v[18:21], v14 offset0:160 offset1:176
	s_waitcnt lgkmcnt(0)
	v_fma_f64 v[30:31], v[18:19], v[8:9], v[30:31]
	v_fma_f64 v[6:7], v[20:21], v[8:9], v[6:7]
	;; [unrolled: 1-line block ×4, first 2 shown]
	ds_read2_b64 v[2:5], v14 offset0:192 offset1:208
	s_waitcnt lgkmcnt(0)
	v_fma_f64 v[30:31], v[2:3], v[22:23], v[30:31]
	v_fma_f64 v[6:7], v[4:5], v[22:23], v[6:7]
	;; [unrolled: 1-line block ×4, first 2 shown]
	ds_read2_b64 v[18:21], v14 offset0:224 offset1:240
	s_waitcnt lgkmcnt(0)
	s_barrier
	buffer_gl0_inv
	v_fma_f64 v[8:9], v[18:19], v[24:25], v[30:31]
	v_fma_f64 v[6:7], v[20:21], v[24:25], v[6:7]
	;; [unrolled: 1-line block ×4, first 2 shown]
	s_cbranch_vccnz .LBB288_2
	s_branch .LBB288_4
.LBB288_3:
	v_mov_b32_e32 v8, 0
	v_mov_b32_e32 v6, 0
	;; [unrolled: 1-line block ×8, first 2 shown]
.LBB288_4:
	s_clause 0x1
	s_load_dwordx8 s[16:23], s[4:5], 0x50
	s_load_dwordx8 s[0:7], s[4:5], 0x70
	s_waitcnt lgkmcnt(0)
	v_cmp_neq_f64_e64 s6, s[16:17], 0
	s_mul_i32 s5, s5, s8
	s_mul_hi_u32 s7, s4, s8
	s_mul_i32 s4, s4, s8
	s_add_i32 s5, s7, s5
	v_add_co_u32 v10, s7, s28, v1
	v_add_co_ci_u32_e64 v13, null, s29, 0, s7
	v_add_co_u32 v0, s7, s10, v0
	v_add_co_ci_u32_e64 v1, null, s11, 0, s7
	v_mul_lo_u32 v11, v13, s2
	v_mul_lo_u32 v12, v10, s3
	s_lshl_b64 s[4:5], s[4:5], 3
	v_lshlrev_b64 v[0:1], 3, v[0:1]
	s_add_u32 s0, s0, s4
	s_addc_u32 s1, s1, s5
	s_and_b32 vcc_lo, exec_lo, s6
	s_cbranch_vccnz .LBB288_8
; %bb.5:
	v_mad_u64_u32 v[14:15], null, v10, s2, 0
	v_mul_f64 v[16:17], s[14:15], v[8:9]
	v_mul_f64 v[18:19], s[14:15], v[6:7]
	v_mul_f64 v[20:21], s[14:15], v[4:5]
	v_mul_f64 v[22:23], s[14:15], v[2:3]
	s_lshl_b64 s[4:5], s[2:3], 7
	v_add3_u32 v15, v15, v12, v11
	v_lshlrev_b64 v[14:15], 3, v[14:15]
	v_add_co_u32 v14, vcc_lo, s0, v14
	v_add_co_ci_u32_e64 v15, null, s1, v15, vcc_lo
	v_add_co_u32 v24, vcc_lo, v14, s4
	v_add_co_ci_u32_e64 v25, null, s5, v15, vcc_lo
	;; [unrolled: 2-line block ×4, first 2 shown]
	global_store_dwordx2 v[14:15], v[16:17], off
	global_store_dwordx2 v[14:15], v[18:19], off offset:128
	global_store_dwordx2 v[24:25], v[20:21], off
	global_store_dwordx2 v[24:25], v[22:23], off offset:128
	s_cbranch_execnz .LBB288_7
.LBB288_6:
	v_mul_lo_u32 v15, v13, s20
	v_mul_lo_u32 v16, v10, s21
	v_mad_u64_u32 v[13:14], null, v10, s20, 0
	s_mul_i32 s5, s23, s8
	s_mul_hi_u32 s6, s22, s8
	s_mul_i32 s4, s22, s8
	s_add_i32 s5, s6, s5
	v_mad_u64_u32 v[17:18], null, v10, s2, 0
	v_add3_u32 v14, v14, v16, v15
	s_lshl_b64 s[4:5], s[4:5], 3
	s_add_u32 s4, s18, s4
	s_addc_u32 s5, s19, s5
	v_lshlrev_b64 v[13:14], 3, v[13:14]
	v_add3_u32 v18, v18, v12, v11
	v_lshlrev_b64 v[10:11], 3, v[17:18]
	v_add_co_u32 v19, vcc_lo, s4, v13
	v_add_co_ci_u32_e64 v20, null, s5, v14, vcc_lo
	v_add_co_u32 v13, vcc_lo, v19, v0
	v_add_co_ci_u32_e64 v14, null, v20, v1, vcc_lo
	v_add_co_u32 v12, vcc_lo, s0, v10
	global_load_dwordx2 v[15:16], v[13:14], off
	s_waitcnt vmcnt(0)
	v_mul_f64 v[15:16], s[16:17], v[15:16]
	v_fma_f64 v[8:9], s[14:15], v[8:9], v[15:16]
	v_add_co_ci_u32_e64 v15, null, s1, v11, vcc_lo
	v_add_co_u32 v10, vcc_lo, v12, v0
	s_lshl_b64 s[0:1], s[20:21], 7
	v_add_co_ci_u32_e64 v11, null, v15, v1, vcc_lo
	global_store_dwordx2 v[10:11], v[8:9], off
	global_load_dwordx2 v[8:9], v[13:14], off offset:128
	s_waitcnt vmcnt(0)
	v_mul_f64 v[8:9], s[16:17], v[8:9]
	v_fma_f64 v[6:7], s[14:15], v[6:7], v[8:9]
	v_add_co_u32 v8, vcc_lo, v19, s0
	v_add_co_ci_u32_e64 v9, null, s1, v20, vcc_lo
	s_lshl_b64 s[0:1], s[2:3], 7
	v_add_co_u32 v8, vcc_lo, v8, v0
	v_add_co_ci_u32_e64 v9, null, v9, v1, vcc_lo
	global_store_dwordx2 v[10:11], v[6:7], off offset:128
	global_load_dwordx2 v[6:7], v[8:9], off
	s_waitcnt vmcnt(0)
	v_mul_f64 v[6:7], s[16:17], v[6:7]
	v_fma_f64 v[4:5], s[14:15], v[4:5], v[6:7]
	v_add_co_u32 v6, vcc_lo, v12, s0
	v_add_co_ci_u32_e64 v7, null, s1, v15, vcc_lo
	v_add_co_u32 v0, vcc_lo, v6, v0
	v_add_co_ci_u32_e64 v1, null, v7, v1, vcc_lo
	global_store_dwordx2 v[0:1], v[4:5], off
	global_load_dwordx2 v[4:5], v[8:9], off offset:128
	s_waitcnt vmcnt(0)
	v_mul_f64 v[4:5], s[16:17], v[4:5]
	v_fma_f64 v[2:3], s[14:15], v[2:3], v[4:5]
	global_store_dwordx2 v[0:1], v[2:3], off offset:128
.LBB288_7:
	s_endpgm
.LBB288_8:
	s_branch .LBB288_6
	.section	.rodata,"a",@progbits
	.p2align	6, 0x0
	.amdhsa_kernel _ZN12_GLOBAL__N_127rocblas_gemm_batched_kernelIdLi16ELi16ELi32ELi32ELi8ELi32ELi8ELi8ELi32ELc78ELc78EKdS1_dEEvlllT_PT11_llS4_llS2_PT12_llPT13_lli
		.amdhsa_group_segment_fixed_size 4096
		.amdhsa_private_segment_fixed_size 0
		.amdhsa_kernarg_size 140
		.amdhsa_user_sgpr_count 6
		.amdhsa_user_sgpr_private_segment_buffer 1
		.amdhsa_user_sgpr_dispatch_ptr 0
		.amdhsa_user_sgpr_queue_ptr 0
		.amdhsa_user_sgpr_kernarg_segment_ptr 1
		.amdhsa_user_sgpr_dispatch_id 0
		.amdhsa_user_sgpr_flat_scratch_init 0
		.amdhsa_user_sgpr_private_segment_size 0
		.amdhsa_wavefront_size32 1
		.amdhsa_uses_dynamic_stack 0
		.amdhsa_system_sgpr_private_segment_wavefront_offset 0
		.amdhsa_system_sgpr_workgroup_id_x 1
		.amdhsa_system_sgpr_workgroup_id_y 1
		.amdhsa_system_sgpr_workgroup_id_z 1
		.amdhsa_system_sgpr_workgroup_info 0
		.amdhsa_system_vgpr_workitem_id 1
		.amdhsa_next_free_vgpr 38
		.amdhsa_next_free_sgpr 30
		.amdhsa_reserve_vcc 1
		.amdhsa_reserve_flat_scratch 0
		.amdhsa_float_round_mode_32 0
		.amdhsa_float_round_mode_16_64 0
		.amdhsa_float_denorm_mode_32 3
		.amdhsa_float_denorm_mode_16_64 3
		.amdhsa_dx10_clamp 1
		.amdhsa_ieee_mode 1
		.amdhsa_fp16_overflow 0
		.amdhsa_workgroup_processor_mode 1
		.amdhsa_memory_ordered 1
		.amdhsa_forward_progress 1
		.amdhsa_shared_vgpr_count 0
		.amdhsa_exception_fp_ieee_invalid_op 0
		.amdhsa_exception_fp_denorm_src 0
		.amdhsa_exception_fp_ieee_div_zero 0
		.amdhsa_exception_fp_ieee_overflow 0
		.amdhsa_exception_fp_ieee_underflow 0
		.amdhsa_exception_fp_ieee_inexact 0
		.amdhsa_exception_int_div_zero 0
	.end_amdhsa_kernel
	.section	.text._ZN12_GLOBAL__N_127rocblas_gemm_batched_kernelIdLi16ELi16ELi32ELi32ELi8ELi32ELi8ELi8ELi32ELc78ELc78EKdS1_dEEvlllT_PT11_llS4_llS2_PT12_llPT13_lli,"axG",@progbits,_ZN12_GLOBAL__N_127rocblas_gemm_batched_kernelIdLi16ELi16ELi32ELi32ELi8ELi32ELi8ELi8ELi32ELc78ELc78EKdS1_dEEvlllT_PT11_llS4_llS2_PT12_llPT13_lli,comdat
.Lfunc_end288:
	.size	_ZN12_GLOBAL__N_127rocblas_gemm_batched_kernelIdLi16ELi16ELi32ELi32ELi8ELi32ELi8ELi8ELi32ELc78ELc78EKdS1_dEEvlllT_PT11_llS4_llS2_PT12_llPT13_lli, .Lfunc_end288-_ZN12_GLOBAL__N_127rocblas_gemm_batched_kernelIdLi16ELi16ELi32ELi32ELi8ELi32ELi8ELi8ELi32ELc78ELc78EKdS1_dEEvlllT_PT11_llS4_llS2_PT12_llPT13_lli
                                        ; -- End function
	.set _ZN12_GLOBAL__N_127rocblas_gemm_batched_kernelIdLi16ELi16ELi32ELi32ELi8ELi32ELi8ELi8ELi32ELc78ELc78EKdS1_dEEvlllT_PT11_llS4_llS2_PT12_llPT13_lli.num_vgpr, 38
	.set _ZN12_GLOBAL__N_127rocblas_gemm_batched_kernelIdLi16ELi16ELi32ELi32ELi8ELi32ELi8ELi8ELi32ELc78ELc78EKdS1_dEEvlllT_PT11_llS4_llS2_PT12_llPT13_lli.num_agpr, 0
	.set _ZN12_GLOBAL__N_127rocblas_gemm_batched_kernelIdLi16ELi16ELi32ELi32ELi8ELi32ELi8ELi8ELi32ELc78ELc78EKdS1_dEEvlllT_PT11_llS4_llS2_PT12_llPT13_lli.numbered_sgpr, 30
	.set _ZN12_GLOBAL__N_127rocblas_gemm_batched_kernelIdLi16ELi16ELi32ELi32ELi8ELi32ELi8ELi8ELi32ELc78ELc78EKdS1_dEEvlllT_PT11_llS4_llS2_PT12_llPT13_lli.num_named_barrier, 0
	.set _ZN12_GLOBAL__N_127rocblas_gemm_batched_kernelIdLi16ELi16ELi32ELi32ELi8ELi32ELi8ELi8ELi32ELc78ELc78EKdS1_dEEvlllT_PT11_llS4_llS2_PT12_llPT13_lli.private_seg_size, 0
	.set _ZN12_GLOBAL__N_127rocblas_gemm_batched_kernelIdLi16ELi16ELi32ELi32ELi8ELi32ELi8ELi8ELi32ELc78ELc78EKdS1_dEEvlllT_PT11_llS4_llS2_PT12_llPT13_lli.uses_vcc, 1
	.set _ZN12_GLOBAL__N_127rocblas_gemm_batched_kernelIdLi16ELi16ELi32ELi32ELi8ELi32ELi8ELi8ELi32ELc78ELc78EKdS1_dEEvlllT_PT11_llS4_llS2_PT12_llPT13_lli.uses_flat_scratch, 0
	.set _ZN12_GLOBAL__N_127rocblas_gemm_batched_kernelIdLi16ELi16ELi32ELi32ELi8ELi32ELi8ELi8ELi32ELc78ELc78EKdS1_dEEvlllT_PT11_llS4_llS2_PT12_llPT13_lli.has_dyn_sized_stack, 0
	.set _ZN12_GLOBAL__N_127rocblas_gemm_batched_kernelIdLi16ELi16ELi32ELi32ELi8ELi32ELi8ELi8ELi32ELc78ELc78EKdS1_dEEvlllT_PT11_llS4_llS2_PT12_llPT13_lli.has_recursion, 0
	.set _ZN12_GLOBAL__N_127rocblas_gemm_batched_kernelIdLi16ELi16ELi32ELi32ELi8ELi32ELi8ELi8ELi32ELc78ELc78EKdS1_dEEvlllT_PT11_llS4_llS2_PT12_llPT13_lli.has_indirect_call, 0
	.section	.AMDGPU.csdata,"",@progbits
; Kernel info:
; codeLenInByte = 1616
; TotalNumSgprs: 32
; NumVgprs: 38
; ScratchSize: 0
; MemoryBound: 0
; FloatMode: 240
; IeeeMode: 1
; LDSByteSize: 4096 bytes/workgroup (compile time only)
; SGPRBlocks: 0
; VGPRBlocks: 4
; NumSGPRsForWavesPerEU: 32
; NumVGPRsForWavesPerEU: 38
; Occupancy: 16
; WaveLimiterHint : 1
; COMPUTE_PGM_RSRC2:SCRATCH_EN: 0
; COMPUTE_PGM_RSRC2:USER_SGPR: 6
; COMPUTE_PGM_RSRC2:TRAP_HANDLER: 0
; COMPUTE_PGM_RSRC2:TGID_X_EN: 1
; COMPUTE_PGM_RSRC2:TGID_Y_EN: 1
; COMPUTE_PGM_RSRC2:TGID_Z_EN: 1
; COMPUTE_PGM_RSRC2:TIDIG_COMP_CNT: 1
	.section	.text._ZN12_GLOBAL__N_127rocblas_gemm_batched_kernelIdLi16ELi16ELi32ELi32ELi8ELi32ELi8ELi8ELi32ELc84ELc78EKdS1_dEEvlllT_PT11_llS4_llS2_PT12_llPT13_lli,"axG",@progbits,_ZN12_GLOBAL__N_127rocblas_gemm_batched_kernelIdLi16ELi16ELi32ELi32ELi8ELi32ELi8ELi8ELi32ELc84ELc78EKdS1_dEEvlllT_PT11_llS4_llS2_PT12_llPT13_lli,comdat
	.globl	_ZN12_GLOBAL__N_127rocblas_gemm_batched_kernelIdLi16ELi16ELi32ELi32ELi8ELi32ELi8ELi8ELi32ELc84ELc78EKdS1_dEEvlllT_PT11_llS4_llS2_PT12_llPT13_lli ; -- Begin function _ZN12_GLOBAL__N_127rocblas_gemm_batched_kernelIdLi16ELi16ELi32ELi32ELi8ELi32ELi8ELi8ELi32ELc84ELc78EKdS1_dEEvlllT_PT11_llS4_llS2_PT12_llPT13_lli
	.p2align	8
	.type	_ZN12_GLOBAL__N_127rocblas_gemm_batched_kernelIdLi16ELi16ELi32ELi32ELi8ELi32ELi8ELi8ELi32ELc84ELc78EKdS1_dEEvlllT_PT11_llS4_llS2_PT12_llPT13_lli,@function
_ZN12_GLOBAL__N_127rocblas_gemm_batched_kernelIdLi16ELi16ELi32ELi32ELi8ELi32ELi8ELi8ELi32ELc84ELc78EKdS1_dEEvlllT_PT11_llS4_llS2_PT12_llPT13_lli: ; @_ZN12_GLOBAL__N_127rocblas_gemm_batched_kernelIdLi16ELi16ELi32ELi32ELi8ELi32ELi8ELi8ELi32ELc84ELc78EKdS1_dEEvlllT_PT11_llS4_llS2_PT12_llPT13_lli
; %bb.0:
	s_load_dwordx16 s[12:27], s[4:5], 0x10
	s_mov_b32 s0, s7
	s_ashr_i32 s7, s6, 31
	s_ashr_i32 s1, s0, 31
	s_lshl_b64 s[10:11], s[6:7], 5
	s_lshl_b64 s[28:29], s[0:1], 5
	s_waitcnt lgkmcnt(0)
	v_cmp_lt_i64_e64 s2, s[12:13], 1
	s_and_b32 vcc_lo, exec_lo, s2
	s_cbranch_vccnz .LBB289_3
; %bb.1:
	v_lshl_add_u32 v2, v1, 4, v0
	v_and_b32_e32 v3, 7, v0
	s_mul_hi_u32 s1, s26, s8
	v_lshlrev_b32_e32 v14, 3, v0
	v_lshl_add_u32 v17, v1, 6, 0x800
	v_lshrrev_b32_e32 v4, 3, v2
	v_and_b32_e32 v5, 31, v2
	v_lshlrev_b32_e32 v9, 3, v3
	v_lshrrev_b32_e32 v8, 5, v2
	v_add_co_u32 v6, s0, v4, s28
	v_add_co_ci_u32_e64 v7, null, 0, s29, s0
	v_lshlrev_b32_e32 v10, 3, v5
	v_mul_lo_u32 v11, s25, v6
	v_mad_u64_u32 v[2:3], null, s24, v6, 0
	v_mul_lo_u32 v7, s24, v7
	v_add_co_u32 v5, s0, s10, v5
	v_lshl_or_b32 v4, v4, 6, v9
	v_add_co_ci_u32_e64 v6, null, s11, 0, s0
	s_mul_i32 s0, s27, s8
	v_lshl_or_b32 v15, v8, 8, v10
	v_add_nc_u32_e32 v16, 0x800, v4
	v_add3_u32 v3, v3, v7, v11
	v_mul_lo_u32 v7, s19, v5
	v_mul_lo_u32 v6, s18, v6
	v_mad_u64_u32 v[4:5], null, s18, v5, 0
	v_lshlrev_b64 v[2:3], 3, v[2:3]
	s_add_i32 s1, s1, s0
	s_mul_i32 s0, s26, s8
	s_lshl_b64 s[0:1], s[0:1], 3
	v_add3_u32 v5, v5, v6, v7
	v_add_co_u32 v6, vcc_lo, v2, s0
	v_add_co_ci_u32_e64 v7, null, s1, v3, vcc_lo
	s_mul_i32 s0, s21, s8
	s_mul_hi_u32 s1, s20, s8
	v_lshlrev_b64 v[2:3], 3, v[4:5]
	s_add_i32 s1, s1, s0
	s_mul_i32 s0, s20, s8
	v_add_co_u32 v4, vcc_lo, v6, v9
	s_lshl_b64 s[0:1], s[0:1], 3
	v_add_co_ci_u32_e64 v5, null, 0, v7, vcc_lo
	v_add_co_u32 v2, vcc_lo, v2, s0
	v_lshlrev_b32_e32 v6, 3, v8
	v_add_co_ci_u32_e64 v3, null, s1, v3, vcc_lo
	v_add_co_u32 v10, vcc_lo, s22, v4
	v_add_co_ci_u32_e64 v11, null, s23, v5, vcc_lo
	v_add_co_u32 v12, vcc_lo, v2, v6
	v_add_co_ci_u32_e64 v13, null, 0, v3, vcc_lo
	v_mov_b32_e32 v2, 0
	v_add_co_u32 v12, vcc_lo, s16, v12
	v_mov_b32_e32 v4, 0
	v_mov_b32_e32 v6, 0
	;; [unrolled: 1-line block ×7, first 2 shown]
	v_add_co_ci_u32_e64 v13, null, s17, v13, vcc_lo
	s_mov_b64 s[0:1], 0
.LBB289_2:                              ; =>This Inner Loop Header: Depth=1
	global_load_dwordx2 v[18:19], v[12:13], off
	global_load_dwordx2 v[20:21], v[10:11], off
	s_add_u32 s0, s0, 8
	s_addc_u32 s1, s1, 0
	v_add_co_u32 v10, vcc_lo, v10, 64
	v_cmp_lt_i64_e64 s2, s[0:1], s[12:13]
	v_add_co_ci_u32_e64 v11, null, 0, v11, vcc_lo
	v_add_co_u32 v12, vcc_lo, v12, 64
	v_add_co_ci_u32_e64 v13, null, 0, v13, vcc_lo
	s_and_b32 vcc_lo, exec_lo, s2
	s_waitcnt vmcnt(1)
	ds_write_b64 v15, v[18:19]
	s_waitcnt vmcnt(0)
	ds_write_b64 v16, v[20:21]
	s_waitcnt lgkmcnt(0)
	s_barrier
	buffer_gl0_inv
	ds_read_b128 v[18:21], v17
	ds_read2_b64 v[22:25], v14 offset1:16
	ds_read_b128 v[26:29], v17 offset:1024
	ds_read_b128 v[30:33], v17 offset:16
	;; [unrolled: 1-line block ×3, first 2 shown]
	s_waitcnt lgkmcnt(3)
	v_fma_f64 v[8:9], v[22:23], v[18:19], v[8:9]
	v_fma_f64 v[6:7], v[24:25], v[18:19], v[6:7]
	s_waitcnt lgkmcnt(2)
	v_fma_f64 v[18:19], v[22:23], v[26:27], v[4:5]
	v_fma_f64 v[22:23], v[24:25], v[26:27], v[2:3]
	ds_read2_b64 v[2:5], v14 offset0:32 offset1:48
	s_waitcnt lgkmcnt(0)
	v_fma_f64 v[8:9], v[2:3], v[20:21], v[8:9]
	v_fma_f64 v[6:7], v[4:5], v[20:21], v[6:7]
	;; [unrolled: 1-line block ×4, first 2 shown]
	ds_read2_b64 v[2:5], v14 offset0:64 offset1:80
	s_waitcnt lgkmcnt(0)
	v_fma_f64 v[22:23], v[2:3], v[30:31], v[8:9]
	v_fma_f64 v[24:25], v[4:5], v[30:31], v[6:7]
	;; [unrolled: 1-line block ×4, first 2 shown]
	ds_read2_b64 v[2:5], v14 offset0:96 offset1:112
	ds_read_b128 v[6:9], v17 offset:32
	ds_read2_b64 v[18:21], v14 offset0:128 offset1:144
	s_waitcnt lgkmcnt(2)
	v_fma_f64 v[30:31], v[2:3], v[32:33], v[22:23]
	v_fma_f64 v[32:33], v[4:5], v[32:33], v[24:25]
	;; [unrolled: 1-line block ×4, first 2 shown]
	ds_read_b128 v[2:5], v17 offset:1056
	ds_read_b128 v[22:25], v17 offset:48
	;; [unrolled: 1-line block ×3, first 2 shown]
	s_waitcnt lgkmcnt(3)
	v_fma_f64 v[30:31], v[18:19], v[6:7], v[30:31]
	v_fma_f64 v[6:7], v[20:21], v[6:7], v[32:33]
	s_waitcnt lgkmcnt(2)
	v_fma_f64 v[32:33], v[18:19], v[2:3], v[34:35]
	v_fma_f64 v[2:3], v[20:21], v[2:3], v[36:37]
	ds_read2_b64 v[18:21], v14 offset0:160 offset1:176
	s_waitcnt lgkmcnt(0)
	v_fma_f64 v[30:31], v[18:19], v[8:9], v[30:31]
	v_fma_f64 v[6:7], v[20:21], v[8:9], v[6:7]
	;; [unrolled: 1-line block ×4, first 2 shown]
	ds_read2_b64 v[2:5], v14 offset0:192 offset1:208
	s_waitcnt lgkmcnt(0)
	v_fma_f64 v[30:31], v[2:3], v[22:23], v[30:31]
	v_fma_f64 v[6:7], v[4:5], v[22:23], v[6:7]
	;; [unrolled: 1-line block ×4, first 2 shown]
	ds_read2_b64 v[18:21], v14 offset0:224 offset1:240
	s_waitcnt lgkmcnt(0)
	s_barrier
	buffer_gl0_inv
	v_fma_f64 v[8:9], v[18:19], v[24:25], v[30:31]
	v_fma_f64 v[6:7], v[20:21], v[24:25], v[6:7]
	;; [unrolled: 1-line block ×4, first 2 shown]
	s_cbranch_vccnz .LBB289_2
	s_branch .LBB289_4
.LBB289_3:
	v_mov_b32_e32 v8, 0
	v_mov_b32_e32 v6, 0
	;; [unrolled: 1-line block ×8, first 2 shown]
.LBB289_4:
	s_clause 0x1
	s_load_dwordx8 s[16:23], s[4:5], 0x50
	s_load_dwordx8 s[0:7], s[4:5], 0x70
	s_waitcnt lgkmcnt(0)
	v_cmp_neq_f64_e64 s6, s[16:17], 0
	s_mul_i32 s5, s5, s8
	s_mul_hi_u32 s7, s4, s8
	s_mul_i32 s4, s4, s8
	s_add_i32 s5, s7, s5
	v_add_co_u32 v10, s7, s28, v1
	v_add_co_ci_u32_e64 v13, null, s29, 0, s7
	v_add_co_u32 v0, s7, s10, v0
	v_add_co_ci_u32_e64 v1, null, s11, 0, s7
	v_mul_lo_u32 v11, v13, s2
	v_mul_lo_u32 v12, v10, s3
	s_lshl_b64 s[4:5], s[4:5], 3
	v_lshlrev_b64 v[0:1], 3, v[0:1]
	s_add_u32 s0, s0, s4
	s_addc_u32 s1, s1, s5
	s_and_b32 vcc_lo, exec_lo, s6
	s_cbranch_vccnz .LBB289_8
; %bb.5:
	v_mad_u64_u32 v[14:15], null, v10, s2, 0
	v_mul_f64 v[16:17], s[14:15], v[8:9]
	v_mul_f64 v[18:19], s[14:15], v[6:7]
	;; [unrolled: 1-line block ×4, first 2 shown]
	s_lshl_b64 s[4:5], s[2:3], 7
	v_add3_u32 v15, v15, v12, v11
	v_lshlrev_b64 v[14:15], 3, v[14:15]
	v_add_co_u32 v14, vcc_lo, s0, v14
	v_add_co_ci_u32_e64 v15, null, s1, v15, vcc_lo
	v_add_co_u32 v24, vcc_lo, v14, s4
	v_add_co_ci_u32_e64 v25, null, s5, v15, vcc_lo
	;; [unrolled: 2-line block ×4, first 2 shown]
	global_store_dwordx2 v[14:15], v[16:17], off
	global_store_dwordx2 v[14:15], v[18:19], off offset:128
	global_store_dwordx2 v[24:25], v[20:21], off
	global_store_dwordx2 v[24:25], v[22:23], off offset:128
	s_cbranch_execnz .LBB289_7
.LBB289_6:
	v_mul_lo_u32 v15, v13, s20
	v_mul_lo_u32 v16, v10, s21
	v_mad_u64_u32 v[13:14], null, v10, s20, 0
	s_mul_i32 s5, s23, s8
	s_mul_hi_u32 s6, s22, s8
	s_mul_i32 s4, s22, s8
	s_add_i32 s5, s6, s5
	v_mad_u64_u32 v[17:18], null, v10, s2, 0
	v_add3_u32 v14, v14, v16, v15
	s_lshl_b64 s[4:5], s[4:5], 3
	s_add_u32 s4, s18, s4
	s_addc_u32 s5, s19, s5
	v_lshlrev_b64 v[13:14], 3, v[13:14]
	v_add3_u32 v18, v18, v12, v11
	v_lshlrev_b64 v[10:11], 3, v[17:18]
	v_add_co_u32 v19, vcc_lo, s4, v13
	v_add_co_ci_u32_e64 v20, null, s5, v14, vcc_lo
	v_add_co_u32 v13, vcc_lo, v19, v0
	v_add_co_ci_u32_e64 v14, null, v20, v1, vcc_lo
	v_add_co_u32 v12, vcc_lo, s0, v10
	global_load_dwordx2 v[15:16], v[13:14], off
	s_waitcnt vmcnt(0)
	v_mul_f64 v[15:16], s[16:17], v[15:16]
	v_fma_f64 v[8:9], s[14:15], v[8:9], v[15:16]
	v_add_co_ci_u32_e64 v15, null, s1, v11, vcc_lo
	v_add_co_u32 v10, vcc_lo, v12, v0
	s_lshl_b64 s[0:1], s[20:21], 7
	v_add_co_ci_u32_e64 v11, null, v15, v1, vcc_lo
	global_store_dwordx2 v[10:11], v[8:9], off
	global_load_dwordx2 v[8:9], v[13:14], off offset:128
	s_waitcnt vmcnt(0)
	v_mul_f64 v[8:9], s[16:17], v[8:9]
	v_fma_f64 v[6:7], s[14:15], v[6:7], v[8:9]
	v_add_co_u32 v8, vcc_lo, v19, s0
	v_add_co_ci_u32_e64 v9, null, s1, v20, vcc_lo
	s_lshl_b64 s[0:1], s[2:3], 7
	v_add_co_u32 v8, vcc_lo, v8, v0
	v_add_co_ci_u32_e64 v9, null, v9, v1, vcc_lo
	global_store_dwordx2 v[10:11], v[6:7], off offset:128
	global_load_dwordx2 v[6:7], v[8:9], off
	s_waitcnt vmcnt(0)
	v_mul_f64 v[6:7], s[16:17], v[6:7]
	v_fma_f64 v[4:5], s[14:15], v[4:5], v[6:7]
	v_add_co_u32 v6, vcc_lo, v12, s0
	v_add_co_ci_u32_e64 v7, null, s1, v15, vcc_lo
	v_add_co_u32 v0, vcc_lo, v6, v0
	v_add_co_ci_u32_e64 v1, null, v7, v1, vcc_lo
	global_store_dwordx2 v[0:1], v[4:5], off
	global_load_dwordx2 v[4:5], v[8:9], off offset:128
	s_waitcnt vmcnt(0)
	v_mul_f64 v[4:5], s[16:17], v[4:5]
	v_fma_f64 v[2:3], s[14:15], v[2:3], v[4:5]
	global_store_dwordx2 v[0:1], v[2:3], off offset:128
.LBB289_7:
	s_endpgm
.LBB289_8:
	s_branch .LBB289_6
	.section	.rodata,"a",@progbits
	.p2align	6, 0x0
	.amdhsa_kernel _ZN12_GLOBAL__N_127rocblas_gemm_batched_kernelIdLi16ELi16ELi32ELi32ELi8ELi32ELi8ELi8ELi32ELc84ELc78EKdS1_dEEvlllT_PT11_llS4_llS2_PT12_llPT13_lli
		.amdhsa_group_segment_fixed_size 4096
		.amdhsa_private_segment_fixed_size 0
		.amdhsa_kernarg_size 140
		.amdhsa_user_sgpr_count 6
		.amdhsa_user_sgpr_private_segment_buffer 1
		.amdhsa_user_sgpr_dispatch_ptr 0
		.amdhsa_user_sgpr_queue_ptr 0
		.amdhsa_user_sgpr_kernarg_segment_ptr 1
		.amdhsa_user_sgpr_dispatch_id 0
		.amdhsa_user_sgpr_flat_scratch_init 0
		.amdhsa_user_sgpr_private_segment_size 0
		.amdhsa_wavefront_size32 1
		.amdhsa_uses_dynamic_stack 0
		.amdhsa_system_sgpr_private_segment_wavefront_offset 0
		.amdhsa_system_sgpr_workgroup_id_x 1
		.amdhsa_system_sgpr_workgroup_id_y 1
		.amdhsa_system_sgpr_workgroup_id_z 1
		.amdhsa_system_sgpr_workgroup_info 0
		.amdhsa_system_vgpr_workitem_id 1
		.amdhsa_next_free_vgpr 38
		.amdhsa_next_free_sgpr 30
		.amdhsa_reserve_vcc 1
		.amdhsa_reserve_flat_scratch 0
		.amdhsa_float_round_mode_32 0
		.amdhsa_float_round_mode_16_64 0
		.amdhsa_float_denorm_mode_32 3
		.amdhsa_float_denorm_mode_16_64 3
		.amdhsa_dx10_clamp 1
		.amdhsa_ieee_mode 1
		.amdhsa_fp16_overflow 0
		.amdhsa_workgroup_processor_mode 1
		.amdhsa_memory_ordered 1
		.amdhsa_forward_progress 1
		.amdhsa_shared_vgpr_count 0
		.amdhsa_exception_fp_ieee_invalid_op 0
		.amdhsa_exception_fp_denorm_src 0
		.amdhsa_exception_fp_ieee_div_zero 0
		.amdhsa_exception_fp_ieee_overflow 0
		.amdhsa_exception_fp_ieee_underflow 0
		.amdhsa_exception_fp_ieee_inexact 0
		.amdhsa_exception_int_div_zero 0
	.end_amdhsa_kernel
	.section	.text._ZN12_GLOBAL__N_127rocblas_gemm_batched_kernelIdLi16ELi16ELi32ELi32ELi8ELi32ELi8ELi8ELi32ELc84ELc78EKdS1_dEEvlllT_PT11_llS4_llS2_PT12_llPT13_lli,"axG",@progbits,_ZN12_GLOBAL__N_127rocblas_gemm_batched_kernelIdLi16ELi16ELi32ELi32ELi8ELi32ELi8ELi8ELi32ELc84ELc78EKdS1_dEEvlllT_PT11_llS4_llS2_PT12_llPT13_lli,comdat
.Lfunc_end289:
	.size	_ZN12_GLOBAL__N_127rocblas_gemm_batched_kernelIdLi16ELi16ELi32ELi32ELi8ELi32ELi8ELi8ELi32ELc84ELc78EKdS1_dEEvlllT_PT11_llS4_llS2_PT12_llPT13_lli, .Lfunc_end289-_ZN12_GLOBAL__N_127rocblas_gemm_batched_kernelIdLi16ELi16ELi32ELi32ELi8ELi32ELi8ELi8ELi32ELc84ELc78EKdS1_dEEvlllT_PT11_llS4_llS2_PT12_llPT13_lli
                                        ; -- End function
	.set _ZN12_GLOBAL__N_127rocblas_gemm_batched_kernelIdLi16ELi16ELi32ELi32ELi8ELi32ELi8ELi8ELi32ELc84ELc78EKdS1_dEEvlllT_PT11_llS4_llS2_PT12_llPT13_lli.num_vgpr, 38
	.set _ZN12_GLOBAL__N_127rocblas_gemm_batched_kernelIdLi16ELi16ELi32ELi32ELi8ELi32ELi8ELi8ELi32ELc84ELc78EKdS1_dEEvlllT_PT11_llS4_llS2_PT12_llPT13_lli.num_agpr, 0
	.set _ZN12_GLOBAL__N_127rocblas_gemm_batched_kernelIdLi16ELi16ELi32ELi32ELi8ELi32ELi8ELi8ELi32ELc84ELc78EKdS1_dEEvlllT_PT11_llS4_llS2_PT12_llPT13_lli.numbered_sgpr, 30
	.set _ZN12_GLOBAL__N_127rocblas_gemm_batched_kernelIdLi16ELi16ELi32ELi32ELi8ELi32ELi8ELi8ELi32ELc84ELc78EKdS1_dEEvlllT_PT11_llS4_llS2_PT12_llPT13_lli.num_named_barrier, 0
	.set _ZN12_GLOBAL__N_127rocblas_gemm_batched_kernelIdLi16ELi16ELi32ELi32ELi8ELi32ELi8ELi8ELi32ELc84ELc78EKdS1_dEEvlllT_PT11_llS4_llS2_PT12_llPT13_lli.private_seg_size, 0
	.set _ZN12_GLOBAL__N_127rocblas_gemm_batched_kernelIdLi16ELi16ELi32ELi32ELi8ELi32ELi8ELi8ELi32ELc84ELc78EKdS1_dEEvlllT_PT11_llS4_llS2_PT12_llPT13_lli.uses_vcc, 1
	.set _ZN12_GLOBAL__N_127rocblas_gemm_batched_kernelIdLi16ELi16ELi32ELi32ELi8ELi32ELi8ELi8ELi32ELc84ELc78EKdS1_dEEvlllT_PT11_llS4_llS2_PT12_llPT13_lli.uses_flat_scratch, 0
	.set _ZN12_GLOBAL__N_127rocblas_gemm_batched_kernelIdLi16ELi16ELi32ELi32ELi8ELi32ELi8ELi8ELi32ELc84ELc78EKdS1_dEEvlllT_PT11_llS4_llS2_PT12_llPT13_lli.has_dyn_sized_stack, 0
	.set _ZN12_GLOBAL__N_127rocblas_gemm_batched_kernelIdLi16ELi16ELi32ELi32ELi8ELi32ELi8ELi8ELi32ELc84ELc78EKdS1_dEEvlllT_PT11_llS4_llS2_PT12_llPT13_lli.has_recursion, 0
	.set _ZN12_GLOBAL__N_127rocblas_gemm_batched_kernelIdLi16ELi16ELi32ELi32ELi8ELi32ELi8ELi8ELi32ELc84ELc78EKdS1_dEEvlllT_PT11_llS4_llS2_PT12_llPT13_lli.has_indirect_call, 0
	.section	.AMDGPU.csdata,"",@progbits
; Kernel info:
; codeLenInByte = 1656
; TotalNumSgprs: 32
; NumVgprs: 38
; ScratchSize: 0
; MemoryBound: 0
; FloatMode: 240
; IeeeMode: 1
; LDSByteSize: 4096 bytes/workgroup (compile time only)
; SGPRBlocks: 0
; VGPRBlocks: 4
; NumSGPRsForWavesPerEU: 32
; NumVGPRsForWavesPerEU: 38
; Occupancy: 16
; WaveLimiterHint : 1
; COMPUTE_PGM_RSRC2:SCRATCH_EN: 0
; COMPUTE_PGM_RSRC2:USER_SGPR: 6
; COMPUTE_PGM_RSRC2:TRAP_HANDLER: 0
; COMPUTE_PGM_RSRC2:TGID_X_EN: 1
; COMPUTE_PGM_RSRC2:TGID_Y_EN: 1
; COMPUTE_PGM_RSRC2:TGID_Z_EN: 1
; COMPUTE_PGM_RSRC2:TIDIG_COMP_CNT: 1
	.section	.text._ZN12_GLOBAL__N_127rocblas_gemm_batched_kernelIdLi16ELi16ELi32ELi32ELi8ELi32ELi8ELi8ELi32ELc78ELc84EKdS1_dEEvlllT_PT11_llS4_llS2_PT12_llPT13_lli,"axG",@progbits,_ZN12_GLOBAL__N_127rocblas_gemm_batched_kernelIdLi16ELi16ELi32ELi32ELi8ELi32ELi8ELi8ELi32ELc78ELc84EKdS1_dEEvlllT_PT11_llS4_llS2_PT12_llPT13_lli,comdat
	.globl	_ZN12_GLOBAL__N_127rocblas_gemm_batched_kernelIdLi16ELi16ELi32ELi32ELi8ELi32ELi8ELi8ELi32ELc78ELc84EKdS1_dEEvlllT_PT11_llS4_llS2_PT12_llPT13_lli ; -- Begin function _ZN12_GLOBAL__N_127rocblas_gemm_batched_kernelIdLi16ELi16ELi32ELi32ELi8ELi32ELi8ELi8ELi32ELc78ELc84EKdS1_dEEvlllT_PT11_llS4_llS2_PT12_llPT13_lli
	.p2align	8
	.type	_ZN12_GLOBAL__N_127rocblas_gemm_batched_kernelIdLi16ELi16ELi32ELi32ELi8ELi32ELi8ELi8ELi32ELc78ELc84EKdS1_dEEvlllT_PT11_llS4_llS2_PT12_llPT13_lli,@function
_ZN12_GLOBAL__N_127rocblas_gemm_batched_kernelIdLi16ELi16ELi32ELi32ELi8ELi32ELi8ELi8ELi32ELc78ELc84EKdS1_dEEvlllT_PT11_llS4_llS2_PT12_llPT13_lli: ; @_ZN12_GLOBAL__N_127rocblas_gemm_batched_kernelIdLi16ELi16ELi32ELi32ELi8ELi32ELi8ELi8ELi32ELc78ELc84EKdS1_dEEvlllT_PT11_llS4_llS2_PT12_llPT13_lli
; %bb.0:
	s_load_dwordx16 s[12:27], s[4:5], 0x10
	s_mov_b32 s0, s7
	v_mov_b32_e32 v3, 0
	s_ashr_i32 s7, s6, 31
	s_ashr_i32 s1, s0, 31
	s_lshl_b64 s[10:11], s[6:7], 5
	s_lshl_b64 s[28:29], s[0:1], 5
	s_waitcnt lgkmcnt(0)
	v_cmp_lt_i64_e64 s2, s[12:13], 1
	s_and_b32 vcc_lo, exec_lo, s2
	s_cbranch_vccnz .LBB290_3
; %bb.1:
	v_lshl_add_u32 v5, v1, 4, v0
	v_and_b32_e32 v6, 7, v0
	s_mul_i32 s1, s27, s8
	s_mul_hi_u32 s2, s26, s8
	s_mul_i32 s0, s26, s8
	v_lshrrev_b32_e32 v2, 3, v5
	v_and_b32_e32 v8, 31, v5
	v_lshrrev_b32_e32 v7, 5, v5
	v_lshlrev_b32_e32 v9, 3, v6
	s_add_i32 s1, s2, s1
	v_mad_u64_u32 v[3:4], null, s24, v6, v[2:3]
	v_lshlrev_b32_e32 v10, 3, v8
	v_lshl_or_b32 v9, v2, 6, v9
	s_lshl_b64 s[0:1], s[0:1], 3
	s_mul_i32 s3, s21, s8
	s_add_u32 s0, s22, s0
	v_lshl_or_b32 v16, v7, 8, v10
	v_mad_u64_u32 v[4:5], null, s25, v6, v[4:5]
	v_mad_u64_u32 v[5:6], null, s18, v7, s[10:11]
	v_add_co_u32 v3, vcc_lo, v3, s28
	s_addc_u32 s1, s23, s1
	s_mul_hi_u32 s6, s20, s8
	v_add_co_ci_u32_e64 v4, null, s29, v4, vcc_lo
	v_mov_b32_e32 v2, v6
	s_add_i32 s3, s6, s3
	s_mul_i32 s2, s20, s8
	v_lshlrev_b64 v[3:4], 3, v[3:4]
	s_lshl_b64 s[2:3], s[2:3], 3
	v_add_nc_u32_e32 v17, 0x800, v9
	v_lshlrev_b32_e32 v14, 3, v0
	v_lshl_add_u32 v15, v1, 6, 0x800
	s_mov_b64 s[6:7], 0
	v_mad_u64_u32 v[6:7], null, s19, v7, v[2:3]
	v_add_co_u32 v10, vcc_lo, s0, v3
	v_add_co_ci_u32_e64 v11, null, s1, v4, vcc_lo
	v_add_co_u32 v2, vcc_lo, v5, v8
	v_add_co_ci_u32_e64 v3, null, 0, v6, vcc_lo
	s_lshl_b64 s[0:1], s[24:25], 6
	s_add_u32 s2, s16, s2
	s_addc_u32 s3, s17, s3
	v_lshlrev_b64 v[12:13], 3, v[2:3]
	v_mov_b32_e32 v2, 0
	v_mov_b32_e32 v4, 0
	;; [unrolled: 1-line block ×5, first 2 shown]
	v_add_co_u32 v12, vcc_lo, s2, v12
	v_mov_b32_e32 v5, 0
	v_mov_b32_e32 v7, 0
	;; [unrolled: 1-line block ×3, first 2 shown]
	v_add_co_ci_u32_e64 v13, null, s3, v13, vcc_lo
	s_lshl_b64 s[2:3], s[18:19], 6
.LBB290_2:                              ; =>This Inner Loop Header: Depth=1
	global_load_dwordx2 v[18:19], v[12:13], off
	global_load_dwordx2 v[20:21], v[10:11], off
	s_add_u32 s6, s6, 8
	s_addc_u32 s7, s7, 0
	v_add_co_u32 v10, vcc_lo, v10, s0
	v_cmp_lt_i64_e64 s9, s[6:7], s[12:13]
	v_add_co_ci_u32_e64 v11, null, s1, v11, vcc_lo
	v_add_co_u32 v12, vcc_lo, v12, s2
	v_add_co_ci_u32_e64 v13, null, s3, v13, vcc_lo
	s_and_b32 vcc_lo, exec_lo, s9
	s_waitcnt vmcnt(1)
	ds_write_b64 v16, v[18:19]
	s_waitcnt vmcnt(0)
	ds_write_b64 v17, v[20:21]
	s_waitcnt lgkmcnt(0)
	s_barrier
	buffer_gl0_inv
	ds_read_b128 v[18:21], v15
	ds_read2_b64 v[22:25], v14 offset1:16
	ds_read_b128 v[26:29], v15 offset:1024
	ds_read_b128 v[30:33], v15 offset:16
	;; [unrolled: 1-line block ×3, first 2 shown]
	s_waitcnt lgkmcnt(3)
	v_fma_f64 v[8:9], v[22:23], v[18:19], v[8:9]
	v_fma_f64 v[6:7], v[24:25], v[18:19], v[6:7]
	s_waitcnt lgkmcnt(2)
	v_fma_f64 v[18:19], v[22:23], v[26:27], v[4:5]
	v_fma_f64 v[22:23], v[24:25], v[26:27], v[2:3]
	ds_read2_b64 v[2:5], v14 offset0:32 offset1:48
	s_waitcnt lgkmcnt(0)
	v_fma_f64 v[8:9], v[2:3], v[20:21], v[8:9]
	v_fma_f64 v[6:7], v[4:5], v[20:21], v[6:7]
	v_fma_f64 v[18:19], v[2:3], v[28:29], v[18:19]
	v_fma_f64 v[20:21], v[4:5], v[28:29], v[22:23]
	ds_read2_b64 v[2:5], v14 offset0:64 offset1:80
	s_waitcnt lgkmcnt(0)
	v_fma_f64 v[22:23], v[2:3], v[30:31], v[8:9]
	v_fma_f64 v[24:25], v[4:5], v[30:31], v[6:7]
	;; [unrolled: 1-line block ×4, first 2 shown]
	ds_read2_b64 v[2:5], v14 offset0:96 offset1:112
	ds_read_b128 v[6:9], v15 offset:32
	ds_read2_b64 v[18:21], v14 offset0:128 offset1:144
	s_waitcnt lgkmcnt(2)
	v_fma_f64 v[30:31], v[2:3], v[32:33], v[22:23]
	v_fma_f64 v[32:33], v[4:5], v[32:33], v[24:25]
	;; [unrolled: 1-line block ×4, first 2 shown]
	ds_read_b128 v[2:5], v15 offset:1056
	ds_read_b128 v[22:25], v15 offset:48
	;; [unrolled: 1-line block ×3, first 2 shown]
	s_waitcnt lgkmcnt(3)
	v_fma_f64 v[30:31], v[18:19], v[6:7], v[30:31]
	v_fma_f64 v[6:7], v[20:21], v[6:7], v[32:33]
	s_waitcnt lgkmcnt(2)
	v_fma_f64 v[32:33], v[18:19], v[2:3], v[34:35]
	v_fma_f64 v[2:3], v[20:21], v[2:3], v[36:37]
	ds_read2_b64 v[18:21], v14 offset0:160 offset1:176
	s_waitcnt lgkmcnt(0)
	v_fma_f64 v[30:31], v[18:19], v[8:9], v[30:31]
	v_fma_f64 v[6:7], v[20:21], v[8:9], v[6:7]
	;; [unrolled: 1-line block ×4, first 2 shown]
	ds_read2_b64 v[2:5], v14 offset0:192 offset1:208
	s_waitcnt lgkmcnt(0)
	v_fma_f64 v[30:31], v[2:3], v[22:23], v[30:31]
	v_fma_f64 v[6:7], v[4:5], v[22:23], v[6:7]
	;; [unrolled: 1-line block ×4, first 2 shown]
	ds_read2_b64 v[18:21], v14 offset0:224 offset1:240
	s_waitcnt lgkmcnt(0)
	s_barrier
	buffer_gl0_inv
	v_fma_f64 v[8:9], v[18:19], v[24:25], v[30:31]
	v_fma_f64 v[6:7], v[20:21], v[24:25], v[6:7]
	v_fma_f64 v[4:5], v[18:19], v[28:29], v[2:3]
	v_fma_f64 v[2:3], v[20:21], v[28:29], v[22:23]
	s_cbranch_vccnz .LBB290_2
	s_branch .LBB290_4
.LBB290_3:
	v_mov_b32_e32 v8, 0
	v_mov_b32_e32 v6, 0
	;; [unrolled: 1-line block ×8, first 2 shown]
.LBB290_4:
	s_clause 0x1
	s_load_dwordx8 s[16:23], s[4:5], 0x50
	s_load_dwordx8 s[0:7], s[4:5], 0x70
	s_waitcnt lgkmcnt(0)
	v_cmp_neq_f64_e64 s6, s[16:17], 0
	s_mul_i32 s5, s5, s8
	s_mul_hi_u32 s7, s4, s8
	s_mul_i32 s4, s4, s8
	s_add_i32 s5, s7, s5
	v_add_co_u32 v10, s7, s28, v1
	v_add_co_ci_u32_e64 v13, null, s29, 0, s7
	v_add_co_u32 v0, s7, s10, v0
	v_add_co_ci_u32_e64 v1, null, s11, 0, s7
	v_mul_lo_u32 v11, v13, s2
	v_mul_lo_u32 v12, v10, s3
	s_lshl_b64 s[4:5], s[4:5], 3
	v_lshlrev_b64 v[0:1], 3, v[0:1]
	s_add_u32 s0, s0, s4
	s_addc_u32 s1, s1, s5
	s_and_b32 vcc_lo, exec_lo, s6
	s_cbranch_vccnz .LBB290_8
; %bb.5:
	v_mad_u64_u32 v[14:15], null, v10, s2, 0
	v_mul_f64 v[16:17], s[14:15], v[8:9]
	v_mul_f64 v[18:19], s[14:15], v[6:7]
	;; [unrolled: 1-line block ×4, first 2 shown]
	s_lshl_b64 s[4:5], s[2:3], 7
	v_add3_u32 v15, v15, v12, v11
	v_lshlrev_b64 v[14:15], 3, v[14:15]
	v_add_co_u32 v14, vcc_lo, s0, v14
	v_add_co_ci_u32_e64 v15, null, s1, v15, vcc_lo
	v_add_co_u32 v24, vcc_lo, v14, s4
	v_add_co_ci_u32_e64 v25, null, s5, v15, vcc_lo
	;; [unrolled: 2-line block ×4, first 2 shown]
	global_store_dwordx2 v[14:15], v[16:17], off
	global_store_dwordx2 v[14:15], v[18:19], off offset:128
	global_store_dwordx2 v[24:25], v[20:21], off
	global_store_dwordx2 v[24:25], v[22:23], off offset:128
	s_cbranch_execnz .LBB290_7
.LBB290_6:
	v_mul_lo_u32 v15, v13, s20
	v_mul_lo_u32 v16, v10, s21
	v_mad_u64_u32 v[13:14], null, v10, s20, 0
	s_mul_i32 s5, s23, s8
	s_mul_hi_u32 s6, s22, s8
	s_mul_i32 s4, s22, s8
	s_add_i32 s5, s6, s5
	v_mad_u64_u32 v[17:18], null, v10, s2, 0
	v_add3_u32 v14, v14, v16, v15
	s_lshl_b64 s[4:5], s[4:5], 3
	s_add_u32 s4, s18, s4
	s_addc_u32 s5, s19, s5
	v_lshlrev_b64 v[13:14], 3, v[13:14]
	v_add3_u32 v18, v18, v12, v11
	v_lshlrev_b64 v[10:11], 3, v[17:18]
	v_add_co_u32 v19, vcc_lo, s4, v13
	v_add_co_ci_u32_e64 v20, null, s5, v14, vcc_lo
	v_add_co_u32 v13, vcc_lo, v19, v0
	v_add_co_ci_u32_e64 v14, null, v20, v1, vcc_lo
	v_add_co_u32 v12, vcc_lo, s0, v10
	global_load_dwordx2 v[15:16], v[13:14], off
	s_waitcnt vmcnt(0)
	v_mul_f64 v[15:16], s[16:17], v[15:16]
	v_fma_f64 v[8:9], s[14:15], v[8:9], v[15:16]
	v_add_co_ci_u32_e64 v15, null, s1, v11, vcc_lo
	v_add_co_u32 v10, vcc_lo, v12, v0
	s_lshl_b64 s[0:1], s[20:21], 7
	v_add_co_ci_u32_e64 v11, null, v15, v1, vcc_lo
	global_store_dwordx2 v[10:11], v[8:9], off
	global_load_dwordx2 v[8:9], v[13:14], off offset:128
	s_waitcnt vmcnt(0)
	v_mul_f64 v[8:9], s[16:17], v[8:9]
	v_fma_f64 v[6:7], s[14:15], v[6:7], v[8:9]
	v_add_co_u32 v8, vcc_lo, v19, s0
	v_add_co_ci_u32_e64 v9, null, s1, v20, vcc_lo
	s_lshl_b64 s[0:1], s[2:3], 7
	v_add_co_u32 v8, vcc_lo, v8, v0
	v_add_co_ci_u32_e64 v9, null, v9, v1, vcc_lo
	global_store_dwordx2 v[10:11], v[6:7], off offset:128
	global_load_dwordx2 v[6:7], v[8:9], off
	s_waitcnt vmcnt(0)
	v_mul_f64 v[6:7], s[16:17], v[6:7]
	v_fma_f64 v[4:5], s[14:15], v[4:5], v[6:7]
	v_add_co_u32 v6, vcc_lo, v12, s0
	v_add_co_ci_u32_e64 v7, null, s1, v15, vcc_lo
	v_add_co_u32 v0, vcc_lo, v6, v0
	v_add_co_ci_u32_e64 v1, null, v7, v1, vcc_lo
	global_store_dwordx2 v[0:1], v[4:5], off
	global_load_dwordx2 v[4:5], v[8:9], off offset:128
	s_waitcnt vmcnt(0)
	v_mul_f64 v[4:5], s[16:17], v[4:5]
	v_fma_f64 v[2:3], s[14:15], v[2:3], v[4:5]
	global_store_dwordx2 v[0:1], v[2:3], off offset:128
.LBB290_7:
	s_endpgm
.LBB290_8:
	s_branch .LBB290_6
	.section	.rodata,"a",@progbits
	.p2align	6, 0x0
	.amdhsa_kernel _ZN12_GLOBAL__N_127rocblas_gemm_batched_kernelIdLi16ELi16ELi32ELi32ELi8ELi32ELi8ELi8ELi32ELc78ELc84EKdS1_dEEvlllT_PT11_llS4_llS2_PT12_llPT13_lli
		.amdhsa_group_segment_fixed_size 4096
		.amdhsa_private_segment_fixed_size 0
		.amdhsa_kernarg_size 140
		.amdhsa_user_sgpr_count 6
		.amdhsa_user_sgpr_private_segment_buffer 1
		.amdhsa_user_sgpr_dispatch_ptr 0
		.amdhsa_user_sgpr_queue_ptr 0
		.amdhsa_user_sgpr_kernarg_segment_ptr 1
		.amdhsa_user_sgpr_dispatch_id 0
		.amdhsa_user_sgpr_flat_scratch_init 0
		.amdhsa_user_sgpr_private_segment_size 0
		.amdhsa_wavefront_size32 1
		.amdhsa_uses_dynamic_stack 0
		.amdhsa_system_sgpr_private_segment_wavefront_offset 0
		.amdhsa_system_sgpr_workgroup_id_x 1
		.amdhsa_system_sgpr_workgroup_id_y 1
		.amdhsa_system_sgpr_workgroup_id_z 1
		.amdhsa_system_sgpr_workgroup_info 0
		.amdhsa_system_vgpr_workitem_id 1
		.amdhsa_next_free_vgpr 38
		.amdhsa_next_free_sgpr 30
		.amdhsa_reserve_vcc 1
		.amdhsa_reserve_flat_scratch 0
		.amdhsa_float_round_mode_32 0
		.amdhsa_float_round_mode_16_64 0
		.amdhsa_float_denorm_mode_32 3
		.amdhsa_float_denorm_mode_16_64 3
		.amdhsa_dx10_clamp 1
		.amdhsa_ieee_mode 1
		.amdhsa_fp16_overflow 0
		.amdhsa_workgroup_processor_mode 1
		.amdhsa_memory_ordered 1
		.amdhsa_forward_progress 1
		.amdhsa_shared_vgpr_count 0
		.amdhsa_exception_fp_ieee_invalid_op 0
		.amdhsa_exception_fp_denorm_src 0
		.amdhsa_exception_fp_ieee_div_zero 0
		.amdhsa_exception_fp_ieee_overflow 0
		.amdhsa_exception_fp_ieee_underflow 0
		.amdhsa_exception_fp_ieee_inexact 0
		.amdhsa_exception_int_div_zero 0
	.end_amdhsa_kernel
	.section	.text._ZN12_GLOBAL__N_127rocblas_gemm_batched_kernelIdLi16ELi16ELi32ELi32ELi8ELi32ELi8ELi8ELi32ELc78ELc84EKdS1_dEEvlllT_PT11_llS4_llS2_PT12_llPT13_lli,"axG",@progbits,_ZN12_GLOBAL__N_127rocblas_gemm_batched_kernelIdLi16ELi16ELi32ELi32ELi8ELi32ELi8ELi8ELi32ELc78ELc84EKdS1_dEEvlllT_PT11_llS4_llS2_PT12_llPT13_lli,comdat
.Lfunc_end290:
	.size	_ZN12_GLOBAL__N_127rocblas_gemm_batched_kernelIdLi16ELi16ELi32ELi32ELi8ELi32ELi8ELi8ELi32ELc78ELc84EKdS1_dEEvlllT_PT11_llS4_llS2_PT12_llPT13_lli, .Lfunc_end290-_ZN12_GLOBAL__N_127rocblas_gemm_batched_kernelIdLi16ELi16ELi32ELi32ELi8ELi32ELi8ELi8ELi32ELc78ELc84EKdS1_dEEvlllT_PT11_llS4_llS2_PT12_llPT13_lli
                                        ; -- End function
	.set _ZN12_GLOBAL__N_127rocblas_gemm_batched_kernelIdLi16ELi16ELi32ELi32ELi8ELi32ELi8ELi8ELi32ELc78ELc84EKdS1_dEEvlllT_PT11_llS4_llS2_PT12_llPT13_lli.num_vgpr, 38
	.set _ZN12_GLOBAL__N_127rocblas_gemm_batched_kernelIdLi16ELi16ELi32ELi32ELi8ELi32ELi8ELi8ELi32ELc78ELc84EKdS1_dEEvlllT_PT11_llS4_llS2_PT12_llPT13_lli.num_agpr, 0
	.set _ZN12_GLOBAL__N_127rocblas_gemm_batched_kernelIdLi16ELi16ELi32ELi32ELi8ELi32ELi8ELi8ELi32ELc78ELc84EKdS1_dEEvlllT_PT11_llS4_llS2_PT12_llPT13_lli.numbered_sgpr, 30
	.set _ZN12_GLOBAL__N_127rocblas_gemm_batched_kernelIdLi16ELi16ELi32ELi32ELi8ELi32ELi8ELi8ELi32ELc78ELc84EKdS1_dEEvlllT_PT11_llS4_llS2_PT12_llPT13_lli.num_named_barrier, 0
	.set _ZN12_GLOBAL__N_127rocblas_gemm_batched_kernelIdLi16ELi16ELi32ELi32ELi8ELi32ELi8ELi8ELi32ELc78ELc84EKdS1_dEEvlllT_PT11_llS4_llS2_PT12_llPT13_lli.private_seg_size, 0
	.set _ZN12_GLOBAL__N_127rocblas_gemm_batched_kernelIdLi16ELi16ELi32ELi32ELi8ELi32ELi8ELi8ELi32ELc78ELc84EKdS1_dEEvlllT_PT11_llS4_llS2_PT12_llPT13_lli.uses_vcc, 1
	.set _ZN12_GLOBAL__N_127rocblas_gemm_batched_kernelIdLi16ELi16ELi32ELi32ELi8ELi32ELi8ELi8ELi32ELc78ELc84EKdS1_dEEvlllT_PT11_llS4_llS2_PT12_llPT13_lli.uses_flat_scratch, 0
	.set _ZN12_GLOBAL__N_127rocblas_gemm_batched_kernelIdLi16ELi16ELi32ELi32ELi8ELi32ELi8ELi8ELi32ELc78ELc84EKdS1_dEEvlllT_PT11_llS4_llS2_PT12_llPT13_lli.has_dyn_sized_stack, 0
	.set _ZN12_GLOBAL__N_127rocblas_gemm_batched_kernelIdLi16ELi16ELi32ELi32ELi8ELi32ELi8ELi8ELi32ELc78ELc84EKdS1_dEEvlllT_PT11_llS4_llS2_PT12_llPT13_lli.has_recursion, 0
	.set _ZN12_GLOBAL__N_127rocblas_gemm_batched_kernelIdLi16ELi16ELi32ELi32ELi8ELi32ELi8ELi8ELi32ELc78ELc84EKdS1_dEEvlllT_PT11_llS4_llS2_PT12_llPT13_lli.has_indirect_call, 0
	.section	.AMDGPU.csdata,"",@progbits
; Kernel info:
; codeLenInByte = 1588
; TotalNumSgprs: 32
; NumVgprs: 38
; ScratchSize: 0
; MemoryBound: 0
; FloatMode: 240
; IeeeMode: 1
; LDSByteSize: 4096 bytes/workgroup (compile time only)
; SGPRBlocks: 0
; VGPRBlocks: 4
; NumSGPRsForWavesPerEU: 32
; NumVGPRsForWavesPerEU: 38
; Occupancy: 16
; WaveLimiterHint : 1
; COMPUTE_PGM_RSRC2:SCRATCH_EN: 0
; COMPUTE_PGM_RSRC2:USER_SGPR: 6
; COMPUTE_PGM_RSRC2:TRAP_HANDLER: 0
; COMPUTE_PGM_RSRC2:TGID_X_EN: 1
; COMPUTE_PGM_RSRC2:TGID_Y_EN: 1
; COMPUTE_PGM_RSRC2:TGID_Z_EN: 1
; COMPUTE_PGM_RSRC2:TIDIG_COMP_CNT: 1
	.section	.text._ZN12_GLOBAL__N_127rocblas_gemm_batched_kernelIdLi16ELi16ELi32ELi32ELi8ELi32ELi8ELi8ELi32ELc84ELc84EKdS1_dEEvlllT_PT11_llS4_llS2_PT12_llPT13_lli,"axG",@progbits,_ZN12_GLOBAL__N_127rocblas_gemm_batched_kernelIdLi16ELi16ELi32ELi32ELi8ELi32ELi8ELi8ELi32ELc84ELc84EKdS1_dEEvlllT_PT11_llS4_llS2_PT12_llPT13_lli,comdat
	.globl	_ZN12_GLOBAL__N_127rocblas_gemm_batched_kernelIdLi16ELi16ELi32ELi32ELi8ELi32ELi8ELi8ELi32ELc84ELc84EKdS1_dEEvlllT_PT11_llS4_llS2_PT12_llPT13_lli ; -- Begin function _ZN12_GLOBAL__N_127rocblas_gemm_batched_kernelIdLi16ELi16ELi32ELi32ELi8ELi32ELi8ELi8ELi32ELc84ELc84EKdS1_dEEvlllT_PT11_llS4_llS2_PT12_llPT13_lli
	.p2align	8
	.type	_ZN12_GLOBAL__N_127rocblas_gemm_batched_kernelIdLi16ELi16ELi32ELi32ELi8ELi32ELi8ELi8ELi32ELc84ELc84EKdS1_dEEvlllT_PT11_llS4_llS2_PT12_llPT13_lli,@function
_ZN12_GLOBAL__N_127rocblas_gemm_batched_kernelIdLi16ELi16ELi32ELi32ELi8ELi32ELi8ELi8ELi32ELc84ELc84EKdS1_dEEvlllT_PT11_llS4_llS2_PT12_llPT13_lli: ; @_ZN12_GLOBAL__N_127rocblas_gemm_batched_kernelIdLi16ELi16ELi32ELi32ELi8ELi32ELi8ELi8ELi32ELc84ELc84EKdS1_dEEvlllT_PT11_llS4_llS2_PT12_llPT13_lli
; %bb.0:
	s_load_dwordx16 s[12:27], s[4:5], 0x10
	s_mov_b32 s0, s7
	v_mov_b32_e32 v3, 0
	s_ashr_i32 s7, s6, 31
	s_ashr_i32 s1, s0, 31
	s_lshl_b64 s[10:11], s[6:7], 5
	s_lshl_b64 s[28:29], s[0:1], 5
	s_waitcnt lgkmcnt(0)
	v_cmp_lt_i64_e64 s2, s[12:13], 1
	s_and_b32 vcc_lo, exec_lo, s2
	s_cbranch_vccnz .LBB291_3
; %bb.1:
	v_lshl_add_u32 v5, v1, 4, v0
	v_and_b32_e32 v6, 7, v0
	s_mul_i32 s0, s27, s8
	s_mul_hi_u32 s1, s26, s8
	v_lshlrev_b32_e32 v14, 3, v0
	v_lshrrev_b32_e32 v2, 3, v5
	v_and_b32_e32 v7, 31, v5
	v_lshlrev_b32_e32 v8, 3, v6
	s_add_i32 s1, s1, s0
	v_lshrrev_b32_e32 v9, 5, v5
	v_mad_u64_u32 v[3:4], null, s24, v6, v[2:3]
	v_lshlrev_b32_e32 v5, 3, v7
	v_add_co_u32 v7, s0, s10, v7
	v_lshl_or_b32 v8, v2, 6, v8
	v_add_co_ci_u32_e64 v10, null, s11, 0, s0
	v_mov_b32_e32 v2, v4
	v_lshl_or_b32 v15, v9, 8, v5
	v_add_nc_u32_e32 v16, 0x800, v8
	v_mul_lo_u32 v8, s19, v7
	v_mul_lo_u32 v10, s18, v10
	v_mad_u64_u32 v[4:5], null, s25, v6, v[2:3]
	v_mad_u64_u32 v[5:6], null, s18, v7, 0
	s_mul_i32 s0, s26, s8
	v_add_co_u32 v2, vcc_lo, v3, s28
	s_lshl_b64 s[0:1], s[0:1], 3
	v_add_co_ci_u32_e64 v3, null, s29, v4, vcc_lo
	v_add3_u32 v6, v6, v10, v8
	s_add_u32 s2, s22, s0
	s_addc_u32 s3, s23, s1
	s_mul_i32 s0, s21, s8
	s_mul_hi_u32 s1, s20, s8
	v_lshlrev_b64 v[4:5], 3, v[5:6]
	s_add_i32 s1, s1, s0
	s_mul_i32 s0, s20, s8
	v_lshlrev_b64 v[2:3], 3, v[2:3]
	s_lshl_b64 s[0:1], s[0:1], 3
	v_lshlrev_b32_e32 v6, 3, v9
	v_add_co_u32 v4, vcc_lo, v4, s0
	v_add_co_ci_u32_e64 v5, null, s1, v5, vcc_lo
	v_add_co_u32 v10, vcc_lo, s2, v2
	v_add_co_ci_u32_e64 v11, null, s3, v3, vcc_lo
	;; [unrolled: 2-line block ×3, first 2 shown]
	v_mov_b32_e32 v2, 0
	v_add_co_u32 v12, vcc_lo, s16, v12
	v_mov_b32_e32 v4, 0
	v_mov_b32_e32 v6, 0
	;; [unrolled: 1-line block ×3, first 2 shown]
	v_lshl_add_u32 v17, v1, 6, 0x800
	v_mov_b32_e32 v3, 0
	v_mov_b32_e32 v5, 0
	;; [unrolled: 1-line block ×4, first 2 shown]
	v_add_co_ci_u32_e64 v13, null, s17, v13, vcc_lo
	s_lshl_b64 s[0:1], s[24:25], 6
	s_mov_b64 s[2:3], 0
.LBB291_2:                              ; =>This Inner Loop Header: Depth=1
	global_load_dwordx2 v[18:19], v[12:13], off
	global_load_dwordx2 v[20:21], v[10:11], off
	s_add_u32 s2, s2, 8
	s_addc_u32 s3, s3, 0
	v_add_co_u32 v10, vcc_lo, v10, s0
	v_cmp_lt_i64_e64 s6, s[2:3], s[12:13]
	v_add_co_ci_u32_e64 v11, null, s1, v11, vcc_lo
	v_add_co_u32 v12, vcc_lo, v12, 64
	v_add_co_ci_u32_e64 v13, null, 0, v13, vcc_lo
	s_and_b32 vcc_lo, exec_lo, s6
	s_waitcnt vmcnt(1)
	ds_write_b64 v15, v[18:19]
	s_waitcnt vmcnt(0)
	ds_write_b64 v16, v[20:21]
	s_waitcnt lgkmcnt(0)
	s_barrier
	buffer_gl0_inv
	ds_read_b128 v[18:21], v17
	ds_read2_b64 v[22:25], v14 offset1:16
	ds_read_b128 v[26:29], v17 offset:1024
	ds_read_b128 v[30:33], v17 offset:16
	;; [unrolled: 1-line block ×3, first 2 shown]
	s_waitcnt lgkmcnt(3)
	v_fma_f64 v[8:9], v[22:23], v[18:19], v[8:9]
	v_fma_f64 v[6:7], v[24:25], v[18:19], v[6:7]
	s_waitcnt lgkmcnt(2)
	v_fma_f64 v[18:19], v[22:23], v[26:27], v[4:5]
	v_fma_f64 v[22:23], v[24:25], v[26:27], v[2:3]
	ds_read2_b64 v[2:5], v14 offset0:32 offset1:48
	s_waitcnt lgkmcnt(0)
	v_fma_f64 v[8:9], v[2:3], v[20:21], v[8:9]
	v_fma_f64 v[6:7], v[4:5], v[20:21], v[6:7]
	;; [unrolled: 1-line block ×4, first 2 shown]
	ds_read2_b64 v[2:5], v14 offset0:64 offset1:80
	s_waitcnt lgkmcnt(0)
	v_fma_f64 v[22:23], v[2:3], v[30:31], v[8:9]
	v_fma_f64 v[24:25], v[4:5], v[30:31], v[6:7]
	;; [unrolled: 1-line block ×4, first 2 shown]
	ds_read2_b64 v[2:5], v14 offset0:96 offset1:112
	ds_read_b128 v[6:9], v17 offset:32
	ds_read2_b64 v[18:21], v14 offset0:128 offset1:144
	s_waitcnt lgkmcnt(2)
	v_fma_f64 v[30:31], v[2:3], v[32:33], v[22:23]
	v_fma_f64 v[32:33], v[4:5], v[32:33], v[24:25]
	;; [unrolled: 1-line block ×4, first 2 shown]
	ds_read_b128 v[2:5], v17 offset:1056
	ds_read_b128 v[22:25], v17 offset:48
	;; [unrolled: 1-line block ×3, first 2 shown]
	s_waitcnt lgkmcnt(3)
	v_fma_f64 v[30:31], v[18:19], v[6:7], v[30:31]
	v_fma_f64 v[6:7], v[20:21], v[6:7], v[32:33]
	s_waitcnt lgkmcnt(2)
	v_fma_f64 v[32:33], v[18:19], v[2:3], v[34:35]
	v_fma_f64 v[2:3], v[20:21], v[2:3], v[36:37]
	ds_read2_b64 v[18:21], v14 offset0:160 offset1:176
	s_waitcnt lgkmcnt(0)
	v_fma_f64 v[30:31], v[18:19], v[8:9], v[30:31]
	v_fma_f64 v[6:7], v[20:21], v[8:9], v[6:7]
	v_fma_f64 v[8:9], v[18:19], v[4:5], v[32:33]
	v_fma_f64 v[18:19], v[20:21], v[4:5], v[2:3]
	ds_read2_b64 v[2:5], v14 offset0:192 offset1:208
	s_waitcnt lgkmcnt(0)
	v_fma_f64 v[30:31], v[2:3], v[22:23], v[30:31]
	v_fma_f64 v[6:7], v[4:5], v[22:23], v[6:7]
	;; [unrolled: 1-line block ×4, first 2 shown]
	ds_read2_b64 v[18:21], v14 offset0:224 offset1:240
	s_waitcnt lgkmcnt(0)
	s_barrier
	buffer_gl0_inv
	v_fma_f64 v[8:9], v[18:19], v[24:25], v[30:31]
	v_fma_f64 v[6:7], v[20:21], v[24:25], v[6:7]
	;; [unrolled: 1-line block ×4, first 2 shown]
	s_cbranch_vccnz .LBB291_2
	s_branch .LBB291_4
.LBB291_3:
	v_mov_b32_e32 v8, 0
	v_mov_b32_e32 v6, 0
	;; [unrolled: 1-line block ×8, first 2 shown]
.LBB291_4:
	s_clause 0x1
	s_load_dwordx8 s[16:23], s[4:5], 0x50
	s_load_dwordx8 s[0:7], s[4:5], 0x70
	s_waitcnt lgkmcnt(0)
	v_cmp_neq_f64_e64 s6, s[16:17], 0
	s_mul_i32 s5, s5, s8
	s_mul_hi_u32 s7, s4, s8
	s_mul_i32 s4, s4, s8
	s_add_i32 s5, s7, s5
	v_add_co_u32 v10, s7, s28, v1
	v_add_co_ci_u32_e64 v13, null, s29, 0, s7
	v_add_co_u32 v0, s7, s10, v0
	v_add_co_ci_u32_e64 v1, null, s11, 0, s7
	v_mul_lo_u32 v11, v13, s2
	v_mul_lo_u32 v12, v10, s3
	s_lshl_b64 s[4:5], s[4:5], 3
	v_lshlrev_b64 v[0:1], 3, v[0:1]
	s_add_u32 s0, s0, s4
	s_addc_u32 s1, s1, s5
	s_and_b32 vcc_lo, exec_lo, s6
	s_cbranch_vccnz .LBB291_8
; %bb.5:
	v_mad_u64_u32 v[14:15], null, v10, s2, 0
	v_mul_f64 v[16:17], s[14:15], v[8:9]
	v_mul_f64 v[18:19], s[14:15], v[6:7]
	;; [unrolled: 1-line block ×4, first 2 shown]
	s_lshl_b64 s[4:5], s[2:3], 7
	v_add3_u32 v15, v15, v12, v11
	v_lshlrev_b64 v[14:15], 3, v[14:15]
	v_add_co_u32 v14, vcc_lo, s0, v14
	v_add_co_ci_u32_e64 v15, null, s1, v15, vcc_lo
	v_add_co_u32 v24, vcc_lo, v14, s4
	v_add_co_ci_u32_e64 v25, null, s5, v15, vcc_lo
	;; [unrolled: 2-line block ×4, first 2 shown]
	global_store_dwordx2 v[14:15], v[16:17], off
	global_store_dwordx2 v[14:15], v[18:19], off offset:128
	global_store_dwordx2 v[24:25], v[20:21], off
	global_store_dwordx2 v[24:25], v[22:23], off offset:128
	s_cbranch_execnz .LBB291_7
.LBB291_6:
	v_mul_lo_u32 v15, v13, s20
	v_mul_lo_u32 v16, v10, s21
	v_mad_u64_u32 v[13:14], null, v10, s20, 0
	s_mul_i32 s5, s23, s8
	s_mul_hi_u32 s6, s22, s8
	s_mul_i32 s4, s22, s8
	s_add_i32 s5, s6, s5
	v_mad_u64_u32 v[17:18], null, v10, s2, 0
	v_add3_u32 v14, v14, v16, v15
	s_lshl_b64 s[4:5], s[4:5], 3
	s_add_u32 s4, s18, s4
	s_addc_u32 s5, s19, s5
	v_lshlrev_b64 v[13:14], 3, v[13:14]
	v_add3_u32 v18, v18, v12, v11
	v_lshlrev_b64 v[10:11], 3, v[17:18]
	v_add_co_u32 v19, vcc_lo, s4, v13
	v_add_co_ci_u32_e64 v20, null, s5, v14, vcc_lo
	v_add_co_u32 v13, vcc_lo, v19, v0
	v_add_co_ci_u32_e64 v14, null, v20, v1, vcc_lo
	v_add_co_u32 v12, vcc_lo, s0, v10
	global_load_dwordx2 v[15:16], v[13:14], off
	s_waitcnt vmcnt(0)
	v_mul_f64 v[15:16], s[16:17], v[15:16]
	v_fma_f64 v[8:9], s[14:15], v[8:9], v[15:16]
	v_add_co_ci_u32_e64 v15, null, s1, v11, vcc_lo
	v_add_co_u32 v10, vcc_lo, v12, v0
	s_lshl_b64 s[0:1], s[20:21], 7
	v_add_co_ci_u32_e64 v11, null, v15, v1, vcc_lo
	global_store_dwordx2 v[10:11], v[8:9], off
	global_load_dwordx2 v[8:9], v[13:14], off offset:128
	s_waitcnt vmcnt(0)
	v_mul_f64 v[8:9], s[16:17], v[8:9]
	v_fma_f64 v[6:7], s[14:15], v[6:7], v[8:9]
	v_add_co_u32 v8, vcc_lo, v19, s0
	v_add_co_ci_u32_e64 v9, null, s1, v20, vcc_lo
	s_lshl_b64 s[0:1], s[2:3], 7
	v_add_co_u32 v8, vcc_lo, v8, v0
	v_add_co_ci_u32_e64 v9, null, v9, v1, vcc_lo
	global_store_dwordx2 v[10:11], v[6:7], off offset:128
	global_load_dwordx2 v[6:7], v[8:9], off
	s_waitcnt vmcnt(0)
	v_mul_f64 v[6:7], s[16:17], v[6:7]
	v_fma_f64 v[4:5], s[14:15], v[4:5], v[6:7]
	v_add_co_u32 v6, vcc_lo, v12, s0
	v_add_co_ci_u32_e64 v7, null, s1, v15, vcc_lo
	v_add_co_u32 v0, vcc_lo, v6, v0
	v_add_co_ci_u32_e64 v1, null, v7, v1, vcc_lo
	global_store_dwordx2 v[0:1], v[4:5], off
	global_load_dwordx2 v[4:5], v[8:9], off offset:128
	s_waitcnt vmcnt(0)
	v_mul_f64 v[4:5], s[16:17], v[4:5]
	v_fma_f64 v[2:3], s[14:15], v[2:3], v[4:5]
	global_store_dwordx2 v[0:1], v[2:3], off offset:128
.LBB291_7:
	s_endpgm
.LBB291_8:
	s_branch .LBB291_6
	.section	.rodata,"a",@progbits
	.p2align	6, 0x0
	.amdhsa_kernel _ZN12_GLOBAL__N_127rocblas_gemm_batched_kernelIdLi16ELi16ELi32ELi32ELi8ELi32ELi8ELi8ELi32ELc84ELc84EKdS1_dEEvlllT_PT11_llS4_llS2_PT12_llPT13_lli
		.amdhsa_group_segment_fixed_size 4096
		.amdhsa_private_segment_fixed_size 0
		.amdhsa_kernarg_size 140
		.amdhsa_user_sgpr_count 6
		.amdhsa_user_sgpr_private_segment_buffer 1
		.amdhsa_user_sgpr_dispatch_ptr 0
		.amdhsa_user_sgpr_queue_ptr 0
		.amdhsa_user_sgpr_kernarg_segment_ptr 1
		.amdhsa_user_sgpr_dispatch_id 0
		.amdhsa_user_sgpr_flat_scratch_init 0
		.amdhsa_user_sgpr_private_segment_size 0
		.amdhsa_wavefront_size32 1
		.amdhsa_uses_dynamic_stack 0
		.amdhsa_system_sgpr_private_segment_wavefront_offset 0
		.amdhsa_system_sgpr_workgroup_id_x 1
		.amdhsa_system_sgpr_workgroup_id_y 1
		.amdhsa_system_sgpr_workgroup_id_z 1
		.amdhsa_system_sgpr_workgroup_info 0
		.amdhsa_system_vgpr_workitem_id 1
		.amdhsa_next_free_vgpr 38
		.amdhsa_next_free_sgpr 30
		.amdhsa_reserve_vcc 1
		.amdhsa_reserve_flat_scratch 0
		.amdhsa_float_round_mode_32 0
		.amdhsa_float_round_mode_16_64 0
		.amdhsa_float_denorm_mode_32 3
		.amdhsa_float_denorm_mode_16_64 3
		.amdhsa_dx10_clamp 1
		.amdhsa_ieee_mode 1
		.amdhsa_fp16_overflow 0
		.amdhsa_workgroup_processor_mode 1
		.amdhsa_memory_ordered 1
		.amdhsa_forward_progress 1
		.amdhsa_shared_vgpr_count 0
		.amdhsa_exception_fp_ieee_invalid_op 0
		.amdhsa_exception_fp_denorm_src 0
		.amdhsa_exception_fp_ieee_div_zero 0
		.amdhsa_exception_fp_ieee_overflow 0
		.amdhsa_exception_fp_ieee_underflow 0
		.amdhsa_exception_fp_ieee_inexact 0
		.amdhsa_exception_int_div_zero 0
	.end_amdhsa_kernel
	.section	.text._ZN12_GLOBAL__N_127rocblas_gemm_batched_kernelIdLi16ELi16ELi32ELi32ELi8ELi32ELi8ELi8ELi32ELc84ELc84EKdS1_dEEvlllT_PT11_llS4_llS2_PT12_llPT13_lli,"axG",@progbits,_ZN12_GLOBAL__N_127rocblas_gemm_batched_kernelIdLi16ELi16ELi32ELi32ELi8ELi32ELi8ELi8ELi32ELc84ELc84EKdS1_dEEvlllT_PT11_llS4_llS2_PT12_llPT13_lli,comdat
.Lfunc_end291:
	.size	_ZN12_GLOBAL__N_127rocblas_gemm_batched_kernelIdLi16ELi16ELi32ELi32ELi8ELi32ELi8ELi8ELi32ELc84ELc84EKdS1_dEEvlllT_PT11_llS4_llS2_PT12_llPT13_lli, .Lfunc_end291-_ZN12_GLOBAL__N_127rocblas_gemm_batched_kernelIdLi16ELi16ELi32ELi32ELi8ELi32ELi8ELi8ELi32ELc84ELc84EKdS1_dEEvlllT_PT11_llS4_llS2_PT12_llPT13_lli
                                        ; -- End function
	.set _ZN12_GLOBAL__N_127rocblas_gemm_batched_kernelIdLi16ELi16ELi32ELi32ELi8ELi32ELi8ELi8ELi32ELc84ELc84EKdS1_dEEvlllT_PT11_llS4_llS2_PT12_llPT13_lli.num_vgpr, 38
	.set _ZN12_GLOBAL__N_127rocblas_gemm_batched_kernelIdLi16ELi16ELi32ELi32ELi8ELi32ELi8ELi8ELi32ELc84ELc84EKdS1_dEEvlllT_PT11_llS4_llS2_PT12_llPT13_lli.num_agpr, 0
	.set _ZN12_GLOBAL__N_127rocblas_gemm_batched_kernelIdLi16ELi16ELi32ELi32ELi8ELi32ELi8ELi8ELi32ELc84ELc84EKdS1_dEEvlllT_PT11_llS4_llS2_PT12_llPT13_lli.numbered_sgpr, 30
	.set _ZN12_GLOBAL__N_127rocblas_gemm_batched_kernelIdLi16ELi16ELi32ELi32ELi8ELi32ELi8ELi8ELi32ELc84ELc84EKdS1_dEEvlllT_PT11_llS4_llS2_PT12_llPT13_lli.num_named_barrier, 0
	.set _ZN12_GLOBAL__N_127rocblas_gemm_batched_kernelIdLi16ELi16ELi32ELi32ELi8ELi32ELi8ELi8ELi32ELc84ELc84EKdS1_dEEvlllT_PT11_llS4_llS2_PT12_llPT13_lli.private_seg_size, 0
	.set _ZN12_GLOBAL__N_127rocblas_gemm_batched_kernelIdLi16ELi16ELi32ELi32ELi8ELi32ELi8ELi8ELi32ELc84ELc84EKdS1_dEEvlllT_PT11_llS4_llS2_PT12_llPT13_lli.uses_vcc, 1
	.set _ZN12_GLOBAL__N_127rocblas_gemm_batched_kernelIdLi16ELi16ELi32ELi32ELi8ELi32ELi8ELi8ELi32ELc84ELc84EKdS1_dEEvlllT_PT11_llS4_llS2_PT12_llPT13_lli.uses_flat_scratch, 0
	.set _ZN12_GLOBAL__N_127rocblas_gemm_batched_kernelIdLi16ELi16ELi32ELi32ELi8ELi32ELi8ELi8ELi32ELc84ELc84EKdS1_dEEvlllT_PT11_llS4_llS2_PT12_llPT13_lli.has_dyn_sized_stack, 0
	.set _ZN12_GLOBAL__N_127rocblas_gemm_batched_kernelIdLi16ELi16ELi32ELi32ELi8ELi32ELi8ELi8ELi32ELc84ELc84EKdS1_dEEvlllT_PT11_llS4_llS2_PT12_llPT13_lli.has_recursion, 0
	.set _ZN12_GLOBAL__N_127rocblas_gemm_batched_kernelIdLi16ELi16ELi32ELi32ELi8ELi32ELi8ELi8ELi32ELc84ELc84EKdS1_dEEvlllT_PT11_llS4_llS2_PT12_llPT13_lli.has_indirect_call, 0
	.section	.AMDGPU.csdata,"",@progbits
; Kernel info:
; codeLenInByte = 1628
; TotalNumSgprs: 32
; NumVgprs: 38
; ScratchSize: 0
; MemoryBound: 0
; FloatMode: 240
; IeeeMode: 1
; LDSByteSize: 4096 bytes/workgroup (compile time only)
; SGPRBlocks: 0
; VGPRBlocks: 4
; NumSGPRsForWavesPerEU: 32
; NumVGPRsForWavesPerEU: 38
; Occupancy: 16
; WaveLimiterHint : 1
; COMPUTE_PGM_RSRC2:SCRATCH_EN: 0
; COMPUTE_PGM_RSRC2:USER_SGPR: 6
; COMPUTE_PGM_RSRC2:TRAP_HANDLER: 0
; COMPUTE_PGM_RSRC2:TGID_X_EN: 1
; COMPUTE_PGM_RSRC2:TGID_Y_EN: 1
; COMPUTE_PGM_RSRC2:TGID_Z_EN: 1
; COMPUTE_PGM_RSRC2:TIDIG_COMP_CNT: 1
	.section	.text._ZN12_GLOBAL__N_127rocblas_gemm_batched_kernelIdLi16ELi16ELi32ELi32ELi8ELi32ELi8ELi8ELi32ELc67ELc67EKdS1_dEEvlllT_PT11_llS4_llS2_PT12_llPT13_lli,"axG",@progbits,_ZN12_GLOBAL__N_127rocblas_gemm_batched_kernelIdLi16ELi16ELi32ELi32ELi8ELi32ELi8ELi8ELi32ELc67ELc67EKdS1_dEEvlllT_PT11_llS4_llS2_PT12_llPT13_lli,comdat
	.globl	_ZN12_GLOBAL__N_127rocblas_gemm_batched_kernelIdLi16ELi16ELi32ELi32ELi8ELi32ELi8ELi8ELi32ELc67ELc67EKdS1_dEEvlllT_PT11_llS4_llS2_PT12_llPT13_lli ; -- Begin function _ZN12_GLOBAL__N_127rocblas_gemm_batched_kernelIdLi16ELi16ELi32ELi32ELi8ELi32ELi8ELi8ELi32ELc67ELc67EKdS1_dEEvlllT_PT11_llS4_llS2_PT12_llPT13_lli
	.p2align	8
	.type	_ZN12_GLOBAL__N_127rocblas_gemm_batched_kernelIdLi16ELi16ELi32ELi32ELi8ELi32ELi8ELi8ELi32ELc67ELc67EKdS1_dEEvlllT_PT11_llS4_llS2_PT12_llPT13_lli,@function
_ZN12_GLOBAL__N_127rocblas_gemm_batched_kernelIdLi16ELi16ELi32ELi32ELi8ELi32ELi8ELi8ELi32ELc67ELc67EKdS1_dEEvlllT_PT11_llS4_llS2_PT12_llPT13_lli: ; @_ZN12_GLOBAL__N_127rocblas_gemm_batched_kernelIdLi16ELi16ELi32ELi32ELi8ELi32ELi8ELi8ELi32ELc67ELc67EKdS1_dEEvlllT_PT11_llS4_llS2_PT12_llPT13_lli
; %bb.0:
	s_load_dwordx16 s[12:27], s[4:5], 0x10
	s_mov_b32 s0, s7
	v_mov_b32_e32 v3, 0
	s_ashr_i32 s7, s6, 31
	s_ashr_i32 s1, s0, 31
	s_lshl_b64 s[10:11], s[6:7], 5
	s_lshl_b64 s[28:29], s[0:1], 5
	s_waitcnt lgkmcnt(0)
	v_cmp_lt_i64_e64 s2, s[12:13], 1
	s_and_b32 vcc_lo, exec_lo, s2
	s_cbranch_vccnz .LBB292_3
; %bb.1:
	v_lshl_add_u32 v5, v1, 4, v0
	v_and_b32_e32 v6, 7, v0
	s_mul_i32 s0, s27, s8
	s_mul_hi_u32 s1, s26, s8
	v_lshlrev_b32_e32 v14, 3, v0
	v_lshrrev_b32_e32 v2, 3, v5
	v_and_b32_e32 v7, 31, v5
	v_lshlrev_b32_e32 v8, 3, v6
	s_add_i32 s1, s1, s0
	v_lshrrev_b32_e32 v9, 5, v5
	v_mad_u64_u32 v[3:4], null, s24, v6, v[2:3]
	v_lshlrev_b32_e32 v5, 3, v7
	v_add_co_u32 v7, s0, s10, v7
	v_lshl_or_b32 v8, v2, 6, v8
	v_add_co_ci_u32_e64 v10, null, s11, 0, s0
	v_mov_b32_e32 v2, v4
	v_lshl_or_b32 v15, v9, 8, v5
	v_add_nc_u32_e32 v16, 0x800, v8
	v_mul_lo_u32 v8, s19, v7
	v_mul_lo_u32 v10, s18, v10
	v_mad_u64_u32 v[4:5], null, s25, v6, v[2:3]
	v_mad_u64_u32 v[5:6], null, s18, v7, 0
	s_mul_i32 s0, s26, s8
	v_add_co_u32 v2, vcc_lo, v3, s28
	s_lshl_b64 s[0:1], s[0:1], 3
	v_add_co_ci_u32_e64 v3, null, s29, v4, vcc_lo
	v_add3_u32 v6, v6, v10, v8
	s_add_u32 s2, s22, s0
	s_addc_u32 s3, s23, s1
	s_mul_i32 s0, s21, s8
	s_mul_hi_u32 s1, s20, s8
	v_lshlrev_b64 v[4:5], 3, v[5:6]
	s_add_i32 s1, s1, s0
	s_mul_i32 s0, s20, s8
	v_lshlrev_b64 v[2:3], 3, v[2:3]
	s_lshl_b64 s[0:1], s[0:1], 3
	v_lshlrev_b32_e32 v6, 3, v9
	v_add_co_u32 v4, vcc_lo, v4, s0
	v_add_co_ci_u32_e64 v5, null, s1, v5, vcc_lo
	v_add_co_u32 v10, vcc_lo, s2, v2
	v_add_co_ci_u32_e64 v11, null, s3, v3, vcc_lo
	;; [unrolled: 2-line block ×3, first 2 shown]
	v_mov_b32_e32 v2, 0
	v_add_co_u32 v12, vcc_lo, s16, v12
	v_mov_b32_e32 v4, 0
	v_mov_b32_e32 v6, 0
	;; [unrolled: 1-line block ×3, first 2 shown]
	v_lshl_add_u32 v17, v1, 6, 0x800
	v_mov_b32_e32 v3, 0
	v_mov_b32_e32 v5, 0
	;; [unrolled: 1-line block ×4, first 2 shown]
	v_add_co_ci_u32_e64 v13, null, s17, v13, vcc_lo
	s_lshl_b64 s[0:1], s[24:25], 6
	s_mov_b64 s[2:3], 0
.LBB292_2:                              ; =>This Inner Loop Header: Depth=1
	global_load_dwordx2 v[18:19], v[12:13], off
	global_load_dwordx2 v[20:21], v[10:11], off
	s_add_u32 s2, s2, 8
	s_addc_u32 s3, s3, 0
	v_add_co_u32 v10, vcc_lo, v10, s0
	v_cmp_lt_i64_e64 s6, s[2:3], s[12:13]
	v_add_co_ci_u32_e64 v11, null, s1, v11, vcc_lo
	v_add_co_u32 v12, vcc_lo, v12, 64
	v_add_co_ci_u32_e64 v13, null, 0, v13, vcc_lo
	s_and_b32 vcc_lo, exec_lo, s6
	s_waitcnt vmcnt(1)
	ds_write_b64 v15, v[18:19]
	s_waitcnt vmcnt(0)
	ds_write_b64 v16, v[20:21]
	s_waitcnt lgkmcnt(0)
	s_barrier
	buffer_gl0_inv
	ds_read_b128 v[18:21], v17
	ds_read2_b64 v[22:25], v14 offset1:16
	ds_read_b128 v[26:29], v17 offset:1024
	ds_read_b128 v[30:33], v17 offset:16
	;; [unrolled: 1-line block ×3, first 2 shown]
	s_waitcnt lgkmcnt(3)
	v_fma_f64 v[8:9], v[22:23], v[18:19], v[8:9]
	v_fma_f64 v[6:7], v[24:25], v[18:19], v[6:7]
	s_waitcnt lgkmcnt(2)
	v_fma_f64 v[18:19], v[22:23], v[26:27], v[4:5]
	v_fma_f64 v[22:23], v[24:25], v[26:27], v[2:3]
	ds_read2_b64 v[2:5], v14 offset0:32 offset1:48
	s_waitcnt lgkmcnt(0)
	v_fma_f64 v[8:9], v[2:3], v[20:21], v[8:9]
	v_fma_f64 v[6:7], v[4:5], v[20:21], v[6:7]
	;; [unrolled: 1-line block ×4, first 2 shown]
	ds_read2_b64 v[2:5], v14 offset0:64 offset1:80
	s_waitcnt lgkmcnt(0)
	v_fma_f64 v[22:23], v[2:3], v[30:31], v[8:9]
	v_fma_f64 v[24:25], v[4:5], v[30:31], v[6:7]
	;; [unrolled: 1-line block ×4, first 2 shown]
	ds_read2_b64 v[2:5], v14 offset0:96 offset1:112
	ds_read_b128 v[6:9], v17 offset:32
	ds_read2_b64 v[18:21], v14 offset0:128 offset1:144
	s_waitcnt lgkmcnt(2)
	v_fma_f64 v[30:31], v[2:3], v[32:33], v[22:23]
	v_fma_f64 v[32:33], v[4:5], v[32:33], v[24:25]
	;; [unrolled: 1-line block ×4, first 2 shown]
	ds_read_b128 v[2:5], v17 offset:1056
	ds_read_b128 v[22:25], v17 offset:48
	;; [unrolled: 1-line block ×3, first 2 shown]
	s_waitcnt lgkmcnt(3)
	v_fma_f64 v[30:31], v[18:19], v[6:7], v[30:31]
	v_fma_f64 v[6:7], v[20:21], v[6:7], v[32:33]
	s_waitcnt lgkmcnt(2)
	v_fma_f64 v[32:33], v[18:19], v[2:3], v[34:35]
	v_fma_f64 v[2:3], v[20:21], v[2:3], v[36:37]
	ds_read2_b64 v[18:21], v14 offset0:160 offset1:176
	s_waitcnt lgkmcnt(0)
	v_fma_f64 v[30:31], v[18:19], v[8:9], v[30:31]
	v_fma_f64 v[6:7], v[20:21], v[8:9], v[6:7]
	v_fma_f64 v[8:9], v[18:19], v[4:5], v[32:33]
	v_fma_f64 v[18:19], v[20:21], v[4:5], v[2:3]
	ds_read2_b64 v[2:5], v14 offset0:192 offset1:208
	s_waitcnt lgkmcnt(0)
	v_fma_f64 v[30:31], v[2:3], v[22:23], v[30:31]
	v_fma_f64 v[6:7], v[4:5], v[22:23], v[6:7]
	;; [unrolled: 1-line block ×4, first 2 shown]
	ds_read2_b64 v[18:21], v14 offset0:224 offset1:240
	s_waitcnt lgkmcnt(0)
	s_barrier
	buffer_gl0_inv
	v_fma_f64 v[8:9], v[18:19], v[24:25], v[30:31]
	v_fma_f64 v[6:7], v[20:21], v[24:25], v[6:7]
	;; [unrolled: 1-line block ×4, first 2 shown]
	s_cbranch_vccnz .LBB292_2
	s_branch .LBB292_4
.LBB292_3:
	v_mov_b32_e32 v8, 0
	v_mov_b32_e32 v6, 0
	;; [unrolled: 1-line block ×8, first 2 shown]
.LBB292_4:
	s_clause 0x1
	s_load_dwordx8 s[16:23], s[4:5], 0x50
	s_load_dwordx8 s[0:7], s[4:5], 0x70
	s_waitcnt lgkmcnt(0)
	v_cmp_neq_f64_e64 s6, s[16:17], 0
	s_mul_i32 s5, s5, s8
	s_mul_hi_u32 s7, s4, s8
	s_mul_i32 s4, s4, s8
	s_add_i32 s5, s7, s5
	v_add_co_u32 v10, s7, s28, v1
	v_add_co_ci_u32_e64 v13, null, s29, 0, s7
	v_add_co_u32 v0, s7, s10, v0
	v_add_co_ci_u32_e64 v1, null, s11, 0, s7
	v_mul_lo_u32 v11, v13, s2
	v_mul_lo_u32 v12, v10, s3
	s_lshl_b64 s[4:5], s[4:5], 3
	v_lshlrev_b64 v[0:1], 3, v[0:1]
	s_add_u32 s0, s0, s4
	s_addc_u32 s1, s1, s5
	s_and_b32 vcc_lo, exec_lo, s6
	s_cbranch_vccnz .LBB292_8
; %bb.5:
	v_mad_u64_u32 v[14:15], null, v10, s2, 0
	v_mul_f64 v[16:17], s[14:15], v[8:9]
	v_mul_f64 v[18:19], s[14:15], v[6:7]
	;; [unrolled: 1-line block ×4, first 2 shown]
	s_lshl_b64 s[4:5], s[2:3], 7
	v_add3_u32 v15, v15, v12, v11
	v_lshlrev_b64 v[14:15], 3, v[14:15]
	v_add_co_u32 v14, vcc_lo, s0, v14
	v_add_co_ci_u32_e64 v15, null, s1, v15, vcc_lo
	v_add_co_u32 v24, vcc_lo, v14, s4
	v_add_co_ci_u32_e64 v25, null, s5, v15, vcc_lo
	;; [unrolled: 2-line block ×4, first 2 shown]
	global_store_dwordx2 v[14:15], v[16:17], off
	global_store_dwordx2 v[14:15], v[18:19], off offset:128
	global_store_dwordx2 v[24:25], v[20:21], off
	global_store_dwordx2 v[24:25], v[22:23], off offset:128
	s_cbranch_execnz .LBB292_7
.LBB292_6:
	v_mul_lo_u32 v15, v13, s20
	v_mul_lo_u32 v16, v10, s21
	v_mad_u64_u32 v[13:14], null, v10, s20, 0
	s_mul_i32 s5, s23, s8
	s_mul_hi_u32 s6, s22, s8
	s_mul_i32 s4, s22, s8
	s_add_i32 s5, s6, s5
	v_mad_u64_u32 v[17:18], null, v10, s2, 0
	v_add3_u32 v14, v14, v16, v15
	s_lshl_b64 s[4:5], s[4:5], 3
	s_add_u32 s4, s18, s4
	s_addc_u32 s5, s19, s5
	v_lshlrev_b64 v[13:14], 3, v[13:14]
	v_add3_u32 v18, v18, v12, v11
	v_lshlrev_b64 v[10:11], 3, v[17:18]
	v_add_co_u32 v19, vcc_lo, s4, v13
	v_add_co_ci_u32_e64 v20, null, s5, v14, vcc_lo
	v_add_co_u32 v13, vcc_lo, v19, v0
	v_add_co_ci_u32_e64 v14, null, v20, v1, vcc_lo
	v_add_co_u32 v12, vcc_lo, s0, v10
	global_load_dwordx2 v[15:16], v[13:14], off
	s_waitcnt vmcnt(0)
	v_mul_f64 v[15:16], s[16:17], v[15:16]
	v_fma_f64 v[8:9], s[14:15], v[8:9], v[15:16]
	v_add_co_ci_u32_e64 v15, null, s1, v11, vcc_lo
	v_add_co_u32 v10, vcc_lo, v12, v0
	s_lshl_b64 s[0:1], s[20:21], 7
	v_add_co_ci_u32_e64 v11, null, v15, v1, vcc_lo
	global_store_dwordx2 v[10:11], v[8:9], off
	global_load_dwordx2 v[8:9], v[13:14], off offset:128
	s_waitcnt vmcnt(0)
	v_mul_f64 v[8:9], s[16:17], v[8:9]
	v_fma_f64 v[6:7], s[14:15], v[6:7], v[8:9]
	v_add_co_u32 v8, vcc_lo, v19, s0
	v_add_co_ci_u32_e64 v9, null, s1, v20, vcc_lo
	s_lshl_b64 s[0:1], s[2:3], 7
	v_add_co_u32 v8, vcc_lo, v8, v0
	v_add_co_ci_u32_e64 v9, null, v9, v1, vcc_lo
	global_store_dwordx2 v[10:11], v[6:7], off offset:128
	global_load_dwordx2 v[6:7], v[8:9], off
	s_waitcnt vmcnt(0)
	v_mul_f64 v[6:7], s[16:17], v[6:7]
	v_fma_f64 v[4:5], s[14:15], v[4:5], v[6:7]
	v_add_co_u32 v6, vcc_lo, v12, s0
	v_add_co_ci_u32_e64 v7, null, s1, v15, vcc_lo
	v_add_co_u32 v0, vcc_lo, v6, v0
	v_add_co_ci_u32_e64 v1, null, v7, v1, vcc_lo
	global_store_dwordx2 v[0:1], v[4:5], off
	global_load_dwordx2 v[4:5], v[8:9], off offset:128
	s_waitcnt vmcnt(0)
	v_mul_f64 v[4:5], s[16:17], v[4:5]
	v_fma_f64 v[2:3], s[14:15], v[2:3], v[4:5]
	global_store_dwordx2 v[0:1], v[2:3], off offset:128
.LBB292_7:
	s_endpgm
.LBB292_8:
	s_branch .LBB292_6
	.section	.rodata,"a",@progbits
	.p2align	6, 0x0
	.amdhsa_kernel _ZN12_GLOBAL__N_127rocblas_gemm_batched_kernelIdLi16ELi16ELi32ELi32ELi8ELi32ELi8ELi8ELi32ELc67ELc67EKdS1_dEEvlllT_PT11_llS4_llS2_PT12_llPT13_lli
		.amdhsa_group_segment_fixed_size 4096
		.amdhsa_private_segment_fixed_size 0
		.amdhsa_kernarg_size 140
		.amdhsa_user_sgpr_count 6
		.amdhsa_user_sgpr_private_segment_buffer 1
		.amdhsa_user_sgpr_dispatch_ptr 0
		.amdhsa_user_sgpr_queue_ptr 0
		.amdhsa_user_sgpr_kernarg_segment_ptr 1
		.amdhsa_user_sgpr_dispatch_id 0
		.amdhsa_user_sgpr_flat_scratch_init 0
		.amdhsa_user_sgpr_private_segment_size 0
		.amdhsa_wavefront_size32 1
		.amdhsa_uses_dynamic_stack 0
		.amdhsa_system_sgpr_private_segment_wavefront_offset 0
		.amdhsa_system_sgpr_workgroup_id_x 1
		.amdhsa_system_sgpr_workgroup_id_y 1
		.amdhsa_system_sgpr_workgroup_id_z 1
		.amdhsa_system_sgpr_workgroup_info 0
		.amdhsa_system_vgpr_workitem_id 1
		.amdhsa_next_free_vgpr 38
		.amdhsa_next_free_sgpr 30
		.amdhsa_reserve_vcc 1
		.amdhsa_reserve_flat_scratch 0
		.amdhsa_float_round_mode_32 0
		.amdhsa_float_round_mode_16_64 0
		.amdhsa_float_denorm_mode_32 3
		.amdhsa_float_denorm_mode_16_64 3
		.amdhsa_dx10_clamp 1
		.amdhsa_ieee_mode 1
		.amdhsa_fp16_overflow 0
		.amdhsa_workgroup_processor_mode 1
		.amdhsa_memory_ordered 1
		.amdhsa_forward_progress 1
		.amdhsa_shared_vgpr_count 0
		.amdhsa_exception_fp_ieee_invalid_op 0
		.amdhsa_exception_fp_denorm_src 0
		.amdhsa_exception_fp_ieee_div_zero 0
		.amdhsa_exception_fp_ieee_overflow 0
		.amdhsa_exception_fp_ieee_underflow 0
		.amdhsa_exception_fp_ieee_inexact 0
		.amdhsa_exception_int_div_zero 0
	.end_amdhsa_kernel
	.section	.text._ZN12_GLOBAL__N_127rocblas_gemm_batched_kernelIdLi16ELi16ELi32ELi32ELi8ELi32ELi8ELi8ELi32ELc67ELc67EKdS1_dEEvlllT_PT11_llS4_llS2_PT12_llPT13_lli,"axG",@progbits,_ZN12_GLOBAL__N_127rocblas_gemm_batched_kernelIdLi16ELi16ELi32ELi32ELi8ELi32ELi8ELi8ELi32ELc67ELc67EKdS1_dEEvlllT_PT11_llS4_llS2_PT12_llPT13_lli,comdat
.Lfunc_end292:
	.size	_ZN12_GLOBAL__N_127rocblas_gemm_batched_kernelIdLi16ELi16ELi32ELi32ELi8ELi32ELi8ELi8ELi32ELc67ELc67EKdS1_dEEvlllT_PT11_llS4_llS2_PT12_llPT13_lli, .Lfunc_end292-_ZN12_GLOBAL__N_127rocblas_gemm_batched_kernelIdLi16ELi16ELi32ELi32ELi8ELi32ELi8ELi8ELi32ELc67ELc67EKdS1_dEEvlllT_PT11_llS4_llS2_PT12_llPT13_lli
                                        ; -- End function
	.set _ZN12_GLOBAL__N_127rocblas_gemm_batched_kernelIdLi16ELi16ELi32ELi32ELi8ELi32ELi8ELi8ELi32ELc67ELc67EKdS1_dEEvlllT_PT11_llS4_llS2_PT12_llPT13_lli.num_vgpr, 38
	.set _ZN12_GLOBAL__N_127rocblas_gemm_batched_kernelIdLi16ELi16ELi32ELi32ELi8ELi32ELi8ELi8ELi32ELc67ELc67EKdS1_dEEvlllT_PT11_llS4_llS2_PT12_llPT13_lli.num_agpr, 0
	.set _ZN12_GLOBAL__N_127rocblas_gemm_batched_kernelIdLi16ELi16ELi32ELi32ELi8ELi32ELi8ELi8ELi32ELc67ELc67EKdS1_dEEvlllT_PT11_llS4_llS2_PT12_llPT13_lli.numbered_sgpr, 30
	.set _ZN12_GLOBAL__N_127rocblas_gemm_batched_kernelIdLi16ELi16ELi32ELi32ELi8ELi32ELi8ELi8ELi32ELc67ELc67EKdS1_dEEvlllT_PT11_llS4_llS2_PT12_llPT13_lli.num_named_barrier, 0
	.set _ZN12_GLOBAL__N_127rocblas_gemm_batched_kernelIdLi16ELi16ELi32ELi32ELi8ELi32ELi8ELi8ELi32ELc67ELc67EKdS1_dEEvlllT_PT11_llS4_llS2_PT12_llPT13_lli.private_seg_size, 0
	.set _ZN12_GLOBAL__N_127rocblas_gemm_batched_kernelIdLi16ELi16ELi32ELi32ELi8ELi32ELi8ELi8ELi32ELc67ELc67EKdS1_dEEvlllT_PT11_llS4_llS2_PT12_llPT13_lli.uses_vcc, 1
	.set _ZN12_GLOBAL__N_127rocblas_gemm_batched_kernelIdLi16ELi16ELi32ELi32ELi8ELi32ELi8ELi8ELi32ELc67ELc67EKdS1_dEEvlllT_PT11_llS4_llS2_PT12_llPT13_lli.uses_flat_scratch, 0
	.set _ZN12_GLOBAL__N_127rocblas_gemm_batched_kernelIdLi16ELi16ELi32ELi32ELi8ELi32ELi8ELi8ELi32ELc67ELc67EKdS1_dEEvlllT_PT11_llS4_llS2_PT12_llPT13_lli.has_dyn_sized_stack, 0
	.set _ZN12_GLOBAL__N_127rocblas_gemm_batched_kernelIdLi16ELi16ELi32ELi32ELi8ELi32ELi8ELi8ELi32ELc67ELc67EKdS1_dEEvlllT_PT11_llS4_llS2_PT12_llPT13_lli.has_recursion, 0
	.set _ZN12_GLOBAL__N_127rocblas_gemm_batched_kernelIdLi16ELi16ELi32ELi32ELi8ELi32ELi8ELi8ELi32ELc67ELc67EKdS1_dEEvlllT_PT11_llS4_llS2_PT12_llPT13_lli.has_indirect_call, 0
	.section	.AMDGPU.csdata,"",@progbits
; Kernel info:
; codeLenInByte = 1628
; TotalNumSgprs: 32
; NumVgprs: 38
; ScratchSize: 0
; MemoryBound: 0
; FloatMode: 240
; IeeeMode: 1
; LDSByteSize: 4096 bytes/workgroup (compile time only)
; SGPRBlocks: 0
; VGPRBlocks: 4
; NumSGPRsForWavesPerEU: 32
; NumVGPRsForWavesPerEU: 38
; Occupancy: 16
; WaveLimiterHint : 1
; COMPUTE_PGM_RSRC2:SCRATCH_EN: 0
; COMPUTE_PGM_RSRC2:USER_SGPR: 6
; COMPUTE_PGM_RSRC2:TRAP_HANDLER: 0
; COMPUTE_PGM_RSRC2:TGID_X_EN: 1
; COMPUTE_PGM_RSRC2:TGID_Y_EN: 1
; COMPUTE_PGM_RSRC2:TGID_Z_EN: 1
; COMPUTE_PGM_RSRC2:TIDIG_COMP_CNT: 1
	.section	.text._ZN12_GLOBAL__N_127rocblas_gemm_batched_kernelIdLi16ELi16ELi32ELi32ELi8ELi32ELi8ELi8ELi32ELc67ELc78EKdS1_dEEvlllT_PT11_llS4_llS2_PT12_llPT13_lli,"axG",@progbits,_ZN12_GLOBAL__N_127rocblas_gemm_batched_kernelIdLi16ELi16ELi32ELi32ELi8ELi32ELi8ELi8ELi32ELc67ELc78EKdS1_dEEvlllT_PT11_llS4_llS2_PT12_llPT13_lli,comdat
	.globl	_ZN12_GLOBAL__N_127rocblas_gemm_batched_kernelIdLi16ELi16ELi32ELi32ELi8ELi32ELi8ELi8ELi32ELc67ELc78EKdS1_dEEvlllT_PT11_llS4_llS2_PT12_llPT13_lli ; -- Begin function _ZN12_GLOBAL__N_127rocblas_gemm_batched_kernelIdLi16ELi16ELi32ELi32ELi8ELi32ELi8ELi8ELi32ELc67ELc78EKdS1_dEEvlllT_PT11_llS4_llS2_PT12_llPT13_lli
	.p2align	8
	.type	_ZN12_GLOBAL__N_127rocblas_gemm_batched_kernelIdLi16ELi16ELi32ELi32ELi8ELi32ELi8ELi8ELi32ELc67ELc78EKdS1_dEEvlllT_PT11_llS4_llS2_PT12_llPT13_lli,@function
_ZN12_GLOBAL__N_127rocblas_gemm_batched_kernelIdLi16ELi16ELi32ELi32ELi8ELi32ELi8ELi8ELi32ELc67ELc78EKdS1_dEEvlllT_PT11_llS4_llS2_PT12_llPT13_lli: ; @_ZN12_GLOBAL__N_127rocblas_gemm_batched_kernelIdLi16ELi16ELi32ELi32ELi8ELi32ELi8ELi8ELi32ELc67ELc78EKdS1_dEEvlllT_PT11_llS4_llS2_PT12_llPT13_lli
; %bb.0:
	s_load_dwordx16 s[12:27], s[4:5], 0x10
	s_mov_b32 s0, s7
	s_ashr_i32 s7, s6, 31
	s_ashr_i32 s1, s0, 31
	s_lshl_b64 s[10:11], s[6:7], 5
	s_lshl_b64 s[28:29], s[0:1], 5
	s_waitcnt lgkmcnt(0)
	v_cmp_lt_i64_e64 s2, s[12:13], 1
	s_and_b32 vcc_lo, exec_lo, s2
	s_cbranch_vccnz .LBB293_3
; %bb.1:
	v_lshl_add_u32 v2, v1, 4, v0
	v_and_b32_e32 v3, 7, v0
	s_mul_hi_u32 s1, s26, s8
	v_lshlrev_b32_e32 v14, 3, v0
	v_lshl_add_u32 v17, v1, 6, 0x800
	v_lshrrev_b32_e32 v4, 3, v2
	v_and_b32_e32 v5, 31, v2
	v_lshlrev_b32_e32 v9, 3, v3
	v_lshrrev_b32_e32 v8, 5, v2
	v_add_co_u32 v6, s0, v4, s28
	v_add_co_ci_u32_e64 v7, null, 0, s29, s0
	v_lshlrev_b32_e32 v10, 3, v5
	v_mul_lo_u32 v11, s25, v6
	v_mad_u64_u32 v[2:3], null, s24, v6, 0
	v_mul_lo_u32 v7, s24, v7
	v_add_co_u32 v5, s0, s10, v5
	v_lshl_or_b32 v4, v4, 6, v9
	v_add_co_ci_u32_e64 v6, null, s11, 0, s0
	s_mul_i32 s0, s27, s8
	v_lshl_or_b32 v15, v8, 8, v10
	v_add_nc_u32_e32 v16, 0x800, v4
	v_add3_u32 v3, v3, v7, v11
	v_mul_lo_u32 v7, s19, v5
	v_mul_lo_u32 v6, s18, v6
	v_mad_u64_u32 v[4:5], null, s18, v5, 0
	v_lshlrev_b64 v[2:3], 3, v[2:3]
	s_add_i32 s1, s1, s0
	s_mul_i32 s0, s26, s8
	s_lshl_b64 s[0:1], s[0:1], 3
	v_add3_u32 v5, v5, v6, v7
	v_add_co_u32 v6, vcc_lo, v2, s0
	v_add_co_ci_u32_e64 v7, null, s1, v3, vcc_lo
	s_mul_i32 s0, s21, s8
	s_mul_hi_u32 s1, s20, s8
	v_lshlrev_b64 v[2:3], 3, v[4:5]
	s_add_i32 s1, s1, s0
	s_mul_i32 s0, s20, s8
	v_add_co_u32 v4, vcc_lo, v6, v9
	s_lshl_b64 s[0:1], s[0:1], 3
	v_add_co_ci_u32_e64 v5, null, 0, v7, vcc_lo
	v_add_co_u32 v2, vcc_lo, v2, s0
	v_lshlrev_b32_e32 v6, 3, v8
	v_add_co_ci_u32_e64 v3, null, s1, v3, vcc_lo
	v_add_co_u32 v10, vcc_lo, s22, v4
	v_add_co_ci_u32_e64 v11, null, s23, v5, vcc_lo
	v_add_co_u32 v12, vcc_lo, v2, v6
	v_add_co_ci_u32_e64 v13, null, 0, v3, vcc_lo
	v_mov_b32_e32 v2, 0
	v_add_co_u32 v12, vcc_lo, s16, v12
	v_mov_b32_e32 v4, 0
	v_mov_b32_e32 v6, 0
	;; [unrolled: 1-line block ×7, first 2 shown]
	v_add_co_ci_u32_e64 v13, null, s17, v13, vcc_lo
	s_mov_b64 s[0:1], 0
.LBB293_2:                              ; =>This Inner Loop Header: Depth=1
	global_load_dwordx2 v[18:19], v[12:13], off
	global_load_dwordx2 v[20:21], v[10:11], off
	s_add_u32 s0, s0, 8
	s_addc_u32 s1, s1, 0
	v_add_co_u32 v10, vcc_lo, v10, 64
	v_cmp_lt_i64_e64 s2, s[0:1], s[12:13]
	v_add_co_ci_u32_e64 v11, null, 0, v11, vcc_lo
	v_add_co_u32 v12, vcc_lo, v12, 64
	v_add_co_ci_u32_e64 v13, null, 0, v13, vcc_lo
	s_and_b32 vcc_lo, exec_lo, s2
	s_waitcnt vmcnt(1)
	ds_write_b64 v15, v[18:19]
	s_waitcnt vmcnt(0)
	ds_write_b64 v16, v[20:21]
	s_waitcnt lgkmcnt(0)
	s_barrier
	buffer_gl0_inv
	ds_read_b128 v[18:21], v17
	ds_read2_b64 v[22:25], v14 offset1:16
	ds_read_b128 v[26:29], v17 offset:1024
	ds_read_b128 v[30:33], v17 offset:16
	;; [unrolled: 1-line block ×3, first 2 shown]
	s_waitcnt lgkmcnt(3)
	v_fma_f64 v[8:9], v[22:23], v[18:19], v[8:9]
	v_fma_f64 v[6:7], v[24:25], v[18:19], v[6:7]
	s_waitcnt lgkmcnt(2)
	v_fma_f64 v[18:19], v[22:23], v[26:27], v[4:5]
	v_fma_f64 v[22:23], v[24:25], v[26:27], v[2:3]
	ds_read2_b64 v[2:5], v14 offset0:32 offset1:48
	s_waitcnt lgkmcnt(0)
	v_fma_f64 v[8:9], v[2:3], v[20:21], v[8:9]
	v_fma_f64 v[6:7], v[4:5], v[20:21], v[6:7]
	;; [unrolled: 1-line block ×4, first 2 shown]
	ds_read2_b64 v[2:5], v14 offset0:64 offset1:80
	s_waitcnt lgkmcnt(0)
	v_fma_f64 v[22:23], v[2:3], v[30:31], v[8:9]
	v_fma_f64 v[24:25], v[4:5], v[30:31], v[6:7]
	;; [unrolled: 1-line block ×4, first 2 shown]
	ds_read2_b64 v[2:5], v14 offset0:96 offset1:112
	ds_read_b128 v[6:9], v17 offset:32
	ds_read2_b64 v[18:21], v14 offset0:128 offset1:144
	s_waitcnt lgkmcnt(2)
	v_fma_f64 v[30:31], v[2:3], v[32:33], v[22:23]
	v_fma_f64 v[32:33], v[4:5], v[32:33], v[24:25]
	;; [unrolled: 1-line block ×4, first 2 shown]
	ds_read_b128 v[2:5], v17 offset:1056
	ds_read_b128 v[22:25], v17 offset:48
	;; [unrolled: 1-line block ×3, first 2 shown]
	s_waitcnt lgkmcnt(3)
	v_fma_f64 v[30:31], v[18:19], v[6:7], v[30:31]
	v_fma_f64 v[6:7], v[20:21], v[6:7], v[32:33]
	s_waitcnt lgkmcnt(2)
	v_fma_f64 v[32:33], v[18:19], v[2:3], v[34:35]
	v_fma_f64 v[2:3], v[20:21], v[2:3], v[36:37]
	ds_read2_b64 v[18:21], v14 offset0:160 offset1:176
	s_waitcnt lgkmcnt(0)
	v_fma_f64 v[30:31], v[18:19], v[8:9], v[30:31]
	v_fma_f64 v[6:7], v[20:21], v[8:9], v[6:7]
	v_fma_f64 v[8:9], v[18:19], v[4:5], v[32:33]
	v_fma_f64 v[18:19], v[20:21], v[4:5], v[2:3]
	ds_read2_b64 v[2:5], v14 offset0:192 offset1:208
	s_waitcnt lgkmcnt(0)
	v_fma_f64 v[30:31], v[2:3], v[22:23], v[30:31]
	v_fma_f64 v[6:7], v[4:5], v[22:23], v[6:7]
	;; [unrolled: 1-line block ×4, first 2 shown]
	ds_read2_b64 v[18:21], v14 offset0:224 offset1:240
	s_waitcnt lgkmcnt(0)
	s_barrier
	buffer_gl0_inv
	v_fma_f64 v[8:9], v[18:19], v[24:25], v[30:31]
	v_fma_f64 v[6:7], v[20:21], v[24:25], v[6:7]
	;; [unrolled: 1-line block ×4, first 2 shown]
	s_cbranch_vccnz .LBB293_2
	s_branch .LBB293_4
.LBB293_3:
	v_mov_b32_e32 v8, 0
	v_mov_b32_e32 v6, 0
	;; [unrolled: 1-line block ×8, first 2 shown]
.LBB293_4:
	s_clause 0x1
	s_load_dwordx8 s[16:23], s[4:5], 0x50
	s_load_dwordx8 s[0:7], s[4:5], 0x70
	s_waitcnt lgkmcnt(0)
	v_cmp_neq_f64_e64 s6, s[16:17], 0
	s_mul_i32 s5, s5, s8
	s_mul_hi_u32 s7, s4, s8
	s_mul_i32 s4, s4, s8
	s_add_i32 s5, s7, s5
	v_add_co_u32 v10, s7, s28, v1
	v_add_co_ci_u32_e64 v13, null, s29, 0, s7
	v_add_co_u32 v0, s7, s10, v0
	v_add_co_ci_u32_e64 v1, null, s11, 0, s7
	v_mul_lo_u32 v11, v13, s2
	v_mul_lo_u32 v12, v10, s3
	s_lshl_b64 s[4:5], s[4:5], 3
	v_lshlrev_b64 v[0:1], 3, v[0:1]
	s_add_u32 s0, s0, s4
	s_addc_u32 s1, s1, s5
	s_and_b32 vcc_lo, exec_lo, s6
	s_cbranch_vccnz .LBB293_8
; %bb.5:
	v_mad_u64_u32 v[14:15], null, v10, s2, 0
	v_mul_f64 v[16:17], s[14:15], v[8:9]
	v_mul_f64 v[18:19], s[14:15], v[6:7]
	v_mul_f64 v[20:21], s[14:15], v[4:5]
	v_mul_f64 v[22:23], s[14:15], v[2:3]
	s_lshl_b64 s[4:5], s[2:3], 7
	v_add3_u32 v15, v15, v12, v11
	v_lshlrev_b64 v[14:15], 3, v[14:15]
	v_add_co_u32 v14, vcc_lo, s0, v14
	v_add_co_ci_u32_e64 v15, null, s1, v15, vcc_lo
	v_add_co_u32 v24, vcc_lo, v14, s4
	v_add_co_ci_u32_e64 v25, null, s5, v15, vcc_lo
	;; [unrolled: 2-line block ×4, first 2 shown]
	global_store_dwordx2 v[14:15], v[16:17], off
	global_store_dwordx2 v[14:15], v[18:19], off offset:128
	global_store_dwordx2 v[24:25], v[20:21], off
	global_store_dwordx2 v[24:25], v[22:23], off offset:128
	s_cbranch_execnz .LBB293_7
.LBB293_6:
	v_mul_lo_u32 v15, v13, s20
	v_mul_lo_u32 v16, v10, s21
	v_mad_u64_u32 v[13:14], null, v10, s20, 0
	s_mul_i32 s5, s23, s8
	s_mul_hi_u32 s6, s22, s8
	s_mul_i32 s4, s22, s8
	s_add_i32 s5, s6, s5
	v_mad_u64_u32 v[17:18], null, v10, s2, 0
	v_add3_u32 v14, v14, v16, v15
	s_lshl_b64 s[4:5], s[4:5], 3
	s_add_u32 s4, s18, s4
	s_addc_u32 s5, s19, s5
	v_lshlrev_b64 v[13:14], 3, v[13:14]
	v_add3_u32 v18, v18, v12, v11
	v_lshlrev_b64 v[10:11], 3, v[17:18]
	v_add_co_u32 v19, vcc_lo, s4, v13
	v_add_co_ci_u32_e64 v20, null, s5, v14, vcc_lo
	v_add_co_u32 v13, vcc_lo, v19, v0
	v_add_co_ci_u32_e64 v14, null, v20, v1, vcc_lo
	v_add_co_u32 v12, vcc_lo, s0, v10
	global_load_dwordx2 v[15:16], v[13:14], off
	s_waitcnt vmcnt(0)
	v_mul_f64 v[15:16], s[16:17], v[15:16]
	v_fma_f64 v[8:9], s[14:15], v[8:9], v[15:16]
	v_add_co_ci_u32_e64 v15, null, s1, v11, vcc_lo
	v_add_co_u32 v10, vcc_lo, v12, v0
	s_lshl_b64 s[0:1], s[20:21], 7
	v_add_co_ci_u32_e64 v11, null, v15, v1, vcc_lo
	global_store_dwordx2 v[10:11], v[8:9], off
	global_load_dwordx2 v[8:9], v[13:14], off offset:128
	s_waitcnt vmcnt(0)
	v_mul_f64 v[8:9], s[16:17], v[8:9]
	v_fma_f64 v[6:7], s[14:15], v[6:7], v[8:9]
	v_add_co_u32 v8, vcc_lo, v19, s0
	v_add_co_ci_u32_e64 v9, null, s1, v20, vcc_lo
	s_lshl_b64 s[0:1], s[2:3], 7
	v_add_co_u32 v8, vcc_lo, v8, v0
	v_add_co_ci_u32_e64 v9, null, v9, v1, vcc_lo
	global_store_dwordx2 v[10:11], v[6:7], off offset:128
	global_load_dwordx2 v[6:7], v[8:9], off
	s_waitcnt vmcnt(0)
	v_mul_f64 v[6:7], s[16:17], v[6:7]
	v_fma_f64 v[4:5], s[14:15], v[4:5], v[6:7]
	v_add_co_u32 v6, vcc_lo, v12, s0
	v_add_co_ci_u32_e64 v7, null, s1, v15, vcc_lo
	v_add_co_u32 v0, vcc_lo, v6, v0
	v_add_co_ci_u32_e64 v1, null, v7, v1, vcc_lo
	global_store_dwordx2 v[0:1], v[4:5], off
	global_load_dwordx2 v[4:5], v[8:9], off offset:128
	s_waitcnt vmcnt(0)
	v_mul_f64 v[4:5], s[16:17], v[4:5]
	v_fma_f64 v[2:3], s[14:15], v[2:3], v[4:5]
	global_store_dwordx2 v[0:1], v[2:3], off offset:128
.LBB293_7:
	s_endpgm
.LBB293_8:
	s_branch .LBB293_6
	.section	.rodata,"a",@progbits
	.p2align	6, 0x0
	.amdhsa_kernel _ZN12_GLOBAL__N_127rocblas_gemm_batched_kernelIdLi16ELi16ELi32ELi32ELi8ELi32ELi8ELi8ELi32ELc67ELc78EKdS1_dEEvlllT_PT11_llS4_llS2_PT12_llPT13_lli
		.amdhsa_group_segment_fixed_size 4096
		.amdhsa_private_segment_fixed_size 0
		.amdhsa_kernarg_size 140
		.amdhsa_user_sgpr_count 6
		.amdhsa_user_sgpr_private_segment_buffer 1
		.amdhsa_user_sgpr_dispatch_ptr 0
		.amdhsa_user_sgpr_queue_ptr 0
		.amdhsa_user_sgpr_kernarg_segment_ptr 1
		.amdhsa_user_sgpr_dispatch_id 0
		.amdhsa_user_sgpr_flat_scratch_init 0
		.amdhsa_user_sgpr_private_segment_size 0
		.amdhsa_wavefront_size32 1
		.amdhsa_uses_dynamic_stack 0
		.amdhsa_system_sgpr_private_segment_wavefront_offset 0
		.amdhsa_system_sgpr_workgroup_id_x 1
		.amdhsa_system_sgpr_workgroup_id_y 1
		.amdhsa_system_sgpr_workgroup_id_z 1
		.amdhsa_system_sgpr_workgroup_info 0
		.amdhsa_system_vgpr_workitem_id 1
		.amdhsa_next_free_vgpr 38
		.amdhsa_next_free_sgpr 30
		.amdhsa_reserve_vcc 1
		.amdhsa_reserve_flat_scratch 0
		.amdhsa_float_round_mode_32 0
		.amdhsa_float_round_mode_16_64 0
		.amdhsa_float_denorm_mode_32 3
		.amdhsa_float_denorm_mode_16_64 3
		.amdhsa_dx10_clamp 1
		.amdhsa_ieee_mode 1
		.amdhsa_fp16_overflow 0
		.amdhsa_workgroup_processor_mode 1
		.amdhsa_memory_ordered 1
		.amdhsa_forward_progress 1
		.amdhsa_shared_vgpr_count 0
		.amdhsa_exception_fp_ieee_invalid_op 0
		.amdhsa_exception_fp_denorm_src 0
		.amdhsa_exception_fp_ieee_div_zero 0
		.amdhsa_exception_fp_ieee_overflow 0
		.amdhsa_exception_fp_ieee_underflow 0
		.amdhsa_exception_fp_ieee_inexact 0
		.amdhsa_exception_int_div_zero 0
	.end_amdhsa_kernel
	.section	.text._ZN12_GLOBAL__N_127rocblas_gemm_batched_kernelIdLi16ELi16ELi32ELi32ELi8ELi32ELi8ELi8ELi32ELc67ELc78EKdS1_dEEvlllT_PT11_llS4_llS2_PT12_llPT13_lli,"axG",@progbits,_ZN12_GLOBAL__N_127rocblas_gemm_batched_kernelIdLi16ELi16ELi32ELi32ELi8ELi32ELi8ELi8ELi32ELc67ELc78EKdS1_dEEvlllT_PT11_llS4_llS2_PT12_llPT13_lli,comdat
.Lfunc_end293:
	.size	_ZN12_GLOBAL__N_127rocblas_gemm_batched_kernelIdLi16ELi16ELi32ELi32ELi8ELi32ELi8ELi8ELi32ELc67ELc78EKdS1_dEEvlllT_PT11_llS4_llS2_PT12_llPT13_lli, .Lfunc_end293-_ZN12_GLOBAL__N_127rocblas_gemm_batched_kernelIdLi16ELi16ELi32ELi32ELi8ELi32ELi8ELi8ELi32ELc67ELc78EKdS1_dEEvlllT_PT11_llS4_llS2_PT12_llPT13_lli
                                        ; -- End function
	.set _ZN12_GLOBAL__N_127rocblas_gemm_batched_kernelIdLi16ELi16ELi32ELi32ELi8ELi32ELi8ELi8ELi32ELc67ELc78EKdS1_dEEvlllT_PT11_llS4_llS2_PT12_llPT13_lli.num_vgpr, 38
	.set _ZN12_GLOBAL__N_127rocblas_gemm_batched_kernelIdLi16ELi16ELi32ELi32ELi8ELi32ELi8ELi8ELi32ELc67ELc78EKdS1_dEEvlllT_PT11_llS4_llS2_PT12_llPT13_lli.num_agpr, 0
	.set _ZN12_GLOBAL__N_127rocblas_gemm_batched_kernelIdLi16ELi16ELi32ELi32ELi8ELi32ELi8ELi8ELi32ELc67ELc78EKdS1_dEEvlllT_PT11_llS4_llS2_PT12_llPT13_lli.numbered_sgpr, 30
	.set _ZN12_GLOBAL__N_127rocblas_gemm_batched_kernelIdLi16ELi16ELi32ELi32ELi8ELi32ELi8ELi8ELi32ELc67ELc78EKdS1_dEEvlllT_PT11_llS4_llS2_PT12_llPT13_lli.num_named_barrier, 0
	.set _ZN12_GLOBAL__N_127rocblas_gemm_batched_kernelIdLi16ELi16ELi32ELi32ELi8ELi32ELi8ELi8ELi32ELc67ELc78EKdS1_dEEvlllT_PT11_llS4_llS2_PT12_llPT13_lli.private_seg_size, 0
	.set _ZN12_GLOBAL__N_127rocblas_gemm_batched_kernelIdLi16ELi16ELi32ELi32ELi8ELi32ELi8ELi8ELi32ELc67ELc78EKdS1_dEEvlllT_PT11_llS4_llS2_PT12_llPT13_lli.uses_vcc, 1
	.set _ZN12_GLOBAL__N_127rocblas_gemm_batched_kernelIdLi16ELi16ELi32ELi32ELi8ELi32ELi8ELi8ELi32ELc67ELc78EKdS1_dEEvlllT_PT11_llS4_llS2_PT12_llPT13_lli.uses_flat_scratch, 0
	.set _ZN12_GLOBAL__N_127rocblas_gemm_batched_kernelIdLi16ELi16ELi32ELi32ELi8ELi32ELi8ELi8ELi32ELc67ELc78EKdS1_dEEvlllT_PT11_llS4_llS2_PT12_llPT13_lli.has_dyn_sized_stack, 0
	.set _ZN12_GLOBAL__N_127rocblas_gemm_batched_kernelIdLi16ELi16ELi32ELi32ELi8ELi32ELi8ELi8ELi32ELc67ELc78EKdS1_dEEvlllT_PT11_llS4_llS2_PT12_llPT13_lli.has_recursion, 0
	.set _ZN12_GLOBAL__N_127rocblas_gemm_batched_kernelIdLi16ELi16ELi32ELi32ELi8ELi32ELi8ELi8ELi32ELc67ELc78EKdS1_dEEvlllT_PT11_llS4_llS2_PT12_llPT13_lli.has_indirect_call, 0
	.section	.AMDGPU.csdata,"",@progbits
; Kernel info:
; codeLenInByte = 1656
; TotalNumSgprs: 32
; NumVgprs: 38
; ScratchSize: 0
; MemoryBound: 0
; FloatMode: 240
; IeeeMode: 1
; LDSByteSize: 4096 bytes/workgroup (compile time only)
; SGPRBlocks: 0
; VGPRBlocks: 4
; NumSGPRsForWavesPerEU: 32
; NumVGPRsForWavesPerEU: 38
; Occupancy: 16
; WaveLimiterHint : 1
; COMPUTE_PGM_RSRC2:SCRATCH_EN: 0
; COMPUTE_PGM_RSRC2:USER_SGPR: 6
; COMPUTE_PGM_RSRC2:TRAP_HANDLER: 0
; COMPUTE_PGM_RSRC2:TGID_X_EN: 1
; COMPUTE_PGM_RSRC2:TGID_Y_EN: 1
; COMPUTE_PGM_RSRC2:TGID_Z_EN: 1
; COMPUTE_PGM_RSRC2:TIDIG_COMP_CNT: 1
	.section	.text._ZN12_GLOBAL__N_127rocblas_gemm_batched_kernelIdLi16ELi16ELi32ELi32ELi8ELi32ELi8ELi8ELi32ELc67ELc84EKdS1_dEEvlllT_PT11_llS4_llS2_PT12_llPT13_lli,"axG",@progbits,_ZN12_GLOBAL__N_127rocblas_gemm_batched_kernelIdLi16ELi16ELi32ELi32ELi8ELi32ELi8ELi8ELi32ELc67ELc84EKdS1_dEEvlllT_PT11_llS4_llS2_PT12_llPT13_lli,comdat
	.globl	_ZN12_GLOBAL__N_127rocblas_gemm_batched_kernelIdLi16ELi16ELi32ELi32ELi8ELi32ELi8ELi8ELi32ELc67ELc84EKdS1_dEEvlllT_PT11_llS4_llS2_PT12_llPT13_lli ; -- Begin function _ZN12_GLOBAL__N_127rocblas_gemm_batched_kernelIdLi16ELi16ELi32ELi32ELi8ELi32ELi8ELi8ELi32ELc67ELc84EKdS1_dEEvlllT_PT11_llS4_llS2_PT12_llPT13_lli
	.p2align	8
	.type	_ZN12_GLOBAL__N_127rocblas_gemm_batched_kernelIdLi16ELi16ELi32ELi32ELi8ELi32ELi8ELi8ELi32ELc67ELc84EKdS1_dEEvlllT_PT11_llS4_llS2_PT12_llPT13_lli,@function
_ZN12_GLOBAL__N_127rocblas_gemm_batched_kernelIdLi16ELi16ELi32ELi32ELi8ELi32ELi8ELi8ELi32ELc67ELc84EKdS1_dEEvlllT_PT11_llS4_llS2_PT12_llPT13_lli: ; @_ZN12_GLOBAL__N_127rocblas_gemm_batched_kernelIdLi16ELi16ELi32ELi32ELi8ELi32ELi8ELi8ELi32ELc67ELc84EKdS1_dEEvlllT_PT11_llS4_llS2_PT12_llPT13_lli
; %bb.0:
	s_load_dwordx16 s[12:27], s[4:5], 0x10
	s_mov_b32 s0, s7
	v_mov_b32_e32 v3, 0
	s_ashr_i32 s7, s6, 31
	s_ashr_i32 s1, s0, 31
	s_lshl_b64 s[10:11], s[6:7], 5
	s_lshl_b64 s[28:29], s[0:1], 5
	s_waitcnt lgkmcnt(0)
	v_cmp_lt_i64_e64 s2, s[12:13], 1
	s_and_b32 vcc_lo, exec_lo, s2
	s_cbranch_vccnz .LBB294_3
; %bb.1:
	v_lshl_add_u32 v5, v1, 4, v0
	v_and_b32_e32 v6, 7, v0
	s_mul_i32 s0, s27, s8
	s_mul_hi_u32 s1, s26, s8
	v_lshlrev_b32_e32 v14, 3, v0
	v_lshrrev_b32_e32 v2, 3, v5
	v_and_b32_e32 v7, 31, v5
	v_lshlrev_b32_e32 v8, 3, v6
	s_add_i32 s1, s1, s0
	v_lshrrev_b32_e32 v9, 5, v5
	v_mad_u64_u32 v[3:4], null, s24, v6, v[2:3]
	v_lshlrev_b32_e32 v5, 3, v7
	v_add_co_u32 v7, s0, s10, v7
	v_lshl_or_b32 v8, v2, 6, v8
	v_add_co_ci_u32_e64 v10, null, s11, 0, s0
	v_mov_b32_e32 v2, v4
	v_lshl_or_b32 v15, v9, 8, v5
	v_add_nc_u32_e32 v16, 0x800, v8
	v_mul_lo_u32 v8, s19, v7
	v_mul_lo_u32 v10, s18, v10
	v_mad_u64_u32 v[4:5], null, s25, v6, v[2:3]
	v_mad_u64_u32 v[5:6], null, s18, v7, 0
	s_mul_i32 s0, s26, s8
	v_add_co_u32 v2, vcc_lo, v3, s28
	s_lshl_b64 s[0:1], s[0:1], 3
	v_add_co_ci_u32_e64 v3, null, s29, v4, vcc_lo
	v_add3_u32 v6, v6, v10, v8
	s_add_u32 s2, s22, s0
	s_addc_u32 s3, s23, s1
	s_mul_i32 s0, s21, s8
	s_mul_hi_u32 s1, s20, s8
	v_lshlrev_b64 v[4:5], 3, v[5:6]
	s_add_i32 s1, s1, s0
	s_mul_i32 s0, s20, s8
	v_lshlrev_b64 v[2:3], 3, v[2:3]
	s_lshl_b64 s[0:1], s[0:1], 3
	v_lshlrev_b32_e32 v6, 3, v9
	v_add_co_u32 v4, vcc_lo, v4, s0
	v_add_co_ci_u32_e64 v5, null, s1, v5, vcc_lo
	v_add_co_u32 v10, vcc_lo, s2, v2
	v_add_co_ci_u32_e64 v11, null, s3, v3, vcc_lo
	;; [unrolled: 2-line block ×3, first 2 shown]
	v_mov_b32_e32 v2, 0
	v_add_co_u32 v12, vcc_lo, s16, v12
	v_mov_b32_e32 v4, 0
	v_mov_b32_e32 v6, 0
	;; [unrolled: 1-line block ×3, first 2 shown]
	v_lshl_add_u32 v17, v1, 6, 0x800
	v_mov_b32_e32 v3, 0
	v_mov_b32_e32 v5, 0
	;; [unrolled: 1-line block ×4, first 2 shown]
	v_add_co_ci_u32_e64 v13, null, s17, v13, vcc_lo
	s_lshl_b64 s[0:1], s[24:25], 6
	s_mov_b64 s[2:3], 0
.LBB294_2:                              ; =>This Inner Loop Header: Depth=1
	global_load_dwordx2 v[18:19], v[12:13], off
	global_load_dwordx2 v[20:21], v[10:11], off
	s_add_u32 s2, s2, 8
	s_addc_u32 s3, s3, 0
	v_add_co_u32 v10, vcc_lo, v10, s0
	v_cmp_lt_i64_e64 s6, s[2:3], s[12:13]
	v_add_co_ci_u32_e64 v11, null, s1, v11, vcc_lo
	v_add_co_u32 v12, vcc_lo, v12, 64
	v_add_co_ci_u32_e64 v13, null, 0, v13, vcc_lo
	s_and_b32 vcc_lo, exec_lo, s6
	s_waitcnt vmcnt(1)
	ds_write_b64 v15, v[18:19]
	s_waitcnt vmcnt(0)
	ds_write_b64 v16, v[20:21]
	s_waitcnt lgkmcnt(0)
	s_barrier
	buffer_gl0_inv
	ds_read_b128 v[18:21], v17
	ds_read2_b64 v[22:25], v14 offset1:16
	ds_read_b128 v[26:29], v17 offset:1024
	ds_read_b128 v[30:33], v17 offset:16
	;; [unrolled: 1-line block ×3, first 2 shown]
	s_waitcnt lgkmcnt(3)
	v_fma_f64 v[8:9], v[22:23], v[18:19], v[8:9]
	v_fma_f64 v[6:7], v[24:25], v[18:19], v[6:7]
	s_waitcnt lgkmcnt(2)
	v_fma_f64 v[18:19], v[22:23], v[26:27], v[4:5]
	v_fma_f64 v[22:23], v[24:25], v[26:27], v[2:3]
	ds_read2_b64 v[2:5], v14 offset0:32 offset1:48
	s_waitcnt lgkmcnt(0)
	v_fma_f64 v[8:9], v[2:3], v[20:21], v[8:9]
	v_fma_f64 v[6:7], v[4:5], v[20:21], v[6:7]
	;; [unrolled: 1-line block ×4, first 2 shown]
	ds_read2_b64 v[2:5], v14 offset0:64 offset1:80
	s_waitcnt lgkmcnt(0)
	v_fma_f64 v[22:23], v[2:3], v[30:31], v[8:9]
	v_fma_f64 v[24:25], v[4:5], v[30:31], v[6:7]
	;; [unrolled: 1-line block ×4, first 2 shown]
	ds_read2_b64 v[2:5], v14 offset0:96 offset1:112
	ds_read_b128 v[6:9], v17 offset:32
	ds_read2_b64 v[18:21], v14 offset0:128 offset1:144
	s_waitcnt lgkmcnt(2)
	v_fma_f64 v[30:31], v[2:3], v[32:33], v[22:23]
	v_fma_f64 v[32:33], v[4:5], v[32:33], v[24:25]
	v_fma_f64 v[34:35], v[2:3], v[36:37], v[26:27]
	v_fma_f64 v[36:37], v[4:5], v[36:37], v[28:29]
	ds_read_b128 v[2:5], v17 offset:1056
	ds_read_b128 v[22:25], v17 offset:48
	;; [unrolled: 1-line block ×3, first 2 shown]
	s_waitcnt lgkmcnt(3)
	v_fma_f64 v[30:31], v[18:19], v[6:7], v[30:31]
	v_fma_f64 v[6:7], v[20:21], v[6:7], v[32:33]
	s_waitcnt lgkmcnt(2)
	v_fma_f64 v[32:33], v[18:19], v[2:3], v[34:35]
	v_fma_f64 v[2:3], v[20:21], v[2:3], v[36:37]
	ds_read2_b64 v[18:21], v14 offset0:160 offset1:176
	s_waitcnt lgkmcnt(0)
	v_fma_f64 v[30:31], v[18:19], v[8:9], v[30:31]
	v_fma_f64 v[6:7], v[20:21], v[8:9], v[6:7]
	;; [unrolled: 1-line block ×4, first 2 shown]
	ds_read2_b64 v[2:5], v14 offset0:192 offset1:208
	s_waitcnt lgkmcnt(0)
	v_fma_f64 v[30:31], v[2:3], v[22:23], v[30:31]
	v_fma_f64 v[6:7], v[4:5], v[22:23], v[6:7]
	v_fma_f64 v[2:3], v[2:3], v[26:27], v[8:9]
	v_fma_f64 v[22:23], v[4:5], v[26:27], v[18:19]
	ds_read2_b64 v[18:21], v14 offset0:224 offset1:240
	s_waitcnt lgkmcnt(0)
	s_barrier
	buffer_gl0_inv
	v_fma_f64 v[8:9], v[18:19], v[24:25], v[30:31]
	v_fma_f64 v[6:7], v[20:21], v[24:25], v[6:7]
	;; [unrolled: 1-line block ×4, first 2 shown]
	s_cbranch_vccnz .LBB294_2
	s_branch .LBB294_4
.LBB294_3:
	v_mov_b32_e32 v8, 0
	v_mov_b32_e32 v6, 0
	;; [unrolled: 1-line block ×8, first 2 shown]
.LBB294_4:
	s_clause 0x1
	s_load_dwordx8 s[16:23], s[4:5], 0x50
	s_load_dwordx8 s[0:7], s[4:5], 0x70
	s_waitcnt lgkmcnt(0)
	v_cmp_neq_f64_e64 s6, s[16:17], 0
	s_mul_i32 s5, s5, s8
	s_mul_hi_u32 s7, s4, s8
	s_mul_i32 s4, s4, s8
	s_add_i32 s5, s7, s5
	v_add_co_u32 v10, s7, s28, v1
	v_add_co_ci_u32_e64 v13, null, s29, 0, s7
	v_add_co_u32 v0, s7, s10, v0
	v_add_co_ci_u32_e64 v1, null, s11, 0, s7
	v_mul_lo_u32 v11, v13, s2
	v_mul_lo_u32 v12, v10, s3
	s_lshl_b64 s[4:5], s[4:5], 3
	v_lshlrev_b64 v[0:1], 3, v[0:1]
	s_add_u32 s0, s0, s4
	s_addc_u32 s1, s1, s5
	s_and_b32 vcc_lo, exec_lo, s6
	s_cbranch_vccnz .LBB294_8
; %bb.5:
	v_mad_u64_u32 v[14:15], null, v10, s2, 0
	v_mul_f64 v[16:17], s[14:15], v[8:9]
	v_mul_f64 v[18:19], s[14:15], v[6:7]
	;; [unrolled: 1-line block ×4, first 2 shown]
	s_lshl_b64 s[4:5], s[2:3], 7
	v_add3_u32 v15, v15, v12, v11
	v_lshlrev_b64 v[14:15], 3, v[14:15]
	v_add_co_u32 v14, vcc_lo, s0, v14
	v_add_co_ci_u32_e64 v15, null, s1, v15, vcc_lo
	v_add_co_u32 v24, vcc_lo, v14, s4
	v_add_co_ci_u32_e64 v25, null, s5, v15, vcc_lo
	;; [unrolled: 2-line block ×4, first 2 shown]
	global_store_dwordx2 v[14:15], v[16:17], off
	global_store_dwordx2 v[14:15], v[18:19], off offset:128
	global_store_dwordx2 v[24:25], v[20:21], off
	global_store_dwordx2 v[24:25], v[22:23], off offset:128
	s_cbranch_execnz .LBB294_7
.LBB294_6:
	v_mul_lo_u32 v15, v13, s20
	v_mul_lo_u32 v16, v10, s21
	v_mad_u64_u32 v[13:14], null, v10, s20, 0
	s_mul_i32 s5, s23, s8
	s_mul_hi_u32 s6, s22, s8
	s_mul_i32 s4, s22, s8
	s_add_i32 s5, s6, s5
	v_mad_u64_u32 v[17:18], null, v10, s2, 0
	v_add3_u32 v14, v14, v16, v15
	s_lshl_b64 s[4:5], s[4:5], 3
	s_add_u32 s4, s18, s4
	s_addc_u32 s5, s19, s5
	v_lshlrev_b64 v[13:14], 3, v[13:14]
	v_add3_u32 v18, v18, v12, v11
	v_lshlrev_b64 v[10:11], 3, v[17:18]
	v_add_co_u32 v19, vcc_lo, s4, v13
	v_add_co_ci_u32_e64 v20, null, s5, v14, vcc_lo
	v_add_co_u32 v13, vcc_lo, v19, v0
	v_add_co_ci_u32_e64 v14, null, v20, v1, vcc_lo
	v_add_co_u32 v12, vcc_lo, s0, v10
	global_load_dwordx2 v[15:16], v[13:14], off
	s_waitcnt vmcnt(0)
	v_mul_f64 v[15:16], s[16:17], v[15:16]
	v_fma_f64 v[8:9], s[14:15], v[8:9], v[15:16]
	v_add_co_ci_u32_e64 v15, null, s1, v11, vcc_lo
	v_add_co_u32 v10, vcc_lo, v12, v0
	s_lshl_b64 s[0:1], s[20:21], 7
	v_add_co_ci_u32_e64 v11, null, v15, v1, vcc_lo
	global_store_dwordx2 v[10:11], v[8:9], off
	global_load_dwordx2 v[8:9], v[13:14], off offset:128
	s_waitcnt vmcnt(0)
	v_mul_f64 v[8:9], s[16:17], v[8:9]
	v_fma_f64 v[6:7], s[14:15], v[6:7], v[8:9]
	v_add_co_u32 v8, vcc_lo, v19, s0
	v_add_co_ci_u32_e64 v9, null, s1, v20, vcc_lo
	s_lshl_b64 s[0:1], s[2:3], 7
	v_add_co_u32 v8, vcc_lo, v8, v0
	v_add_co_ci_u32_e64 v9, null, v9, v1, vcc_lo
	global_store_dwordx2 v[10:11], v[6:7], off offset:128
	global_load_dwordx2 v[6:7], v[8:9], off
	s_waitcnt vmcnt(0)
	v_mul_f64 v[6:7], s[16:17], v[6:7]
	v_fma_f64 v[4:5], s[14:15], v[4:5], v[6:7]
	v_add_co_u32 v6, vcc_lo, v12, s0
	v_add_co_ci_u32_e64 v7, null, s1, v15, vcc_lo
	v_add_co_u32 v0, vcc_lo, v6, v0
	v_add_co_ci_u32_e64 v1, null, v7, v1, vcc_lo
	global_store_dwordx2 v[0:1], v[4:5], off
	global_load_dwordx2 v[4:5], v[8:9], off offset:128
	s_waitcnt vmcnt(0)
	v_mul_f64 v[4:5], s[16:17], v[4:5]
	v_fma_f64 v[2:3], s[14:15], v[2:3], v[4:5]
	global_store_dwordx2 v[0:1], v[2:3], off offset:128
.LBB294_7:
	s_endpgm
.LBB294_8:
	s_branch .LBB294_6
	.section	.rodata,"a",@progbits
	.p2align	6, 0x0
	.amdhsa_kernel _ZN12_GLOBAL__N_127rocblas_gemm_batched_kernelIdLi16ELi16ELi32ELi32ELi8ELi32ELi8ELi8ELi32ELc67ELc84EKdS1_dEEvlllT_PT11_llS4_llS2_PT12_llPT13_lli
		.amdhsa_group_segment_fixed_size 4096
		.amdhsa_private_segment_fixed_size 0
		.amdhsa_kernarg_size 140
		.amdhsa_user_sgpr_count 6
		.amdhsa_user_sgpr_private_segment_buffer 1
		.amdhsa_user_sgpr_dispatch_ptr 0
		.amdhsa_user_sgpr_queue_ptr 0
		.amdhsa_user_sgpr_kernarg_segment_ptr 1
		.amdhsa_user_sgpr_dispatch_id 0
		.amdhsa_user_sgpr_flat_scratch_init 0
		.amdhsa_user_sgpr_private_segment_size 0
		.amdhsa_wavefront_size32 1
		.amdhsa_uses_dynamic_stack 0
		.amdhsa_system_sgpr_private_segment_wavefront_offset 0
		.amdhsa_system_sgpr_workgroup_id_x 1
		.amdhsa_system_sgpr_workgroup_id_y 1
		.amdhsa_system_sgpr_workgroup_id_z 1
		.amdhsa_system_sgpr_workgroup_info 0
		.amdhsa_system_vgpr_workitem_id 1
		.amdhsa_next_free_vgpr 38
		.amdhsa_next_free_sgpr 30
		.amdhsa_reserve_vcc 1
		.amdhsa_reserve_flat_scratch 0
		.amdhsa_float_round_mode_32 0
		.amdhsa_float_round_mode_16_64 0
		.amdhsa_float_denorm_mode_32 3
		.amdhsa_float_denorm_mode_16_64 3
		.amdhsa_dx10_clamp 1
		.amdhsa_ieee_mode 1
		.amdhsa_fp16_overflow 0
		.amdhsa_workgroup_processor_mode 1
		.amdhsa_memory_ordered 1
		.amdhsa_forward_progress 1
		.amdhsa_shared_vgpr_count 0
		.amdhsa_exception_fp_ieee_invalid_op 0
		.amdhsa_exception_fp_denorm_src 0
		.amdhsa_exception_fp_ieee_div_zero 0
		.amdhsa_exception_fp_ieee_overflow 0
		.amdhsa_exception_fp_ieee_underflow 0
		.amdhsa_exception_fp_ieee_inexact 0
		.amdhsa_exception_int_div_zero 0
	.end_amdhsa_kernel
	.section	.text._ZN12_GLOBAL__N_127rocblas_gemm_batched_kernelIdLi16ELi16ELi32ELi32ELi8ELi32ELi8ELi8ELi32ELc67ELc84EKdS1_dEEvlllT_PT11_llS4_llS2_PT12_llPT13_lli,"axG",@progbits,_ZN12_GLOBAL__N_127rocblas_gemm_batched_kernelIdLi16ELi16ELi32ELi32ELi8ELi32ELi8ELi8ELi32ELc67ELc84EKdS1_dEEvlllT_PT11_llS4_llS2_PT12_llPT13_lli,comdat
.Lfunc_end294:
	.size	_ZN12_GLOBAL__N_127rocblas_gemm_batched_kernelIdLi16ELi16ELi32ELi32ELi8ELi32ELi8ELi8ELi32ELc67ELc84EKdS1_dEEvlllT_PT11_llS4_llS2_PT12_llPT13_lli, .Lfunc_end294-_ZN12_GLOBAL__N_127rocblas_gemm_batched_kernelIdLi16ELi16ELi32ELi32ELi8ELi32ELi8ELi8ELi32ELc67ELc84EKdS1_dEEvlllT_PT11_llS4_llS2_PT12_llPT13_lli
                                        ; -- End function
	.set _ZN12_GLOBAL__N_127rocblas_gemm_batched_kernelIdLi16ELi16ELi32ELi32ELi8ELi32ELi8ELi8ELi32ELc67ELc84EKdS1_dEEvlllT_PT11_llS4_llS2_PT12_llPT13_lli.num_vgpr, 38
	.set _ZN12_GLOBAL__N_127rocblas_gemm_batched_kernelIdLi16ELi16ELi32ELi32ELi8ELi32ELi8ELi8ELi32ELc67ELc84EKdS1_dEEvlllT_PT11_llS4_llS2_PT12_llPT13_lli.num_agpr, 0
	.set _ZN12_GLOBAL__N_127rocblas_gemm_batched_kernelIdLi16ELi16ELi32ELi32ELi8ELi32ELi8ELi8ELi32ELc67ELc84EKdS1_dEEvlllT_PT11_llS4_llS2_PT12_llPT13_lli.numbered_sgpr, 30
	.set _ZN12_GLOBAL__N_127rocblas_gemm_batched_kernelIdLi16ELi16ELi32ELi32ELi8ELi32ELi8ELi8ELi32ELc67ELc84EKdS1_dEEvlllT_PT11_llS4_llS2_PT12_llPT13_lli.num_named_barrier, 0
	.set _ZN12_GLOBAL__N_127rocblas_gemm_batched_kernelIdLi16ELi16ELi32ELi32ELi8ELi32ELi8ELi8ELi32ELc67ELc84EKdS1_dEEvlllT_PT11_llS4_llS2_PT12_llPT13_lli.private_seg_size, 0
	.set _ZN12_GLOBAL__N_127rocblas_gemm_batched_kernelIdLi16ELi16ELi32ELi32ELi8ELi32ELi8ELi8ELi32ELc67ELc84EKdS1_dEEvlllT_PT11_llS4_llS2_PT12_llPT13_lli.uses_vcc, 1
	.set _ZN12_GLOBAL__N_127rocblas_gemm_batched_kernelIdLi16ELi16ELi32ELi32ELi8ELi32ELi8ELi8ELi32ELc67ELc84EKdS1_dEEvlllT_PT11_llS4_llS2_PT12_llPT13_lli.uses_flat_scratch, 0
	.set _ZN12_GLOBAL__N_127rocblas_gemm_batched_kernelIdLi16ELi16ELi32ELi32ELi8ELi32ELi8ELi8ELi32ELc67ELc84EKdS1_dEEvlllT_PT11_llS4_llS2_PT12_llPT13_lli.has_dyn_sized_stack, 0
	.set _ZN12_GLOBAL__N_127rocblas_gemm_batched_kernelIdLi16ELi16ELi32ELi32ELi8ELi32ELi8ELi8ELi32ELc67ELc84EKdS1_dEEvlllT_PT11_llS4_llS2_PT12_llPT13_lli.has_recursion, 0
	.set _ZN12_GLOBAL__N_127rocblas_gemm_batched_kernelIdLi16ELi16ELi32ELi32ELi8ELi32ELi8ELi8ELi32ELc67ELc84EKdS1_dEEvlllT_PT11_llS4_llS2_PT12_llPT13_lli.has_indirect_call, 0
	.section	.AMDGPU.csdata,"",@progbits
; Kernel info:
; codeLenInByte = 1628
; TotalNumSgprs: 32
; NumVgprs: 38
; ScratchSize: 0
; MemoryBound: 0
; FloatMode: 240
; IeeeMode: 1
; LDSByteSize: 4096 bytes/workgroup (compile time only)
; SGPRBlocks: 0
; VGPRBlocks: 4
; NumSGPRsForWavesPerEU: 32
; NumVGPRsForWavesPerEU: 38
; Occupancy: 16
; WaveLimiterHint : 1
; COMPUTE_PGM_RSRC2:SCRATCH_EN: 0
; COMPUTE_PGM_RSRC2:USER_SGPR: 6
; COMPUTE_PGM_RSRC2:TRAP_HANDLER: 0
; COMPUTE_PGM_RSRC2:TGID_X_EN: 1
; COMPUTE_PGM_RSRC2:TGID_Y_EN: 1
; COMPUTE_PGM_RSRC2:TGID_Z_EN: 1
; COMPUTE_PGM_RSRC2:TIDIG_COMP_CNT: 1
	.section	.text._ZN12_GLOBAL__N_127rocblas_gemm_batched_kernelIdLi16ELi16ELi32ELi32ELi8ELi32ELi8ELi8ELi32ELc78ELc67EKdS1_dEEvlllT_PT11_llS4_llS2_PT12_llPT13_lli,"axG",@progbits,_ZN12_GLOBAL__N_127rocblas_gemm_batched_kernelIdLi16ELi16ELi32ELi32ELi8ELi32ELi8ELi8ELi32ELc78ELc67EKdS1_dEEvlllT_PT11_llS4_llS2_PT12_llPT13_lli,comdat
	.globl	_ZN12_GLOBAL__N_127rocblas_gemm_batched_kernelIdLi16ELi16ELi32ELi32ELi8ELi32ELi8ELi8ELi32ELc78ELc67EKdS1_dEEvlllT_PT11_llS4_llS2_PT12_llPT13_lli ; -- Begin function _ZN12_GLOBAL__N_127rocblas_gemm_batched_kernelIdLi16ELi16ELi32ELi32ELi8ELi32ELi8ELi8ELi32ELc78ELc67EKdS1_dEEvlllT_PT11_llS4_llS2_PT12_llPT13_lli
	.p2align	8
	.type	_ZN12_GLOBAL__N_127rocblas_gemm_batched_kernelIdLi16ELi16ELi32ELi32ELi8ELi32ELi8ELi8ELi32ELc78ELc67EKdS1_dEEvlllT_PT11_llS4_llS2_PT12_llPT13_lli,@function
_ZN12_GLOBAL__N_127rocblas_gemm_batched_kernelIdLi16ELi16ELi32ELi32ELi8ELi32ELi8ELi8ELi32ELc78ELc67EKdS1_dEEvlllT_PT11_llS4_llS2_PT12_llPT13_lli: ; @_ZN12_GLOBAL__N_127rocblas_gemm_batched_kernelIdLi16ELi16ELi32ELi32ELi8ELi32ELi8ELi8ELi32ELc78ELc67EKdS1_dEEvlllT_PT11_llS4_llS2_PT12_llPT13_lli
; %bb.0:
	s_load_dwordx16 s[12:27], s[4:5], 0x10
	s_mov_b32 s0, s7
	v_mov_b32_e32 v3, 0
	s_ashr_i32 s7, s6, 31
	s_ashr_i32 s1, s0, 31
	s_lshl_b64 s[10:11], s[6:7], 5
	s_lshl_b64 s[28:29], s[0:1], 5
	s_waitcnt lgkmcnt(0)
	v_cmp_lt_i64_e64 s2, s[12:13], 1
	s_and_b32 vcc_lo, exec_lo, s2
	s_cbranch_vccnz .LBB295_3
; %bb.1:
	v_lshl_add_u32 v5, v1, 4, v0
	v_and_b32_e32 v6, 7, v0
	s_mul_i32 s1, s27, s8
	s_mul_hi_u32 s2, s26, s8
	s_mul_i32 s0, s26, s8
	v_lshrrev_b32_e32 v2, 3, v5
	v_and_b32_e32 v8, 31, v5
	v_lshrrev_b32_e32 v7, 5, v5
	v_lshlrev_b32_e32 v9, 3, v6
	s_add_i32 s1, s2, s1
	v_mad_u64_u32 v[3:4], null, s24, v6, v[2:3]
	v_lshlrev_b32_e32 v10, 3, v8
	v_lshl_or_b32 v9, v2, 6, v9
	s_lshl_b64 s[0:1], s[0:1], 3
	s_mul_i32 s3, s21, s8
	s_add_u32 s0, s22, s0
	v_lshl_or_b32 v16, v7, 8, v10
	v_mad_u64_u32 v[4:5], null, s25, v6, v[4:5]
	v_mad_u64_u32 v[5:6], null, s18, v7, s[10:11]
	v_add_co_u32 v3, vcc_lo, v3, s28
	s_addc_u32 s1, s23, s1
	s_mul_hi_u32 s6, s20, s8
	v_add_co_ci_u32_e64 v4, null, s29, v4, vcc_lo
	v_mov_b32_e32 v2, v6
	s_add_i32 s3, s6, s3
	s_mul_i32 s2, s20, s8
	v_lshlrev_b64 v[3:4], 3, v[3:4]
	s_lshl_b64 s[2:3], s[2:3], 3
	v_add_nc_u32_e32 v17, 0x800, v9
	v_lshlrev_b32_e32 v14, 3, v0
	v_lshl_add_u32 v15, v1, 6, 0x800
	s_mov_b64 s[6:7], 0
	v_mad_u64_u32 v[6:7], null, s19, v7, v[2:3]
	v_add_co_u32 v10, vcc_lo, s0, v3
	v_add_co_ci_u32_e64 v11, null, s1, v4, vcc_lo
	v_add_co_u32 v2, vcc_lo, v5, v8
	v_add_co_ci_u32_e64 v3, null, 0, v6, vcc_lo
	s_lshl_b64 s[0:1], s[24:25], 6
	s_add_u32 s2, s16, s2
	s_addc_u32 s3, s17, s3
	v_lshlrev_b64 v[12:13], 3, v[2:3]
	v_mov_b32_e32 v2, 0
	v_mov_b32_e32 v4, 0
	;; [unrolled: 1-line block ×5, first 2 shown]
	v_add_co_u32 v12, vcc_lo, s2, v12
	v_mov_b32_e32 v5, 0
	v_mov_b32_e32 v7, 0
	;; [unrolled: 1-line block ×3, first 2 shown]
	v_add_co_ci_u32_e64 v13, null, s3, v13, vcc_lo
	s_lshl_b64 s[2:3], s[18:19], 6
.LBB295_2:                              ; =>This Inner Loop Header: Depth=1
	global_load_dwordx2 v[18:19], v[12:13], off
	global_load_dwordx2 v[20:21], v[10:11], off
	s_add_u32 s6, s6, 8
	s_addc_u32 s7, s7, 0
	v_add_co_u32 v10, vcc_lo, v10, s0
	v_cmp_lt_i64_e64 s9, s[6:7], s[12:13]
	v_add_co_ci_u32_e64 v11, null, s1, v11, vcc_lo
	v_add_co_u32 v12, vcc_lo, v12, s2
	v_add_co_ci_u32_e64 v13, null, s3, v13, vcc_lo
	s_and_b32 vcc_lo, exec_lo, s9
	s_waitcnt vmcnt(1)
	ds_write_b64 v16, v[18:19]
	s_waitcnt vmcnt(0)
	ds_write_b64 v17, v[20:21]
	s_waitcnt lgkmcnt(0)
	s_barrier
	buffer_gl0_inv
	ds_read_b128 v[18:21], v15
	ds_read2_b64 v[22:25], v14 offset1:16
	ds_read_b128 v[26:29], v15 offset:1024
	ds_read_b128 v[30:33], v15 offset:16
	ds_read_b128 v[34:37], v15 offset:1040
	s_waitcnt lgkmcnt(3)
	v_fma_f64 v[8:9], v[22:23], v[18:19], v[8:9]
	v_fma_f64 v[6:7], v[24:25], v[18:19], v[6:7]
	s_waitcnt lgkmcnt(2)
	v_fma_f64 v[18:19], v[22:23], v[26:27], v[4:5]
	v_fma_f64 v[22:23], v[24:25], v[26:27], v[2:3]
	ds_read2_b64 v[2:5], v14 offset0:32 offset1:48
	s_waitcnt lgkmcnt(0)
	v_fma_f64 v[8:9], v[2:3], v[20:21], v[8:9]
	v_fma_f64 v[6:7], v[4:5], v[20:21], v[6:7]
	;; [unrolled: 1-line block ×4, first 2 shown]
	ds_read2_b64 v[2:5], v14 offset0:64 offset1:80
	s_waitcnt lgkmcnt(0)
	v_fma_f64 v[22:23], v[2:3], v[30:31], v[8:9]
	v_fma_f64 v[24:25], v[4:5], v[30:31], v[6:7]
	;; [unrolled: 1-line block ×4, first 2 shown]
	ds_read2_b64 v[2:5], v14 offset0:96 offset1:112
	ds_read_b128 v[6:9], v15 offset:32
	ds_read2_b64 v[18:21], v14 offset0:128 offset1:144
	s_waitcnt lgkmcnt(2)
	v_fma_f64 v[30:31], v[2:3], v[32:33], v[22:23]
	v_fma_f64 v[32:33], v[4:5], v[32:33], v[24:25]
	;; [unrolled: 1-line block ×4, first 2 shown]
	ds_read_b128 v[2:5], v15 offset:1056
	ds_read_b128 v[22:25], v15 offset:48
	;; [unrolled: 1-line block ×3, first 2 shown]
	s_waitcnt lgkmcnt(3)
	v_fma_f64 v[30:31], v[18:19], v[6:7], v[30:31]
	v_fma_f64 v[6:7], v[20:21], v[6:7], v[32:33]
	s_waitcnt lgkmcnt(2)
	v_fma_f64 v[32:33], v[18:19], v[2:3], v[34:35]
	v_fma_f64 v[2:3], v[20:21], v[2:3], v[36:37]
	ds_read2_b64 v[18:21], v14 offset0:160 offset1:176
	s_waitcnt lgkmcnt(0)
	v_fma_f64 v[30:31], v[18:19], v[8:9], v[30:31]
	v_fma_f64 v[6:7], v[20:21], v[8:9], v[6:7]
	;; [unrolled: 1-line block ×4, first 2 shown]
	ds_read2_b64 v[2:5], v14 offset0:192 offset1:208
	s_waitcnt lgkmcnt(0)
	v_fma_f64 v[30:31], v[2:3], v[22:23], v[30:31]
	v_fma_f64 v[6:7], v[4:5], v[22:23], v[6:7]
	;; [unrolled: 1-line block ×4, first 2 shown]
	ds_read2_b64 v[18:21], v14 offset0:224 offset1:240
	s_waitcnt lgkmcnt(0)
	s_barrier
	buffer_gl0_inv
	v_fma_f64 v[8:9], v[18:19], v[24:25], v[30:31]
	v_fma_f64 v[6:7], v[20:21], v[24:25], v[6:7]
	;; [unrolled: 1-line block ×4, first 2 shown]
	s_cbranch_vccnz .LBB295_2
	s_branch .LBB295_4
.LBB295_3:
	v_mov_b32_e32 v8, 0
	v_mov_b32_e32 v6, 0
	;; [unrolled: 1-line block ×8, first 2 shown]
.LBB295_4:
	s_clause 0x1
	s_load_dwordx8 s[16:23], s[4:5], 0x50
	s_load_dwordx8 s[0:7], s[4:5], 0x70
	s_waitcnt lgkmcnt(0)
	v_cmp_neq_f64_e64 s6, s[16:17], 0
	s_mul_i32 s5, s5, s8
	s_mul_hi_u32 s7, s4, s8
	s_mul_i32 s4, s4, s8
	s_add_i32 s5, s7, s5
	v_add_co_u32 v10, s7, s28, v1
	v_add_co_ci_u32_e64 v13, null, s29, 0, s7
	v_add_co_u32 v0, s7, s10, v0
	v_add_co_ci_u32_e64 v1, null, s11, 0, s7
	v_mul_lo_u32 v11, v13, s2
	v_mul_lo_u32 v12, v10, s3
	s_lshl_b64 s[4:5], s[4:5], 3
	v_lshlrev_b64 v[0:1], 3, v[0:1]
	s_add_u32 s0, s0, s4
	s_addc_u32 s1, s1, s5
	s_and_b32 vcc_lo, exec_lo, s6
	s_cbranch_vccnz .LBB295_8
; %bb.5:
	v_mad_u64_u32 v[14:15], null, v10, s2, 0
	v_mul_f64 v[16:17], s[14:15], v[8:9]
	v_mul_f64 v[18:19], s[14:15], v[6:7]
	;; [unrolled: 1-line block ×4, first 2 shown]
	s_lshl_b64 s[4:5], s[2:3], 7
	v_add3_u32 v15, v15, v12, v11
	v_lshlrev_b64 v[14:15], 3, v[14:15]
	v_add_co_u32 v14, vcc_lo, s0, v14
	v_add_co_ci_u32_e64 v15, null, s1, v15, vcc_lo
	v_add_co_u32 v24, vcc_lo, v14, s4
	v_add_co_ci_u32_e64 v25, null, s5, v15, vcc_lo
	;; [unrolled: 2-line block ×4, first 2 shown]
	global_store_dwordx2 v[14:15], v[16:17], off
	global_store_dwordx2 v[14:15], v[18:19], off offset:128
	global_store_dwordx2 v[24:25], v[20:21], off
	global_store_dwordx2 v[24:25], v[22:23], off offset:128
	s_cbranch_execnz .LBB295_7
.LBB295_6:
	v_mul_lo_u32 v15, v13, s20
	v_mul_lo_u32 v16, v10, s21
	v_mad_u64_u32 v[13:14], null, v10, s20, 0
	s_mul_i32 s5, s23, s8
	s_mul_hi_u32 s6, s22, s8
	s_mul_i32 s4, s22, s8
	s_add_i32 s5, s6, s5
	v_mad_u64_u32 v[17:18], null, v10, s2, 0
	v_add3_u32 v14, v14, v16, v15
	s_lshl_b64 s[4:5], s[4:5], 3
	s_add_u32 s4, s18, s4
	s_addc_u32 s5, s19, s5
	v_lshlrev_b64 v[13:14], 3, v[13:14]
	v_add3_u32 v18, v18, v12, v11
	v_lshlrev_b64 v[10:11], 3, v[17:18]
	v_add_co_u32 v19, vcc_lo, s4, v13
	v_add_co_ci_u32_e64 v20, null, s5, v14, vcc_lo
	v_add_co_u32 v13, vcc_lo, v19, v0
	v_add_co_ci_u32_e64 v14, null, v20, v1, vcc_lo
	v_add_co_u32 v12, vcc_lo, s0, v10
	global_load_dwordx2 v[15:16], v[13:14], off
	s_waitcnt vmcnt(0)
	v_mul_f64 v[15:16], s[16:17], v[15:16]
	v_fma_f64 v[8:9], s[14:15], v[8:9], v[15:16]
	v_add_co_ci_u32_e64 v15, null, s1, v11, vcc_lo
	v_add_co_u32 v10, vcc_lo, v12, v0
	s_lshl_b64 s[0:1], s[20:21], 7
	v_add_co_ci_u32_e64 v11, null, v15, v1, vcc_lo
	global_store_dwordx2 v[10:11], v[8:9], off
	global_load_dwordx2 v[8:9], v[13:14], off offset:128
	s_waitcnt vmcnt(0)
	v_mul_f64 v[8:9], s[16:17], v[8:9]
	v_fma_f64 v[6:7], s[14:15], v[6:7], v[8:9]
	v_add_co_u32 v8, vcc_lo, v19, s0
	v_add_co_ci_u32_e64 v9, null, s1, v20, vcc_lo
	s_lshl_b64 s[0:1], s[2:3], 7
	v_add_co_u32 v8, vcc_lo, v8, v0
	v_add_co_ci_u32_e64 v9, null, v9, v1, vcc_lo
	global_store_dwordx2 v[10:11], v[6:7], off offset:128
	global_load_dwordx2 v[6:7], v[8:9], off
	s_waitcnt vmcnt(0)
	v_mul_f64 v[6:7], s[16:17], v[6:7]
	v_fma_f64 v[4:5], s[14:15], v[4:5], v[6:7]
	v_add_co_u32 v6, vcc_lo, v12, s0
	v_add_co_ci_u32_e64 v7, null, s1, v15, vcc_lo
	v_add_co_u32 v0, vcc_lo, v6, v0
	v_add_co_ci_u32_e64 v1, null, v7, v1, vcc_lo
	global_store_dwordx2 v[0:1], v[4:5], off
	global_load_dwordx2 v[4:5], v[8:9], off offset:128
	s_waitcnt vmcnt(0)
	v_mul_f64 v[4:5], s[16:17], v[4:5]
	v_fma_f64 v[2:3], s[14:15], v[2:3], v[4:5]
	global_store_dwordx2 v[0:1], v[2:3], off offset:128
.LBB295_7:
	s_endpgm
.LBB295_8:
	s_branch .LBB295_6
	.section	.rodata,"a",@progbits
	.p2align	6, 0x0
	.amdhsa_kernel _ZN12_GLOBAL__N_127rocblas_gemm_batched_kernelIdLi16ELi16ELi32ELi32ELi8ELi32ELi8ELi8ELi32ELc78ELc67EKdS1_dEEvlllT_PT11_llS4_llS2_PT12_llPT13_lli
		.amdhsa_group_segment_fixed_size 4096
		.amdhsa_private_segment_fixed_size 0
		.amdhsa_kernarg_size 140
		.amdhsa_user_sgpr_count 6
		.amdhsa_user_sgpr_private_segment_buffer 1
		.amdhsa_user_sgpr_dispatch_ptr 0
		.amdhsa_user_sgpr_queue_ptr 0
		.amdhsa_user_sgpr_kernarg_segment_ptr 1
		.amdhsa_user_sgpr_dispatch_id 0
		.amdhsa_user_sgpr_flat_scratch_init 0
		.amdhsa_user_sgpr_private_segment_size 0
		.amdhsa_wavefront_size32 1
		.amdhsa_uses_dynamic_stack 0
		.amdhsa_system_sgpr_private_segment_wavefront_offset 0
		.amdhsa_system_sgpr_workgroup_id_x 1
		.amdhsa_system_sgpr_workgroup_id_y 1
		.amdhsa_system_sgpr_workgroup_id_z 1
		.amdhsa_system_sgpr_workgroup_info 0
		.amdhsa_system_vgpr_workitem_id 1
		.amdhsa_next_free_vgpr 38
		.amdhsa_next_free_sgpr 30
		.amdhsa_reserve_vcc 1
		.amdhsa_reserve_flat_scratch 0
		.amdhsa_float_round_mode_32 0
		.amdhsa_float_round_mode_16_64 0
		.amdhsa_float_denorm_mode_32 3
		.amdhsa_float_denorm_mode_16_64 3
		.amdhsa_dx10_clamp 1
		.amdhsa_ieee_mode 1
		.amdhsa_fp16_overflow 0
		.amdhsa_workgroup_processor_mode 1
		.amdhsa_memory_ordered 1
		.amdhsa_forward_progress 1
		.amdhsa_shared_vgpr_count 0
		.amdhsa_exception_fp_ieee_invalid_op 0
		.amdhsa_exception_fp_denorm_src 0
		.amdhsa_exception_fp_ieee_div_zero 0
		.amdhsa_exception_fp_ieee_overflow 0
		.amdhsa_exception_fp_ieee_underflow 0
		.amdhsa_exception_fp_ieee_inexact 0
		.amdhsa_exception_int_div_zero 0
	.end_amdhsa_kernel
	.section	.text._ZN12_GLOBAL__N_127rocblas_gemm_batched_kernelIdLi16ELi16ELi32ELi32ELi8ELi32ELi8ELi8ELi32ELc78ELc67EKdS1_dEEvlllT_PT11_llS4_llS2_PT12_llPT13_lli,"axG",@progbits,_ZN12_GLOBAL__N_127rocblas_gemm_batched_kernelIdLi16ELi16ELi32ELi32ELi8ELi32ELi8ELi8ELi32ELc78ELc67EKdS1_dEEvlllT_PT11_llS4_llS2_PT12_llPT13_lli,comdat
.Lfunc_end295:
	.size	_ZN12_GLOBAL__N_127rocblas_gemm_batched_kernelIdLi16ELi16ELi32ELi32ELi8ELi32ELi8ELi8ELi32ELc78ELc67EKdS1_dEEvlllT_PT11_llS4_llS2_PT12_llPT13_lli, .Lfunc_end295-_ZN12_GLOBAL__N_127rocblas_gemm_batched_kernelIdLi16ELi16ELi32ELi32ELi8ELi32ELi8ELi8ELi32ELc78ELc67EKdS1_dEEvlllT_PT11_llS4_llS2_PT12_llPT13_lli
                                        ; -- End function
	.set _ZN12_GLOBAL__N_127rocblas_gemm_batched_kernelIdLi16ELi16ELi32ELi32ELi8ELi32ELi8ELi8ELi32ELc78ELc67EKdS1_dEEvlllT_PT11_llS4_llS2_PT12_llPT13_lli.num_vgpr, 38
	.set _ZN12_GLOBAL__N_127rocblas_gemm_batched_kernelIdLi16ELi16ELi32ELi32ELi8ELi32ELi8ELi8ELi32ELc78ELc67EKdS1_dEEvlllT_PT11_llS4_llS2_PT12_llPT13_lli.num_agpr, 0
	.set _ZN12_GLOBAL__N_127rocblas_gemm_batched_kernelIdLi16ELi16ELi32ELi32ELi8ELi32ELi8ELi8ELi32ELc78ELc67EKdS1_dEEvlllT_PT11_llS4_llS2_PT12_llPT13_lli.numbered_sgpr, 30
	.set _ZN12_GLOBAL__N_127rocblas_gemm_batched_kernelIdLi16ELi16ELi32ELi32ELi8ELi32ELi8ELi8ELi32ELc78ELc67EKdS1_dEEvlllT_PT11_llS4_llS2_PT12_llPT13_lli.num_named_barrier, 0
	.set _ZN12_GLOBAL__N_127rocblas_gemm_batched_kernelIdLi16ELi16ELi32ELi32ELi8ELi32ELi8ELi8ELi32ELc78ELc67EKdS1_dEEvlllT_PT11_llS4_llS2_PT12_llPT13_lli.private_seg_size, 0
	.set _ZN12_GLOBAL__N_127rocblas_gemm_batched_kernelIdLi16ELi16ELi32ELi32ELi8ELi32ELi8ELi8ELi32ELc78ELc67EKdS1_dEEvlllT_PT11_llS4_llS2_PT12_llPT13_lli.uses_vcc, 1
	.set _ZN12_GLOBAL__N_127rocblas_gemm_batched_kernelIdLi16ELi16ELi32ELi32ELi8ELi32ELi8ELi8ELi32ELc78ELc67EKdS1_dEEvlllT_PT11_llS4_llS2_PT12_llPT13_lli.uses_flat_scratch, 0
	.set _ZN12_GLOBAL__N_127rocblas_gemm_batched_kernelIdLi16ELi16ELi32ELi32ELi8ELi32ELi8ELi8ELi32ELc78ELc67EKdS1_dEEvlllT_PT11_llS4_llS2_PT12_llPT13_lli.has_dyn_sized_stack, 0
	.set _ZN12_GLOBAL__N_127rocblas_gemm_batched_kernelIdLi16ELi16ELi32ELi32ELi8ELi32ELi8ELi8ELi32ELc78ELc67EKdS1_dEEvlllT_PT11_llS4_llS2_PT12_llPT13_lli.has_recursion, 0
	.set _ZN12_GLOBAL__N_127rocblas_gemm_batched_kernelIdLi16ELi16ELi32ELi32ELi8ELi32ELi8ELi8ELi32ELc78ELc67EKdS1_dEEvlllT_PT11_llS4_llS2_PT12_llPT13_lli.has_indirect_call, 0
	.section	.AMDGPU.csdata,"",@progbits
; Kernel info:
; codeLenInByte = 1588
; TotalNumSgprs: 32
; NumVgprs: 38
; ScratchSize: 0
; MemoryBound: 0
; FloatMode: 240
; IeeeMode: 1
; LDSByteSize: 4096 bytes/workgroup (compile time only)
; SGPRBlocks: 0
; VGPRBlocks: 4
; NumSGPRsForWavesPerEU: 32
; NumVGPRsForWavesPerEU: 38
; Occupancy: 16
; WaveLimiterHint : 1
; COMPUTE_PGM_RSRC2:SCRATCH_EN: 0
; COMPUTE_PGM_RSRC2:USER_SGPR: 6
; COMPUTE_PGM_RSRC2:TRAP_HANDLER: 0
; COMPUTE_PGM_RSRC2:TGID_X_EN: 1
; COMPUTE_PGM_RSRC2:TGID_Y_EN: 1
; COMPUTE_PGM_RSRC2:TGID_Z_EN: 1
; COMPUTE_PGM_RSRC2:TIDIG_COMP_CNT: 1
	.section	.text._ZN12_GLOBAL__N_127rocblas_gemm_batched_kernelIdLi16ELi16ELi32ELi32ELi8ELi32ELi8ELi8ELi32ELc84ELc67EKdS1_dEEvlllT_PT11_llS4_llS2_PT12_llPT13_lli,"axG",@progbits,_ZN12_GLOBAL__N_127rocblas_gemm_batched_kernelIdLi16ELi16ELi32ELi32ELi8ELi32ELi8ELi8ELi32ELc84ELc67EKdS1_dEEvlllT_PT11_llS4_llS2_PT12_llPT13_lli,comdat
	.globl	_ZN12_GLOBAL__N_127rocblas_gemm_batched_kernelIdLi16ELi16ELi32ELi32ELi8ELi32ELi8ELi8ELi32ELc84ELc67EKdS1_dEEvlllT_PT11_llS4_llS2_PT12_llPT13_lli ; -- Begin function _ZN12_GLOBAL__N_127rocblas_gemm_batched_kernelIdLi16ELi16ELi32ELi32ELi8ELi32ELi8ELi8ELi32ELc84ELc67EKdS1_dEEvlllT_PT11_llS4_llS2_PT12_llPT13_lli
	.p2align	8
	.type	_ZN12_GLOBAL__N_127rocblas_gemm_batched_kernelIdLi16ELi16ELi32ELi32ELi8ELi32ELi8ELi8ELi32ELc84ELc67EKdS1_dEEvlllT_PT11_llS4_llS2_PT12_llPT13_lli,@function
_ZN12_GLOBAL__N_127rocblas_gemm_batched_kernelIdLi16ELi16ELi32ELi32ELi8ELi32ELi8ELi8ELi32ELc84ELc67EKdS1_dEEvlllT_PT11_llS4_llS2_PT12_llPT13_lli: ; @_ZN12_GLOBAL__N_127rocblas_gemm_batched_kernelIdLi16ELi16ELi32ELi32ELi8ELi32ELi8ELi8ELi32ELc84ELc67EKdS1_dEEvlllT_PT11_llS4_llS2_PT12_llPT13_lli
; %bb.0:
	s_load_dwordx16 s[12:27], s[4:5], 0x10
	s_mov_b32 s0, s7
	v_mov_b32_e32 v3, 0
	s_ashr_i32 s7, s6, 31
	s_ashr_i32 s1, s0, 31
	s_lshl_b64 s[10:11], s[6:7], 5
	s_lshl_b64 s[28:29], s[0:1], 5
	s_waitcnt lgkmcnt(0)
	v_cmp_lt_i64_e64 s2, s[12:13], 1
	s_and_b32 vcc_lo, exec_lo, s2
	s_cbranch_vccnz .LBB296_3
; %bb.1:
	v_lshl_add_u32 v5, v1, 4, v0
	v_and_b32_e32 v6, 7, v0
	s_mul_i32 s0, s27, s8
	s_mul_hi_u32 s1, s26, s8
	v_lshlrev_b32_e32 v14, 3, v0
	v_lshrrev_b32_e32 v2, 3, v5
	v_and_b32_e32 v7, 31, v5
	v_lshlrev_b32_e32 v8, 3, v6
	s_add_i32 s1, s1, s0
	v_lshrrev_b32_e32 v9, 5, v5
	v_mad_u64_u32 v[3:4], null, s24, v6, v[2:3]
	v_lshlrev_b32_e32 v5, 3, v7
	v_add_co_u32 v7, s0, s10, v7
	v_lshl_or_b32 v8, v2, 6, v8
	v_add_co_ci_u32_e64 v10, null, s11, 0, s0
	v_mov_b32_e32 v2, v4
	v_lshl_or_b32 v15, v9, 8, v5
	v_add_nc_u32_e32 v16, 0x800, v8
	v_mul_lo_u32 v8, s19, v7
	v_mul_lo_u32 v10, s18, v10
	v_mad_u64_u32 v[4:5], null, s25, v6, v[2:3]
	v_mad_u64_u32 v[5:6], null, s18, v7, 0
	s_mul_i32 s0, s26, s8
	v_add_co_u32 v2, vcc_lo, v3, s28
	s_lshl_b64 s[0:1], s[0:1], 3
	v_add_co_ci_u32_e64 v3, null, s29, v4, vcc_lo
	v_add3_u32 v6, v6, v10, v8
	s_add_u32 s2, s22, s0
	s_addc_u32 s3, s23, s1
	s_mul_i32 s0, s21, s8
	s_mul_hi_u32 s1, s20, s8
	v_lshlrev_b64 v[4:5], 3, v[5:6]
	s_add_i32 s1, s1, s0
	s_mul_i32 s0, s20, s8
	v_lshlrev_b64 v[2:3], 3, v[2:3]
	s_lshl_b64 s[0:1], s[0:1], 3
	v_lshlrev_b32_e32 v6, 3, v9
	v_add_co_u32 v4, vcc_lo, v4, s0
	v_add_co_ci_u32_e64 v5, null, s1, v5, vcc_lo
	v_add_co_u32 v10, vcc_lo, s2, v2
	v_add_co_ci_u32_e64 v11, null, s3, v3, vcc_lo
	;; [unrolled: 2-line block ×3, first 2 shown]
	v_mov_b32_e32 v2, 0
	v_add_co_u32 v12, vcc_lo, s16, v12
	v_mov_b32_e32 v4, 0
	v_mov_b32_e32 v6, 0
	;; [unrolled: 1-line block ×3, first 2 shown]
	v_lshl_add_u32 v17, v1, 6, 0x800
	v_mov_b32_e32 v3, 0
	v_mov_b32_e32 v5, 0
	;; [unrolled: 1-line block ×4, first 2 shown]
	v_add_co_ci_u32_e64 v13, null, s17, v13, vcc_lo
	s_lshl_b64 s[0:1], s[24:25], 6
	s_mov_b64 s[2:3], 0
.LBB296_2:                              ; =>This Inner Loop Header: Depth=1
	global_load_dwordx2 v[18:19], v[12:13], off
	global_load_dwordx2 v[20:21], v[10:11], off
	s_add_u32 s2, s2, 8
	s_addc_u32 s3, s3, 0
	v_add_co_u32 v10, vcc_lo, v10, s0
	v_cmp_lt_i64_e64 s6, s[2:3], s[12:13]
	v_add_co_ci_u32_e64 v11, null, s1, v11, vcc_lo
	v_add_co_u32 v12, vcc_lo, v12, 64
	v_add_co_ci_u32_e64 v13, null, 0, v13, vcc_lo
	s_and_b32 vcc_lo, exec_lo, s6
	s_waitcnt vmcnt(1)
	ds_write_b64 v15, v[18:19]
	s_waitcnt vmcnt(0)
	ds_write_b64 v16, v[20:21]
	s_waitcnt lgkmcnt(0)
	s_barrier
	buffer_gl0_inv
	ds_read_b128 v[18:21], v17
	ds_read2_b64 v[22:25], v14 offset1:16
	ds_read_b128 v[26:29], v17 offset:1024
	ds_read_b128 v[30:33], v17 offset:16
	;; [unrolled: 1-line block ×3, first 2 shown]
	s_waitcnt lgkmcnt(3)
	v_fma_f64 v[8:9], v[22:23], v[18:19], v[8:9]
	v_fma_f64 v[6:7], v[24:25], v[18:19], v[6:7]
	s_waitcnt lgkmcnt(2)
	v_fma_f64 v[18:19], v[22:23], v[26:27], v[4:5]
	v_fma_f64 v[22:23], v[24:25], v[26:27], v[2:3]
	ds_read2_b64 v[2:5], v14 offset0:32 offset1:48
	s_waitcnt lgkmcnt(0)
	v_fma_f64 v[8:9], v[2:3], v[20:21], v[8:9]
	v_fma_f64 v[6:7], v[4:5], v[20:21], v[6:7]
	;; [unrolled: 1-line block ×4, first 2 shown]
	ds_read2_b64 v[2:5], v14 offset0:64 offset1:80
	s_waitcnt lgkmcnt(0)
	v_fma_f64 v[22:23], v[2:3], v[30:31], v[8:9]
	v_fma_f64 v[24:25], v[4:5], v[30:31], v[6:7]
	;; [unrolled: 1-line block ×4, first 2 shown]
	ds_read2_b64 v[2:5], v14 offset0:96 offset1:112
	ds_read_b128 v[6:9], v17 offset:32
	ds_read2_b64 v[18:21], v14 offset0:128 offset1:144
	s_waitcnt lgkmcnt(2)
	v_fma_f64 v[30:31], v[2:3], v[32:33], v[22:23]
	v_fma_f64 v[32:33], v[4:5], v[32:33], v[24:25]
	;; [unrolled: 1-line block ×4, first 2 shown]
	ds_read_b128 v[2:5], v17 offset:1056
	ds_read_b128 v[22:25], v17 offset:48
	;; [unrolled: 1-line block ×3, first 2 shown]
	s_waitcnt lgkmcnt(3)
	v_fma_f64 v[30:31], v[18:19], v[6:7], v[30:31]
	v_fma_f64 v[6:7], v[20:21], v[6:7], v[32:33]
	s_waitcnt lgkmcnt(2)
	v_fma_f64 v[32:33], v[18:19], v[2:3], v[34:35]
	v_fma_f64 v[2:3], v[20:21], v[2:3], v[36:37]
	ds_read2_b64 v[18:21], v14 offset0:160 offset1:176
	s_waitcnt lgkmcnt(0)
	v_fma_f64 v[30:31], v[18:19], v[8:9], v[30:31]
	v_fma_f64 v[6:7], v[20:21], v[8:9], v[6:7]
	;; [unrolled: 1-line block ×4, first 2 shown]
	ds_read2_b64 v[2:5], v14 offset0:192 offset1:208
	s_waitcnt lgkmcnt(0)
	v_fma_f64 v[30:31], v[2:3], v[22:23], v[30:31]
	v_fma_f64 v[6:7], v[4:5], v[22:23], v[6:7]
	v_fma_f64 v[2:3], v[2:3], v[26:27], v[8:9]
	v_fma_f64 v[22:23], v[4:5], v[26:27], v[18:19]
	ds_read2_b64 v[18:21], v14 offset0:224 offset1:240
	s_waitcnt lgkmcnt(0)
	s_barrier
	buffer_gl0_inv
	v_fma_f64 v[8:9], v[18:19], v[24:25], v[30:31]
	v_fma_f64 v[6:7], v[20:21], v[24:25], v[6:7]
	;; [unrolled: 1-line block ×4, first 2 shown]
	s_cbranch_vccnz .LBB296_2
	s_branch .LBB296_4
.LBB296_3:
	v_mov_b32_e32 v8, 0
	v_mov_b32_e32 v6, 0
	v_mov_b32_e32 v4, 0
	v_mov_b32_e32 v2, 0
	v_mov_b32_e32 v9, 0
	v_mov_b32_e32 v7, 0
	v_mov_b32_e32 v5, 0
	v_mov_b32_e32 v3, 0
.LBB296_4:
	s_clause 0x1
	s_load_dwordx8 s[16:23], s[4:5], 0x50
	s_load_dwordx8 s[0:7], s[4:5], 0x70
	s_waitcnt lgkmcnt(0)
	v_cmp_neq_f64_e64 s6, s[16:17], 0
	s_mul_i32 s5, s5, s8
	s_mul_hi_u32 s7, s4, s8
	s_mul_i32 s4, s4, s8
	s_add_i32 s5, s7, s5
	v_add_co_u32 v10, s7, s28, v1
	v_add_co_ci_u32_e64 v13, null, s29, 0, s7
	v_add_co_u32 v0, s7, s10, v0
	v_add_co_ci_u32_e64 v1, null, s11, 0, s7
	v_mul_lo_u32 v11, v13, s2
	v_mul_lo_u32 v12, v10, s3
	s_lshl_b64 s[4:5], s[4:5], 3
	v_lshlrev_b64 v[0:1], 3, v[0:1]
	s_add_u32 s0, s0, s4
	s_addc_u32 s1, s1, s5
	s_and_b32 vcc_lo, exec_lo, s6
	s_cbranch_vccnz .LBB296_8
; %bb.5:
	v_mad_u64_u32 v[14:15], null, v10, s2, 0
	v_mul_f64 v[16:17], s[14:15], v[8:9]
	v_mul_f64 v[18:19], s[14:15], v[6:7]
	;; [unrolled: 1-line block ×4, first 2 shown]
	s_lshl_b64 s[4:5], s[2:3], 7
	v_add3_u32 v15, v15, v12, v11
	v_lshlrev_b64 v[14:15], 3, v[14:15]
	v_add_co_u32 v14, vcc_lo, s0, v14
	v_add_co_ci_u32_e64 v15, null, s1, v15, vcc_lo
	v_add_co_u32 v24, vcc_lo, v14, s4
	v_add_co_ci_u32_e64 v25, null, s5, v15, vcc_lo
	;; [unrolled: 2-line block ×4, first 2 shown]
	global_store_dwordx2 v[14:15], v[16:17], off
	global_store_dwordx2 v[14:15], v[18:19], off offset:128
	global_store_dwordx2 v[24:25], v[20:21], off
	global_store_dwordx2 v[24:25], v[22:23], off offset:128
	s_cbranch_execnz .LBB296_7
.LBB296_6:
	v_mul_lo_u32 v15, v13, s20
	v_mul_lo_u32 v16, v10, s21
	v_mad_u64_u32 v[13:14], null, v10, s20, 0
	s_mul_i32 s5, s23, s8
	s_mul_hi_u32 s6, s22, s8
	s_mul_i32 s4, s22, s8
	s_add_i32 s5, s6, s5
	v_mad_u64_u32 v[17:18], null, v10, s2, 0
	v_add3_u32 v14, v14, v16, v15
	s_lshl_b64 s[4:5], s[4:5], 3
	s_add_u32 s4, s18, s4
	s_addc_u32 s5, s19, s5
	v_lshlrev_b64 v[13:14], 3, v[13:14]
	v_add3_u32 v18, v18, v12, v11
	v_lshlrev_b64 v[10:11], 3, v[17:18]
	v_add_co_u32 v19, vcc_lo, s4, v13
	v_add_co_ci_u32_e64 v20, null, s5, v14, vcc_lo
	v_add_co_u32 v13, vcc_lo, v19, v0
	v_add_co_ci_u32_e64 v14, null, v20, v1, vcc_lo
	v_add_co_u32 v12, vcc_lo, s0, v10
	global_load_dwordx2 v[15:16], v[13:14], off
	s_waitcnt vmcnt(0)
	v_mul_f64 v[15:16], s[16:17], v[15:16]
	v_fma_f64 v[8:9], s[14:15], v[8:9], v[15:16]
	v_add_co_ci_u32_e64 v15, null, s1, v11, vcc_lo
	v_add_co_u32 v10, vcc_lo, v12, v0
	s_lshl_b64 s[0:1], s[20:21], 7
	v_add_co_ci_u32_e64 v11, null, v15, v1, vcc_lo
	global_store_dwordx2 v[10:11], v[8:9], off
	global_load_dwordx2 v[8:9], v[13:14], off offset:128
	s_waitcnt vmcnt(0)
	v_mul_f64 v[8:9], s[16:17], v[8:9]
	v_fma_f64 v[6:7], s[14:15], v[6:7], v[8:9]
	v_add_co_u32 v8, vcc_lo, v19, s0
	v_add_co_ci_u32_e64 v9, null, s1, v20, vcc_lo
	s_lshl_b64 s[0:1], s[2:3], 7
	v_add_co_u32 v8, vcc_lo, v8, v0
	v_add_co_ci_u32_e64 v9, null, v9, v1, vcc_lo
	global_store_dwordx2 v[10:11], v[6:7], off offset:128
	global_load_dwordx2 v[6:7], v[8:9], off
	s_waitcnt vmcnt(0)
	v_mul_f64 v[6:7], s[16:17], v[6:7]
	v_fma_f64 v[4:5], s[14:15], v[4:5], v[6:7]
	v_add_co_u32 v6, vcc_lo, v12, s0
	v_add_co_ci_u32_e64 v7, null, s1, v15, vcc_lo
	v_add_co_u32 v0, vcc_lo, v6, v0
	v_add_co_ci_u32_e64 v1, null, v7, v1, vcc_lo
	global_store_dwordx2 v[0:1], v[4:5], off
	global_load_dwordx2 v[4:5], v[8:9], off offset:128
	s_waitcnt vmcnt(0)
	v_mul_f64 v[4:5], s[16:17], v[4:5]
	v_fma_f64 v[2:3], s[14:15], v[2:3], v[4:5]
	global_store_dwordx2 v[0:1], v[2:3], off offset:128
.LBB296_7:
	s_endpgm
.LBB296_8:
	s_branch .LBB296_6
	.section	.rodata,"a",@progbits
	.p2align	6, 0x0
	.amdhsa_kernel _ZN12_GLOBAL__N_127rocblas_gemm_batched_kernelIdLi16ELi16ELi32ELi32ELi8ELi32ELi8ELi8ELi32ELc84ELc67EKdS1_dEEvlllT_PT11_llS4_llS2_PT12_llPT13_lli
		.amdhsa_group_segment_fixed_size 4096
		.amdhsa_private_segment_fixed_size 0
		.amdhsa_kernarg_size 140
		.amdhsa_user_sgpr_count 6
		.amdhsa_user_sgpr_private_segment_buffer 1
		.amdhsa_user_sgpr_dispatch_ptr 0
		.amdhsa_user_sgpr_queue_ptr 0
		.amdhsa_user_sgpr_kernarg_segment_ptr 1
		.amdhsa_user_sgpr_dispatch_id 0
		.amdhsa_user_sgpr_flat_scratch_init 0
		.amdhsa_user_sgpr_private_segment_size 0
		.amdhsa_wavefront_size32 1
		.amdhsa_uses_dynamic_stack 0
		.amdhsa_system_sgpr_private_segment_wavefront_offset 0
		.amdhsa_system_sgpr_workgroup_id_x 1
		.amdhsa_system_sgpr_workgroup_id_y 1
		.amdhsa_system_sgpr_workgroup_id_z 1
		.amdhsa_system_sgpr_workgroup_info 0
		.amdhsa_system_vgpr_workitem_id 1
		.amdhsa_next_free_vgpr 38
		.amdhsa_next_free_sgpr 30
		.amdhsa_reserve_vcc 1
		.amdhsa_reserve_flat_scratch 0
		.amdhsa_float_round_mode_32 0
		.amdhsa_float_round_mode_16_64 0
		.amdhsa_float_denorm_mode_32 3
		.amdhsa_float_denorm_mode_16_64 3
		.amdhsa_dx10_clamp 1
		.amdhsa_ieee_mode 1
		.amdhsa_fp16_overflow 0
		.amdhsa_workgroup_processor_mode 1
		.amdhsa_memory_ordered 1
		.amdhsa_forward_progress 1
		.amdhsa_shared_vgpr_count 0
		.amdhsa_exception_fp_ieee_invalid_op 0
		.amdhsa_exception_fp_denorm_src 0
		.amdhsa_exception_fp_ieee_div_zero 0
		.amdhsa_exception_fp_ieee_overflow 0
		.amdhsa_exception_fp_ieee_underflow 0
		.amdhsa_exception_fp_ieee_inexact 0
		.amdhsa_exception_int_div_zero 0
	.end_amdhsa_kernel
	.section	.text._ZN12_GLOBAL__N_127rocblas_gemm_batched_kernelIdLi16ELi16ELi32ELi32ELi8ELi32ELi8ELi8ELi32ELc84ELc67EKdS1_dEEvlllT_PT11_llS4_llS2_PT12_llPT13_lli,"axG",@progbits,_ZN12_GLOBAL__N_127rocblas_gemm_batched_kernelIdLi16ELi16ELi32ELi32ELi8ELi32ELi8ELi8ELi32ELc84ELc67EKdS1_dEEvlllT_PT11_llS4_llS2_PT12_llPT13_lli,comdat
.Lfunc_end296:
	.size	_ZN12_GLOBAL__N_127rocblas_gemm_batched_kernelIdLi16ELi16ELi32ELi32ELi8ELi32ELi8ELi8ELi32ELc84ELc67EKdS1_dEEvlllT_PT11_llS4_llS2_PT12_llPT13_lli, .Lfunc_end296-_ZN12_GLOBAL__N_127rocblas_gemm_batched_kernelIdLi16ELi16ELi32ELi32ELi8ELi32ELi8ELi8ELi32ELc84ELc67EKdS1_dEEvlllT_PT11_llS4_llS2_PT12_llPT13_lli
                                        ; -- End function
	.set _ZN12_GLOBAL__N_127rocblas_gemm_batched_kernelIdLi16ELi16ELi32ELi32ELi8ELi32ELi8ELi8ELi32ELc84ELc67EKdS1_dEEvlllT_PT11_llS4_llS2_PT12_llPT13_lli.num_vgpr, 38
	.set _ZN12_GLOBAL__N_127rocblas_gemm_batched_kernelIdLi16ELi16ELi32ELi32ELi8ELi32ELi8ELi8ELi32ELc84ELc67EKdS1_dEEvlllT_PT11_llS4_llS2_PT12_llPT13_lli.num_agpr, 0
	.set _ZN12_GLOBAL__N_127rocblas_gemm_batched_kernelIdLi16ELi16ELi32ELi32ELi8ELi32ELi8ELi8ELi32ELc84ELc67EKdS1_dEEvlllT_PT11_llS4_llS2_PT12_llPT13_lli.numbered_sgpr, 30
	.set _ZN12_GLOBAL__N_127rocblas_gemm_batched_kernelIdLi16ELi16ELi32ELi32ELi8ELi32ELi8ELi8ELi32ELc84ELc67EKdS1_dEEvlllT_PT11_llS4_llS2_PT12_llPT13_lli.num_named_barrier, 0
	.set _ZN12_GLOBAL__N_127rocblas_gemm_batched_kernelIdLi16ELi16ELi32ELi32ELi8ELi32ELi8ELi8ELi32ELc84ELc67EKdS1_dEEvlllT_PT11_llS4_llS2_PT12_llPT13_lli.private_seg_size, 0
	.set _ZN12_GLOBAL__N_127rocblas_gemm_batched_kernelIdLi16ELi16ELi32ELi32ELi8ELi32ELi8ELi8ELi32ELc84ELc67EKdS1_dEEvlllT_PT11_llS4_llS2_PT12_llPT13_lli.uses_vcc, 1
	.set _ZN12_GLOBAL__N_127rocblas_gemm_batched_kernelIdLi16ELi16ELi32ELi32ELi8ELi32ELi8ELi8ELi32ELc84ELc67EKdS1_dEEvlllT_PT11_llS4_llS2_PT12_llPT13_lli.uses_flat_scratch, 0
	.set _ZN12_GLOBAL__N_127rocblas_gemm_batched_kernelIdLi16ELi16ELi32ELi32ELi8ELi32ELi8ELi8ELi32ELc84ELc67EKdS1_dEEvlllT_PT11_llS4_llS2_PT12_llPT13_lli.has_dyn_sized_stack, 0
	.set _ZN12_GLOBAL__N_127rocblas_gemm_batched_kernelIdLi16ELi16ELi32ELi32ELi8ELi32ELi8ELi8ELi32ELc84ELc67EKdS1_dEEvlllT_PT11_llS4_llS2_PT12_llPT13_lli.has_recursion, 0
	.set _ZN12_GLOBAL__N_127rocblas_gemm_batched_kernelIdLi16ELi16ELi32ELi32ELi8ELi32ELi8ELi8ELi32ELc84ELc67EKdS1_dEEvlllT_PT11_llS4_llS2_PT12_llPT13_lli.has_indirect_call, 0
	.section	.AMDGPU.csdata,"",@progbits
; Kernel info:
; codeLenInByte = 1628
; TotalNumSgprs: 32
; NumVgprs: 38
; ScratchSize: 0
; MemoryBound: 0
; FloatMode: 240
; IeeeMode: 1
; LDSByteSize: 4096 bytes/workgroup (compile time only)
; SGPRBlocks: 0
; VGPRBlocks: 4
; NumSGPRsForWavesPerEU: 32
; NumVGPRsForWavesPerEU: 38
; Occupancy: 16
; WaveLimiterHint : 1
; COMPUTE_PGM_RSRC2:SCRATCH_EN: 0
; COMPUTE_PGM_RSRC2:USER_SGPR: 6
; COMPUTE_PGM_RSRC2:TRAP_HANDLER: 0
; COMPUTE_PGM_RSRC2:TGID_X_EN: 1
; COMPUTE_PGM_RSRC2:TGID_Y_EN: 1
; COMPUTE_PGM_RSRC2:TGID_Z_EN: 1
; COMPUTE_PGM_RSRC2:TIDIG_COMP_CNT: 1
	.section	.text._ZN12_GLOBAL__N_135rocblas_gemm_batched_general_kernelIdLi16ELi16ELi32ELi32ELi8ELi32ELi8ELi8ELi32ELc78ELc78EKdS1_dEEvlllT_PT11_llS4_llS2_PT12_llPT13_lli,"axG",@progbits,_ZN12_GLOBAL__N_135rocblas_gemm_batched_general_kernelIdLi16ELi16ELi32ELi32ELi8ELi32ELi8ELi8ELi32ELc78ELc78EKdS1_dEEvlllT_PT11_llS4_llS2_PT12_llPT13_lli,comdat
	.globl	_ZN12_GLOBAL__N_135rocblas_gemm_batched_general_kernelIdLi16ELi16ELi32ELi32ELi8ELi32ELi8ELi8ELi32ELc78ELc78EKdS1_dEEvlllT_PT11_llS4_llS2_PT12_llPT13_lli ; -- Begin function _ZN12_GLOBAL__N_135rocblas_gemm_batched_general_kernelIdLi16ELi16ELi32ELi32ELi8ELi32ELi8ELi8ELi32ELc78ELc78EKdS1_dEEvlllT_PT11_llS4_llS2_PT12_llPT13_lli
	.p2align	8
	.type	_ZN12_GLOBAL__N_135rocblas_gemm_batched_general_kernelIdLi16ELi16ELi32ELi32ELi8ELi32ELi8ELi8ELi32ELc78ELc78EKdS1_dEEvlllT_PT11_llS4_llS2_PT12_llPT13_lli,@function
_ZN12_GLOBAL__N_135rocblas_gemm_batched_general_kernelIdLi16ELi16ELi32ELi32ELi8ELi32ELi8ELi8ELi32ELc78ELc78EKdS1_dEEvlllT_PT11_llS4_llS2_PT12_llPT13_lli: ; @_ZN12_GLOBAL__N_135rocblas_gemm_batched_general_kernelIdLi16ELi16ELi32ELi32ELi8ELi32ELi8ELi8ELi32ELc78ELc78EKdS1_dEEvlllT_PT11_llS4_llS2_PT12_llPT13_lli
; %bb.0:
	s_clause 0x1
	s_load_dwordx16 s[12:27], s[4:5], 0x0
	s_load_dwordx16 s[36:51], s[4:5], 0x40
	s_mov_b32 s0, s7
	s_ashr_i32 s7, s6, 31
	s_ashr_i32 s1, s0, 31
	s_lshl_b64 s[10:11], s[6:7], 5
	s_waitcnt lgkmcnt(0)
	v_cmp_lt_i64_e64 s2, s[16:17], 1
	s_and_b32 vcc_lo, exec_lo, s2
	s_lshl_b64 s[2:3], s[0:1], 5
	s_cbranch_vccnz .LBB297_7
; %bb.1:
	v_lshl_add_u32 v2, v1, 4, v0
	v_mov_b32_e32 v3, s11
	s_mul_i32 s9, s39, s8
	s_mul_hi_u32 s28, s38, s8
	v_and_b32_e32 v18, 7, v0
	v_lshrrev_b32_e32 v10, 3, v2
	v_lshrrev_b32_e32 v19, 5, v2
	v_and_b32_e32 v6, 31, v2
	s_add_i32 s29, s28, s9
	s_mul_i32 s28, s38, s8
	v_add_co_u32 v4, s0, v10, s2
	v_or_b32_e32 v2, s10, v6
	v_lshlrev_b32_e32 v12, 3, v6
	v_mad_u64_u32 v[6:7], null, s22, v19, 0
	v_add_co_ci_u32_e64 v5, null, 0, s3, s0
	v_mul_lo_u32 v13, s37, v4
	v_mad_u64_u32 v[8:9], null, s36, v4, 0
	v_mul_lo_u32 v14, s36, v5
	v_cmp_gt_i64_e64 s0, s[12:13], v[2:3]
	v_mov_b32_e32 v2, v7
	v_cmp_gt_i64_e64 s1, s[14:15], v[4:5]
	s_lshl_b64 s[28:29], s[28:29], 3
	s_mul_i32 s9, s25, s8
	s_mul_hi_u32 s25, s24, s8
	v_mad_u64_u32 v[2:3], null, s23, v19, v[2:3]
	v_add3_u32 v9, v9, v14, v13
	v_lshlrev_b32_e32 v11, 3, v18
	s_add_i32 s25, s25, s9
	s_mul_i32 s24, s24, s8
	s_lshl_b64 s[6:7], s[6:7], 8
	v_lshlrev_b64 v[3:4], 3, v[8:9]
	v_mov_b32_e32 v7, v2
	s_lshl_b64 s[24:25], s[24:25], 3
	v_lshl_or_b32 v10, v10, 6, v11
	s_add_u32 s6, s6, s24
	s_addc_u32 s7, s7, s25
	v_add_co_u32 v5, vcc_lo, v3, s28
	v_lshlrev_b64 v[2:3], 3, v[6:7]
	v_add_co_ci_u32_e64 v4, null, s29, v4, vcc_lo
	v_add_co_u32 v5, vcc_lo, v5, v11
	v_add_nc_u32_e32 v21, 0x800, v10
	v_add_co_ci_u32_e64 v4, null, 0, v4, vcc_lo
	v_add_co_u32 v2, vcc_lo, s6, v2
	v_add_co_ci_u32_e64 v3, null, s7, v3, vcc_lo
	v_add_co_u32 v10, vcc_lo, s26, v5
	v_lshl_or_b32 v20, v19, 8, v12
	v_add_co_ci_u32_e64 v11, null, s27, v4, vcc_lo
	v_add_co_u32 v12, vcc_lo, v2, v12
	v_add_co_ci_u32_e64 v13, null, 0, v3, vcc_lo
	v_mov_b32_e32 v2, 0
	v_add_co_u32 v12, vcc_lo, s20, v12
	v_mov_b32_e32 v4, 0
	v_mov_b32_e32 v6, 0
	;; [unrolled: 1-line block ×3, first 2 shown]
	v_lshlrev_b32_e32 v22, 3, v0
	v_lshl_add_u32 v23, v1, 6, 0x800
	v_mov_b32_e32 v3, 0
	v_mov_b32_e32 v5, 0
	;; [unrolled: 1-line block ×4, first 2 shown]
	v_add_co_ci_u32_e64 v13, null, s21, v13, vcc_lo
	s_lshl_b64 s[6:7], s[22:23], 6
	s_mov_b64 s[20:21], 0
	s_branch .LBB297_3
.LBB297_2:                              ;   in Loop: Header=BB297_3 Depth=1
	s_or_b32 exec_lo, exec_lo, s9
	s_waitcnt vmcnt(0)
	ds_write_b64 v21, v[16:17]
	s_waitcnt lgkmcnt(0)
	s_barrier
	buffer_gl0_inv
	ds_read_b128 v[14:17], v23
	ds_read2_b64 v[24:27], v22 offset1:16
	ds_read_b128 v[28:31], v23 offset:1024
	ds_read_b128 v[32:35], v23 offset:16
	ds_read2_b64 v[36:39], v22 offset0:32 offset1:48
	ds_read_b128 v[40:43], v23 offset:1040
	s_add_u32 s20, s20, 8
	s_addc_u32 s21, s21, 0
	v_add_co_u32 v10, vcc_lo, v10, 64
	v_cmp_lt_i64_e64 s9, s[20:21], s[16:17]
	v_add_co_ci_u32_e64 v11, null, 0, v11, vcc_lo
	v_add_co_u32 v12, vcc_lo, v12, s6
	v_add_co_ci_u32_e64 v13, null, s7, v13, vcc_lo
	s_and_b32 vcc_lo, exec_lo, s9
	s_waitcnt lgkmcnt(4)
	v_fma_f64 v[8:9], v[24:25], v[14:15], v[8:9]
	v_fma_f64 v[6:7], v[26:27], v[14:15], v[6:7]
	s_waitcnt lgkmcnt(3)
	v_fma_f64 v[14:15], v[24:25], v[28:29], v[4:5]
	v_fma_f64 v[24:25], v[26:27], v[28:29], v[2:3]
	ds_read2_b64 v[2:5], v22 offset0:64 offset1:80
	s_waitcnt lgkmcnt(2)
	v_fma_f64 v[26:27], v[36:37], v[16:17], v[8:9]
	v_fma_f64 v[16:17], v[38:39], v[16:17], v[6:7]
	v_fma_f64 v[14:15], v[36:37], v[30:31], v[14:15]
	v_fma_f64 v[24:25], v[38:39], v[30:31], v[24:25]
	ds_read2_b64 v[6:9], v22 offset0:96 offset1:112
	s_waitcnt lgkmcnt(1)
	v_fma_f64 v[26:27], v[2:3], v[32:33], v[26:27]
	v_fma_f64 v[28:29], v[4:5], v[32:33], v[16:17]
	;; [unrolled: 1-line block ×4, first 2 shown]
	ds_read_b128 v[2:5], v23 offset:32
	ds_read2_b64 v[14:17], v22 offset0:128 offset1:144
	s_waitcnt lgkmcnt(2)
	v_fma_f64 v[36:37], v[6:7], v[34:35], v[26:27]
	v_fma_f64 v[38:39], v[8:9], v[34:35], v[28:29]
	;; [unrolled: 1-line block ×4, first 2 shown]
	ds_read_b128 v[6:9], v23 offset:1056
	ds_read_b128 v[24:27], v23 offset:48
	ds_read2_b64 v[28:31], v22 offset0:160 offset1:176
	ds_read_b128 v[32:35], v23 offset:1072
	s_waitcnt lgkmcnt(4)
	v_fma_f64 v[36:37], v[14:15], v[2:3], v[36:37]
	v_fma_f64 v[2:3], v[16:17], v[2:3], v[38:39]
	s_waitcnt lgkmcnt(3)
	v_fma_f64 v[38:39], v[14:15], v[6:7], v[40:41]
	v_fma_f64 v[6:7], v[16:17], v[6:7], v[42:43]
	ds_read2_b64 v[14:17], v22 offset0:192 offset1:208
	s_waitcnt lgkmcnt(2)
	v_fma_f64 v[36:37], v[28:29], v[4:5], v[36:37]
	v_fma_f64 v[2:3], v[30:31], v[4:5], v[2:3]
	;; [unrolled: 1-line block ×4, first 2 shown]
	ds_read2_b64 v[28:31], v22 offset0:224 offset1:240
	s_waitcnt lgkmcnt(0)
	s_barrier
	buffer_gl0_inv
	v_fma_f64 v[8:9], v[14:15], v[24:25], v[36:37]
	v_fma_f64 v[2:3], v[16:17], v[24:25], v[2:3]
	;; [unrolled: 1-line block ×8, first 2 shown]
	s_cbranch_vccz .LBB297_8
.LBB297_3:                              ; =>This Inner Loop Header: Depth=1
	v_add_co_u32 v14, s9, v19, s20
	v_add_co_ci_u32_e64 v15, null, 0, s21, s9
	v_cmp_gt_i64_e32 vcc_lo, s[16:17], v[14:15]
	v_mov_b32_e32 v14, 0
	v_mov_b32_e32 v15, 0
	s_and_b32 s22, s0, vcc_lo
	s_and_saveexec_b32 s9, s22
	s_cbranch_execz .LBB297_5
; %bb.4:                                ;   in Loop: Header=BB297_3 Depth=1
	global_load_dwordx2 v[14:15], v[12:13], off
.LBB297_5:                              ;   in Loop: Header=BB297_3 Depth=1
	s_or_b32 exec_lo, exec_lo, s9
	v_add_co_u32 v16, s9, v18, s20
	v_add_co_ci_u32_e64 v17, null, 0, s21, s9
	s_waitcnt vmcnt(0)
	ds_write_b64 v20, v[14:15]
	v_cmp_gt_i64_e32 vcc_lo, s[16:17], v[16:17]
	v_mov_b32_e32 v16, 0
	v_mov_b32_e32 v17, 0
	s_and_b32 s22, vcc_lo, s1
	s_and_saveexec_b32 s9, s22
	s_cbranch_execz .LBB297_2
; %bb.6:                                ;   in Loop: Header=BB297_3 Depth=1
	global_load_dwordx2 v[16:17], v[10:11], off
	s_branch .LBB297_2
.LBB297_7:
	v_mov_b32_e32 v8, 0
	v_mov_b32_e32 v6, 0
	;; [unrolled: 1-line block ×8, first 2 shown]
.LBB297_8:
	s_load_dwordx2 s[0:1], s[4:5], 0x80
	v_cmp_neq_f64_e64 s6, s[40:41], 0
	v_add_co_u32 v10, s2, s2, v1
	v_add_co_ci_u32_e64 v11, null, s3, 0, s2
	s_waitcnt lgkmcnt(0)
	s_mul_i32 s1, s1, s8
	s_mul_hi_u32 s2, s0, s8
	s_mul_i32 s0, s0, s8
	s_add_i32 s1, s2, s1
	s_lshl_b64 s[4:5], s[0:1], 3
	v_cmp_gt_i64_e64 s0, s[14:15], v[10:11]
	s_add_u32 s3, s48, s4
	s_addc_u32 s4, s49, s5
	s_and_b32 vcc_lo, exec_lo, s6
	s_cbranch_vccnz .LBB297_21
; %bb.9:
	s_and_saveexec_b32 s5, s0
	s_cbranch_execz .LBB297_19
; %bb.10:
	v_mul_lo_u32 v1, v11, s50
	v_mul_lo_u32 v14, v10, s51
	v_mad_u64_u32 v[12:13], null, v10, s50, 0
	v_add3_u32 v13, v13, v14, v1
	v_add_co_u32 v14, s1, s10, v0
	v_add_co_ci_u32_e64 v15, null, s11, 0, s1
	v_lshlrev_b64 v[16:17], 3, v[12:13]
	v_cmp_gt_i64_e32 vcc_lo, s[12:13], v[14:15]
	v_lshlrev_b64 v[12:13], 3, v[14:15]
	v_add_co_u32 v1, s1, s3, v16
	v_add_co_ci_u32_e64 v16, null, s4, v17, s1
	s_and_saveexec_b32 s2, vcc_lo
	s_cbranch_execz .LBB297_12
; %bb.11:
	v_mul_f64 v[17:18], s[18:19], v[8:9]
	v_add_co_u32 v19, s1, v1, v12
	v_add_co_ci_u32_e64 v20, null, v16, v13, s1
	global_store_dwordx2 v[19:20], v[17:18], off
.LBB297_12:
	s_or_b32 exec_lo, exec_lo, s2
	v_add_co_u32 v14, s1, v14, 16
	v_add_co_ci_u32_e64 v15, null, 0, v15, s1
	v_cmp_gt_i64_e64 s1, s[12:13], v[14:15]
	s_and_saveexec_b32 s6, s1
	s_cbranch_execz .LBB297_14
; %bb.13:
	v_mul_f64 v[14:15], s[18:19], v[6:7]
	v_add_co_u32 v17, s2, v1, v12
	v_add_co_ci_u32_e64 v18, null, v16, v13, s2
	global_store_dwordx2 v[17:18], v[14:15], off offset:128
.LBB297_14:
	s_or_b32 exec_lo, exec_lo, s6
	v_add_co_u32 v14, s2, v10, 16
	v_add_co_ci_u32_e64 v15, null, 0, v11, s2
	v_cmp_gt_i64_e64 s2, s[14:15], v[14:15]
	s_and_b32 exec_lo, exec_lo, s2
	s_cbranch_execz .LBB297_19
; %bb.15:
	s_lshl_b64 s[6:7], s[50:51], 7
	v_add_co_u32 v1, s2, v1, s6
	v_add_co_ci_u32_e64 v14, null, s7, v16, s2
	v_add_co_u32 v12, s2, v1, v12
	v_add_co_ci_u32_e64 v13, null, v14, v13, s2
	s_and_saveexec_b32 s2, vcc_lo
	s_cbranch_execz .LBB297_17
; %bb.16:
	v_mul_f64 v[14:15], s[18:19], v[4:5]
	global_store_dwordx2 v[12:13], v[14:15], off
.LBB297_17:
	s_or_b32 exec_lo, exec_lo, s2
	s_and_b32 exec_lo, exec_lo, s1
	s_cbranch_execz .LBB297_19
; %bb.18:
	v_mul_f64 v[14:15], s[18:19], v[2:3]
	global_store_dwordx2 v[12:13], v[14:15], off offset:128
.LBB297_19:
	s_or_b32 exec_lo, exec_lo, s5
	s_cbranch_execz .LBB297_22
.LBB297_20:
	s_endpgm
.LBB297_21:
.LBB297_22:
	s_and_saveexec_b32 s1, s0
	s_cbranch_execz .LBB297_20
; %bb.23:
	v_mul_lo_u32 v1, v11, s44
	v_mul_lo_u32 v12, v10, s45
	v_mad_u64_u32 v[14:15], null, v10, s44, 0
	v_mul_lo_u32 v18, v11, s50
	v_mul_lo_u32 v19, v10, s51
	v_mad_u64_u32 v[16:17], null, v10, s50, 0
	s_mul_i32 s0, s47, s8
	s_mul_hi_u32 s1, s46, s8
	v_add3_u32 v15, v15, v12, v1
	s_add_i32 s1, s1, s0
	s_mul_i32 s0, s46, s8
	v_add_co_u32 v12, s2, s10, v0
	v_add3_u32 v17, v17, v19, v18
	v_lshlrev_b64 v[0:1], 3, v[14:15]
	s_lshl_b64 s[0:1], s[0:1], 3
	v_add_co_ci_u32_e64 v13, null, s11, 0, s2
	v_lshlrev_b64 v[16:17], 3, v[16:17]
	s_add_u32 s0, s42, s0
	s_addc_u32 s1, s43, s1
	v_add_co_u32 v14, s0, s0, v0
	v_add_co_ci_u32_e64 v15, null, s1, v1, s0
	v_add_co_u32 v16, s0, s3, v16
	v_cmp_gt_i64_e32 vcc_lo, s[12:13], v[12:13]
	v_lshlrev_b64 v[0:1], 3, v[12:13]
	v_add_co_ci_u32_e64 v17, null, s4, v17, s0
	s_and_saveexec_b32 s1, vcc_lo
	s_cbranch_execz .LBB297_25
; %bb.24:
	v_add_co_u32 v18, s0, v14, v0
	v_add_co_ci_u32_e64 v19, null, v15, v1, s0
	global_load_dwordx2 v[18:19], v[18:19], off
	s_waitcnt vmcnt(0)
	v_mul_f64 v[18:19], s[40:41], v[18:19]
	v_fma_f64 v[8:9], s[18:19], v[8:9], v[18:19]
	v_add_co_u32 v18, s0, v16, v0
	v_add_co_ci_u32_e64 v19, null, v17, v1, s0
	global_store_dwordx2 v[18:19], v[8:9], off
.LBB297_25:
	s_or_b32 exec_lo, exec_lo, s1
	v_add_co_u32 v8, s0, v12, 16
	v_add_co_ci_u32_e64 v9, null, 0, v13, s0
	v_cmp_gt_i64_e64 s0, s[12:13], v[8:9]
	s_and_saveexec_b32 s2, s0
	s_cbranch_execz .LBB297_27
; %bb.26:
	v_add_co_u32 v8, s1, v14, v0
	v_add_co_ci_u32_e64 v9, null, v15, v1, s1
	global_load_dwordx2 v[8:9], v[8:9], off offset:128
	s_waitcnt vmcnt(0)
	v_mul_f64 v[8:9], s[40:41], v[8:9]
	v_fma_f64 v[6:7], s[18:19], v[6:7], v[8:9]
	v_add_co_u32 v8, s1, v16, v0
	v_add_co_ci_u32_e64 v9, null, v17, v1, s1
	global_store_dwordx2 v[8:9], v[6:7], off offset:128
.LBB297_27:
	s_or_b32 exec_lo, exec_lo, s2
	v_add_co_u32 v6, s1, v10, 16
	v_add_co_ci_u32_e64 v7, null, 0, v11, s1
	v_cmp_gt_i64_e64 s1, s[14:15], v[6:7]
	s_and_b32 exec_lo, exec_lo, s1
	s_cbranch_execz .LBB297_20
; %bb.28:
	s_lshl_b64 s[2:3], s[44:45], 7
	v_add_co_u32 v6, s1, v14, s2
	v_add_co_ci_u32_e64 v7, null, s3, v15, s1
	s_lshl_b64 s[2:3], s[50:51], 7
	v_add_co_u32 v8, s1, v16, s2
	v_add_co_ci_u32_e64 v9, null, s3, v17, s1
	v_add_co_u32 v6, s1, v6, v0
	v_add_co_ci_u32_e64 v7, null, v7, v1, s1
	;; [unrolled: 2-line block ×3, first 2 shown]
	s_and_saveexec_b32 s1, vcc_lo
	s_cbranch_execz .LBB297_30
; %bb.29:
	global_load_dwordx2 v[8:9], v[6:7], off
	s_waitcnt vmcnt(0)
	v_mul_f64 v[8:9], s[40:41], v[8:9]
	v_fma_f64 v[4:5], s[18:19], v[4:5], v[8:9]
	global_store_dwordx2 v[0:1], v[4:5], off
.LBB297_30:
	s_or_b32 exec_lo, exec_lo, s1
	s_and_b32 exec_lo, exec_lo, s0
	s_cbranch_execz .LBB297_20
; %bb.31:
	global_load_dwordx2 v[4:5], v[6:7], off offset:128
	s_waitcnt vmcnt(0)
	v_mul_f64 v[4:5], s[40:41], v[4:5]
	v_fma_f64 v[2:3], s[18:19], v[2:3], v[4:5]
	global_store_dwordx2 v[0:1], v[2:3], off offset:128
	s_endpgm
	.section	.rodata,"a",@progbits
	.p2align	6, 0x0
	.amdhsa_kernel _ZN12_GLOBAL__N_135rocblas_gemm_batched_general_kernelIdLi16ELi16ELi32ELi32ELi8ELi32ELi8ELi8ELi32ELc78ELc78EKdS1_dEEvlllT_PT11_llS4_llS2_PT12_llPT13_lli
		.amdhsa_group_segment_fixed_size 4096
		.amdhsa_private_segment_fixed_size 0
		.amdhsa_kernarg_size 140
		.amdhsa_user_sgpr_count 6
		.amdhsa_user_sgpr_private_segment_buffer 1
		.amdhsa_user_sgpr_dispatch_ptr 0
		.amdhsa_user_sgpr_queue_ptr 0
		.amdhsa_user_sgpr_kernarg_segment_ptr 1
		.amdhsa_user_sgpr_dispatch_id 0
		.amdhsa_user_sgpr_flat_scratch_init 0
		.amdhsa_user_sgpr_private_segment_size 0
		.amdhsa_wavefront_size32 1
		.amdhsa_uses_dynamic_stack 0
		.amdhsa_system_sgpr_private_segment_wavefront_offset 0
		.amdhsa_system_sgpr_workgroup_id_x 1
		.amdhsa_system_sgpr_workgroup_id_y 1
		.amdhsa_system_sgpr_workgroup_id_z 1
		.amdhsa_system_sgpr_workgroup_info 0
		.amdhsa_system_vgpr_workitem_id 1
		.amdhsa_next_free_vgpr 44
		.amdhsa_next_free_sgpr 52
		.amdhsa_reserve_vcc 1
		.amdhsa_reserve_flat_scratch 0
		.amdhsa_float_round_mode_32 0
		.amdhsa_float_round_mode_16_64 0
		.amdhsa_float_denorm_mode_32 3
		.amdhsa_float_denorm_mode_16_64 3
		.amdhsa_dx10_clamp 1
		.amdhsa_ieee_mode 1
		.amdhsa_fp16_overflow 0
		.amdhsa_workgroup_processor_mode 1
		.amdhsa_memory_ordered 1
		.amdhsa_forward_progress 1
		.amdhsa_shared_vgpr_count 0
		.amdhsa_exception_fp_ieee_invalid_op 0
		.amdhsa_exception_fp_denorm_src 0
		.amdhsa_exception_fp_ieee_div_zero 0
		.amdhsa_exception_fp_ieee_overflow 0
		.amdhsa_exception_fp_ieee_underflow 0
		.amdhsa_exception_fp_ieee_inexact 0
		.amdhsa_exception_int_div_zero 0
	.end_amdhsa_kernel
	.section	.text._ZN12_GLOBAL__N_135rocblas_gemm_batched_general_kernelIdLi16ELi16ELi32ELi32ELi8ELi32ELi8ELi8ELi32ELc78ELc78EKdS1_dEEvlllT_PT11_llS4_llS2_PT12_llPT13_lli,"axG",@progbits,_ZN12_GLOBAL__N_135rocblas_gemm_batched_general_kernelIdLi16ELi16ELi32ELi32ELi8ELi32ELi8ELi8ELi32ELc78ELc78EKdS1_dEEvlllT_PT11_llS4_llS2_PT12_llPT13_lli,comdat
.Lfunc_end297:
	.size	_ZN12_GLOBAL__N_135rocblas_gemm_batched_general_kernelIdLi16ELi16ELi32ELi32ELi8ELi32ELi8ELi8ELi32ELc78ELc78EKdS1_dEEvlllT_PT11_llS4_llS2_PT12_llPT13_lli, .Lfunc_end297-_ZN12_GLOBAL__N_135rocblas_gemm_batched_general_kernelIdLi16ELi16ELi32ELi32ELi8ELi32ELi8ELi8ELi32ELc78ELc78EKdS1_dEEvlllT_PT11_llS4_llS2_PT12_llPT13_lli
                                        ; -- End function
	.set _ZN12_GLOBAL__N_135rocblas_gemm_batched_general_kernelIdLi16ELi16ELi32ELi32ELi8ELi32ELi8ELi8ELi32ELc78ELc78EKdS1_dEEvlllT_PT11_llS4_llS2_PT12_llPT13_lli.num_vgpr, 44
	.set _ZN12_GLOBAL__N_135rocblas_gemm_batched_general_kernelIdLi16ELi16ELi32ELi32ELi8ELi32ELi8ELi8ELi32ELc78ELc78EKdS1_dEEvlllT_PT11_llS4_llS2_PT12_llPT13_lli.num_agpr, 0
	.set _ZN12_GLOBAL__N_135rocblas_gemm_batched_general_kernelIdLi16ELi16ELi32ELi32ELi8ELi32ELi8ELi8ELi32ELc78ELc78EKdS1_dEEvlllT_PT11_llS4_llS2_PT12_llPT13_lli.numbered_sgpr, 52
	.set _ZN12_GLOBAL__N_135rocblas_gemm_batched_general_kernelIdLi16ELi16ELi32ELi32ELi8ELi32ELi8ELi8ELi32ELc78ELc78EKdS1_dEEvlllT_PT11_llS4_llS2_PT12_llPT13_lli.num_named_barrier, 0
	.set _ZN12_GLOBAL__N_135rocblas_gemm_batched_general_kernelIdLi16ELi16ELi32ELi32ELi8ELi32ELi8ELi8ELi32ELc78ELc78EKdS1_dEEvlllT_PT11_llS4_llS2_PT12_llPT13_lli.private_seg_size, 0
	.set _ZN12_GLOBAL__N_135rocblas_gemm_batched_general_kernelIdLi16ELi16ELi32ELi32ELi8ELi32ELi8ELi8ELi32ELc78ELc78EKdS1_dEEvlllT_PT11_llS4_llS2_PT12_llPT13_lli.uses_vcc, 1
	.set _ZN12_GLOBAL__N_135rocblas_gemm_batched_general_kernelIdLi16ELi16ELi32ELi32ELi8ELi32ELi8ELi8ELi32ELc78ELc78EKdS1_dEEvlllT_PT11_llS4_llS2_PT12_llPT13_lli.uses_flat_scratch, 0
	.set _ZN12_GLOBAL__N_135rocblas_gemm_batched_general_kernelIdLi16ELi16ELi32ELi32ELi8ELi32ELi8ELi8ELi32ELc78ELc78EKdS1_dEEvlllT_PT11_llS4_llS2_PT12_llPT13_lli.has_dyn_sized_stack, 0
	.set _ZN12_GLOBAL__N_135rocblas_gemm_batched_general_kernelIdLi16ELi16ELi32ELi32ELi8ELi32ELi8ELi8ELi32ELc78ELc78EKdS1_dEEvlllT_PT11_llS4_llS2_PT12_llPT13_lli.has_recursion, 0
	.set _ZN12_GLOBAL__N_135rocblas_gemm_batched_general_kernelIdLi16ELi16ELi32ELi32ELi8ELi32ELi8ELi8ELi32ELc78ELc78EKdS1_dEEvlllT_PT11_llS4_llS2_PT12_llPT13_lli.has_indirect_call, 0
	.section	.AMDGPU.csdata,"",@progbits
; Kernel info:
; codeLenInByte = 2080
; TotalNumSgprs: 54
; NumVgprs: 44
; ScratchSize: 0
; MemoryBound: 0
; FloatMode: 240
; IeeeMode: 1
; LDSByteSize: 4096 bytes/workgroup (compile time only)
; SGPRBlocks: 0
; VGPRBlocks: 5
; NumSGPRsForWavesPerEU: 54
; NumVGPRsForWavesPerEU: 44
; Occupancy: 16
; WaveLimiterHint : 0
; COMPUTE_PGM_RSRC2:SCRATCH_EN: 0
; COMPUTE_PGM_RSRC2:USER_SGPR: 6
; COMPUTE_PGM_RSRC2:TRAP_HANDLER: 0
; COMPUTE_PGM_RSRC2:TGID_X_EN: 1
; COMPUTE_PGM_RSRC2:TGID_Y_EN: 1
; COMPUTE_PGM_RSRC2:TGID_Z_EN: 1
; COMPUTE_PGM_RSRC2:TIDIG_COMP_CNT: 1
	.section	.text._ZN12_GLOBAL__N_135rocblas_gemm_batched_general_kernelIdLi16ELi16ELi32ELi32ELi8ELi32ELi8ELi8ELi32ELc84ELc78EKdS1_dEEvlllT_PT11_llS4_llS2_PT12_llPT13_lli,"axG",@progbits,_ZN12_GLOBAL__N_135rocblas_gemm_batched_general_kernelIdLi16ELi16ELi32ELi32ELi8ELi32ELi8ELi8ELi32ELc84ELc78EKdS1_dEEvlllT_PT11_llS4_llS2_PT12_llPT13_lli,comdat
	.globl	_ZN12_GLOBAL__N_135rocblas_gemm_batched_general_kernelIdLi16ELi16ELi32ELi32ELi8ELi32ELi8ELi8ELi32ELc84ELc78EKdS1_dEEvlllT_PT11_llS4_llS2_PT12_llPT13_lli ; -- Begin function _ZN12_GLOBAL__N_135rocblas_gemm_batched_general_kernelIdLi16ELi16ELi32ELi32ELi8ELi32ELi8ELi8ELi32ELc84ELc78EKdS1_dEEvlllT_PT11_llS4_llS2_PT12_llPT13_lli
	.p2align	8
	.type	_ZN12_GLOBAL__N_135rocblas_gemm_batched_general_kernelIdLi16ELi16ELi32ELi32ELi8ELi32ELi8ELi8ELi32ELc84ELc78EKdS1_dEEvlllT_PT11_llS4_llS2_PT12_llPT13_lli,@function
_ZN12_GLOBAL__N_135rocblas_gemm_batched_general_kernelIdLi16ELi16ELi32ELi32ELi8ELi32ELi8ELi8ELi32ELc84ELc78EKdS1_dEEvlllT_PT11_llS4_llS2_PT12_llPT13_lli: ; @_ZN12_GLOBAL__N_135rocblas_gemm_batched_general_kernelIdLi16ELi16ELi32ELi32ELi8ELi32ELi8ELi8ELi32ELc84ELc78EKdS1_dEEvlllT_PT11_llS4_llS2_PT12_llPT13_lli
; %bb.0:
	s_clause 0x1
	s_load_dwordx16 s[12:27], s[4:5], 0x0
	s_load_dwordx16 s[36:51], s[4:5], 0x40
	s_mov_b32 s0, s7
	s_ashr_i32 s7, s6, 31
	s_ashr_i32 s1, s0, 31
	s_lshl_b64 s[6:7], s[6:7], 5
	s_waitcnt lgkmcnt(0)
	v_cmp_lt_i64_e64 s2, s[16:17], 1
	s_and_b32 vcc_lo, exec_lo, s2
	s_lshl_b64 s[2:3], s[0:1], 5
	s_cbranch_vccnz .LBB298_7
; %bb.1:
	v_lshl_add_u32 v2, v1, 4, v0
	v_and_b32_e32 v18, 7, v0
	v_mov_b32_e32 v3, s7
	s_mul_hi_u32 s10, s38, s8
	v_lshlrev_b32_e32 v22, 3, v0
	v_lshrrev_b32_e32 v7, 3, v2
	v_and_b32_e32 v6, 31, v2
	v_lshrrev_b32_e32 v19, 5, v2
	v_lshlrev_b32_e32 v9, 3, v18
	v_lshl_add_u32 v23, v1, 6, 0x800
	v_add_co_u32 v4, s0, v7, s2
	v_or_b32_e32 v2, s6, v6
	v_lshlrev_b32_e32 v8, 3, v6
	v_add_co_ci_u32_e64 v5, null, 0, s3, s0
	v_add_co_u32 v6, s9, s6, v6
	v_cmp_gt_i64_e64 s0, s[12:13], v[2:3]
	v_lshl_or_b32 v20, v19, 8, v8
	v_cmp_gt_i64_e64 s1, s[14:15], v[4:5]
	v_mul_lo_u32 v8, s37, v4
	v_mul_lo_u32 v5, s36, v5
	v_mad_u64_u32 v[2:3], null, s36, v4, 0
	v_lshl_or_b32 v4, v7, 6, v9
	v_add_co_ci_u32_e64 v7, null, s7, 0, s9
	s_mul_i32 s9, s39, s8
	v_add_nc_u32_e32 v21, 0x800, v4
	v_add3_u32 v3, v3, v5, v8
	v_mul_lo_u32 v8, s23, v6
	v_mul_lo_u32 v7, s22, v7
	v_mad_u64_u32 v[4:5], null, s22, v6, 0
	v_lshlrev_b64 v[2:3], 3, v[2:3]
	s_add_i32 s11, s10, s9
	s_mul_i32 s10, s38, s8
	s_mul_i32 s9, s25, s8
	s_lshl_b64 s[10:11], s[10:11], 3
	v_add3_u32 v5, v5, v7, v8
	v_add_co_u32 v6, vcc_lo, v2, s10
	v_add_co_ci_u32_e64 v7, null, s11, v3, vcc_lo
	s_mul_hi_u32 s10, s24, s8
	v_lshlrev_b64 v[2:3], 3, v[4:5]
	s_add_i32 s11, s10, s9
	s_mul_i32 s10, s24, s8
	v_add_co_u32 v4, vcc_lo, v6, v9
	s_lshl_b64 s[10:11], s[10:11], 3
	v_add_co_ci_u32_e64 v5, null, 0, v7, vcc_lo
	v_add_co_u32 v2, vcc_lo, v2, s10
	v_lshlrev_b32_e32 v6, 3, v19
	v_add_co_ci_u32_e64 v3, null, s11, v3, vcc_lo
	v_add_co_u32 v10, vcc_lo, s26, v4
	v_add_co_ci_u32_e64 v11, null, s27, v5, vcc_lo
	v_add_co_u32 v12, vcc_lo, v2, v6
	v_add_co_ci_u32_e64 v13, null, 0, v3, vcc_lo
	v_mov_b32_e32 v2, 0
	v_add_co_u32 v12, vcc_lo, s20, v12
	v_mov_b32_e32 v4, 0
	v_mov_b32_e32 v6, 0
	;; [unrolled: 1-line block ×7, first 2 shown]
	v_add_co_ci_u32_e64 v13, null, s21, v13, vcc_lo
	s_mov_b64 s[10:11], 0
	s_branch .LBB298_3
.LBB298_2:                              ;   in Loop: Header=BB298_3 Depth=1
	s_or_b32 exec_lo, exec_lo, s9
	s_waitcnt vmcnt(0)
	ds_write_b64 v21, v[16:17]
	s_waitcnt lgkmcnt(0)
	s_barrier
	buffer_gl0_inv
	ds_read_b128 v[14:17], v23
	ds_read2_b64 v[24:27], v22 offset1:16
	ds_read_b128 v[28:31], v23 offset:1024
	ds_read_b128 v[32:35], v23 offset:16
	ds_read2_b64 v[36:39], v22 offset0:32 offset1:48
	ds_read_b128 v[40:43], v23 offset:1040
	s_add_u32 s10, s10, 8
	s_addc_u32 s11, s11, 0
	v_add_co_u32 v10, vcc_lo, v10, 64
	v_cmp_lt_i64_e64 s9, s[10:11], s[16:17]
	v_add_co_ci_u32_e64 v11, null, 0, v11, vcc_lo
	v_add_co_u32 v12, vcc_lo, v12, 64
	v_add_co_ci_u32_e64 v13, null, 0, v13, vcc_lo
	s_and_b32 vcc_lo, exec_lo, s9
	s_waitcnt lgkmcnt(4)
	v_fma_f64 v[8:9], v[24:25], v[14:15], v[8:9]
	v_fma_f64 v[6:7], v[26:27], v[14:15], v[6:7]
	s_waitcnt lgkmcnt(3)
	v_fma_f64 v[14:15], v[24:25], v[28:29], v[4:5]
	v_fma_f64 v[24:25], v[26:27], v[28:29], v[2:3]
	ds_read2_b64 v[2:5], v22 offset0:64 offset1:80
	s_waitcnt lgkmcnt(2)
	v_fma_f64 v[26:27], v[36:37], v[16:17], v[8:9]
	v_fma_f64 v[16:17], v[38:39], v[16:17], v[6:7]
	;; [unrolled: 1-line block ×4, first 2 shown]
	ds_read2_b64 v[6:9], v22 offset0:96 offset1:112
	s_waitcnt lgkmcnt(1)
	v_fma_f64 v[26:27], v[2:3], v[32:33], v[26:27]
	v_fma_f64 v[28:29], v[4:5], v[32:33], v[16:17]
	;; [unrolled: 1-line block ×4, first 2 shown]
	ds_read_b128 v[2:5], v23 offset:32
	ds_read2_b64 v[14:17], v22 offset0:128 offset1:144
	s_waitcnt lgkmcnt(2)
	v_fma_f64 v[36:37], v[6:7], v[34:35], v[26:27]
	v_fma_f64 v[38:39], v[8:9], v[34:35], v[28:29]
	;; [unrolled: 1-line block ×4, first 2 shown]
	ds_read_b128 v[6:9], v23 offset:1056
	ds_read_b128 v[24:27], v23 offset:48
	ds_read2_b64 v[28:31], v22 offset0:160 offset1:176
	ds_read_b128 v[32:35], v23 offset:1072
	s_waitcnt lgkmcnt(4)
	v_fma_f64 v[36:37], v[14:15], v[2:3], v[36:37]
	v_fma_f64 v[2:3], v[16:17], v[2:3], v[38:39]
	s_waitcnt lgkmcnt(3)
	v_fma_f64 v[38:39], v[14:15], v[6:7], v[40:41]
	v_fma_f64 v[6:7], v[16:17], v[6:7], v[42:43]
	ds_read2_b64 v[14:17], v22 offset0:192 offset1:208
	s_waitcnt lgkmcnt(2)
	v_fma_f64 v[36:37], v[28:29], v[4:5], v[36:37]
	v_fma_f64 v[2:3], v[30:31], v[4:5], v[2:3]
	;; [unrolled: 1-line block ×4, first 2 shown]
	ds_read2_b64 v[28:31], v22 offset0:224 offset1:240
	s_waitcnt lgkmcnt(0)
	s_barrier
	buffer_gl0_inv
	v_fma_f64 v[8:9], v[14:15], v[24:25], v[36:37]
	v_fma_f64 v[2:3], v[16:17], v[24:25], v[2:3]
	;; [unrolled: 1-line block ×8, first 2 shown]
	s_cbranch_vccz .LBB298_8
.LBB298_3:                              ; =>This Inner Loop Header: Depth=1
	v_add_co_u32 v14, s9, v19, s10
	v_add_co_ci_u32_e64 v15, null, 0, s11, s9
	v_cmp_gt_i64_e32 vcc_lo, s[16:17], v[14:15]
	v_mov_b32_e32 v14, 0
	v_mov_b32_e32 v15, 0
	s_and_b32 s20, s0, vcc_lo
	s_and_saveexec_b32 s9, s20
	s_cbranch_execz .LBB298_5
; %bb.4:                                ;   in Loop: Header=BB298_3 Depth=1
	global_load_dwordx2 v[14:15], v[12:13], off
.LBB298_5:                              ;   in Loop: Header=BB298_3 Depth=1
	s_or_b32 exec_lo, exec_lo, s9
	v_add_co_u32 v16, s9, v18, s10
	v_add_co_ci_u32_e64 v17, null, 0, s11, s9
	s_waitcnt vmcnt(0)
	ds_write_b64 v20, v[14:15]
	v_cmp_gt_i64_e32 vcc_lo, s[16:17], v[16:17]
	v_mov_b32_e32 v16, 0
	v_mov_b32_e32 v17, 0
	s_and_b32 s20, vcc_lo, s1
	s_and_saveexec_b32 s9, s20
	s_cbranch_execz .LBB298_2
; %bb.6:                                ;   in Loop: Header=BB298_3 Depth=1
	global_load_dwordx2 v[16:17], v[10:11], off
	s_branch .LBB298_2
.LBB298_7:
	v_mov_b32_e32 v8, 0
	v_mov_b32_e32 v6, 0
	;; [unrolled: 1-line block ×8, first 2 shown]
.LBB298_8:
	s_load_dwordx2 s[0:1], s[4:5], 0x80
	v_cmp_neq_f64_e64 s9, s[40:41], 0
	v_add_co_u32 v10, s2, s2, v1
	v_add_co_ci_u32_e64 v11, null, s3, 0, s2
	s_waitcnt lgkmcnt(0)
	s_mul_i32 s1, s1, s8
	s_mul_hi_u32 s2, s0, s8
	s_mul_i32 s0, s0, s8
	s_add_i32 s1, s2, s1
	s_lshl_b64 s[4:5], s[0:1], 3
	v_cmp_gt_i64_e64 s0, s[14:15], v[10:11]
	s_add_u32 s3, s48, s4
	s_addc_u32 s4, s49, s5
	s_and_b32 vcc_lo, exec_lo, s9
	s_cbranch_vccnz .LBB298_21
; %bb.9:
	s_and_saveexec_b32 s5, s0
	s_cbranch_execz .LBB298_19
; %bb.10:
	v_mul_lo_u32 v1, v11, s50
	v_mul_lo_u32 v14, v10, s51
	v_mad_u64_u32 v[12:13], null, v10, s50, 0
	v_add3_u32 v13, v13, v14, v1
	v_add_co_u32 v14, s1, s6, v0
	v_add_co_ci_u32_e64 v15, null, s7, 0, s1
	v_lshlrev_b64 v[16:17], 3, v[12:13]
	v_cmp_gt_i64_e32 vcc_lo, s[12:13], v[14:15]
	v_lshlrev_b64 v[12:13], 3, v[14:15]
	v_add_co_u32 v1, s1, s3, v16
	v_add_co_ci_u32_e64 v16, null, s4, v17, s1
	s_and_saveexec_b32 s2, vcc_lo
	s_cbranch_execz .LBB298_12
; %bb.11:
	v_mul_f64 v[17:18], s[18:19], v[8:9]
	v_add_co_u32 v19, s1, v1, v12
	v_add_co_ci_u32_e64 v20, null, v16, v13, s1
	global_store_dwordx2 v[19:20], v[17:18], off
.LBB298_12:
	s_or_b32 exec_lo, exec_lo, s2
	v_add_co_u32 v14, s1, v14, 16
	v_add_co_ci_u32_e64 v15, null, 0, v15, s1
	v_cmp_gt_i64_e64 s1, s[12:13], v[14:15]
	s_and_saveexec_b32 s9, s1
	s_cbranch_execz .LBB298_14
; %bb.13:
	v_mul_f64 v[14:15], s[18:19], v[6:7]
	v_add_co_u32 v17, s2, v1, v12
	v_add_co_ci_u32_e64 v18, null, v16, v13, s2
	global_store_dwordx2 v[17:18], v[14:15], off offset:128
.LBB298_14:
	s_or_b32 exec_lo, exec_lo, s9
	v_add_co_u32 v14, s2, v10, 16
	v_add_co_ci_u32_e64 v15, null, 0, v11, s2
	v_cmp_gt_i64_e64 s2, s[14:15], v[14:15]
	s_and_b32 exec_lo, exec_lo, s2
	s_cbranch_execz .LBB298_19
; %bb.15:
	s_lshl_b64 s[10:11], s[50:51], 7
	v_add_co_u32 v1, s2, v1, s10
	v_add_co_ci_u32_e64 v14, null, s11, v16, s2
	v_add_co_u32 v12, s2, v1, v12
	v_add_co_ci_u32_e64 v13, null, v14, v13, s2
	s_and_saveexec_b32 s2, vcc_lo
	s_cbranch_execz .LBB298_17
; %bb.16:
	v_mul_f64 v[14:15], s[18:19], v[4:5]
	global_store_dwordx2 v[12:13], v[14:15], off
.LBB298_17:
	s_or_b32 exec_lo, exec_lo, s2
	s_and_b32 exec_lo, exec_lo, s1
	s_cbranch_execz .LBB298_19
; %bb.18:
	v_mul_f64 v[14:15], s[18:19], v[2:3]
	global_store_dwordx2 v[12:13], v[14:15], off offset:128
.LBB298_19:
	s_or_b32 exec_lo, exec_lo, s5
	s_cbranch_execz .LBB298_22
.LBB298_20:
	s_endpgm
.LBB298_21:
.LBB298_22:
	s_and_saveexec_b32 s1, s0
	s_cbranch_execz .LBB298_20
; %bb.23:
	v_mul_lo_u32 v1, v11, s44
	v_mul_lo_u32 v12, v10, s45
	v_mad_u64_u32 v[14:15], null, v10, s44, 0
	v_mul_lo_u32 v18, v11, s50
	v_mul_lo_u32 v19, v10, s51
	v_mad_u64_u32 v[16:17], null, v10, s50, 0
	s_mul_i32 s0, s47, s8
	s_mul_hi_u32 s1, s46, s8
	v_add3_u32 v15, v15, v12, v1
	s_add_i32 s1, s1, s0
	s_mul_i32 s0, s46, s8
	v_add_co_u32 v12, s2, s6, v0
	v_add3_u32 v17, v17, v19, v18
	v_lshlrev_b64 v[0:1], 3, v[14:15]
	s_lshl_b64 s[0:1], s[0:1], 3
	v_add_co_ci_u32_e64 v13, null, s7, 0, s2
	v_lshlrev_b64 v[16:17], 3, v[16:17]
	s_add_u32 s0, s42, s0
	s_addc_u32 s1, s43, s1
	v_add_co_u32 v14, s0, s0, v0
	v_add_co_ci_u32_e64 v15, null, s1, v1, s0
	v_add_co_u32 v16, s0, s3, v16
	v_cmp_gt_i64_e32 vcc_lo, s[12:13], v[12:13]
	v_lshlrev_b64 v[0:1], 3, v[12:13]
	v_add_co_ci_u32_e64 v17, null, s4, v17, s0
	s_and_saveexec_b32 s1, vcc_lo
	s_cbranch_execz .LBB298_25
; %bb.24:
	v_add_co_u32 v18, s0, v14, v0
	v_add_co_ci_u32_e64 v19, null, v15, v1, s0
	global_load_dwordx2 v[18:19], v[18:19], off
	s_waitcnt vmcnt(0)
	v_mul_f64 v[18:19], s[40:41], v[18:19]
	v_fma_f64 v[8:9], s[18:19], v[8:9], v[18:19]
	v_add_co_u32 v18, s0, v16, v0
	v_add_co_ci_u32_e64 v19, null, v17, v1, s0
	global_store_dwordx2 v[18:19], v[8:9], off
.LBB298_25:
	s_or_b32 exec_lo, exec_lo, s1
	v_add_co_u32 v8, s0, v12, 16
	v_add_co_ci_u32_e64 v9, null, 0, v13, s0
	v_cmp_gt_i64_e64 s0, s[12:13], v[8:9]
	s_and_saveexec_b32 s2, s0
	s_cbranch_execz .LBB298_27
; %bb.26:
	v_add_co_u32 v8, s1, v14, v0
	v_add_co_ci_u32_e64 v9, null, v15, v1, s1
	global_load_dwordx2 v[8:9], v[8:9], off offset:128
	s_waitcnt vmcnt(0)
	v_mul_f64 v[8:9], s[40:41], v[8:9]
	v_fma_f64 v[6:7], s[18:19], v[6:7], v[8:9]
	v_add_co_u32 v8, s1, v16, v0
	v_add_co_ci_u32_e64 v9, null, v17, v1, s1
	global_store_dwordx2 v[8:9], v[6:7], off offset:128
.LBB298_27:
	s_or_b32 exec_lo, exec_lo, s2
	v_add_co_u32 v6, s1, v10, 16
	v_add_co_ci_u32_e64 v7, null, 0, v11, s1
	v_cmp_gt_i64_e64 s1, s[14:15], v[6:7]
	s_and_b32 exec_lo, exec_lo, s1
	s_cbranch_execz .LBB298_20
; %bb.28:
	s_lshl_b64 s[2:3], s[44:45], 7
	v_add_co_u32 v6, s1, v14, s2
	v_add_co_ci_u32_e64 v7, null, s3, v15, s1
	s_lshl_b64 s[2:3], s[50:51], 7
	v_add_co_u32 v8, s1, v16, s2
	v_add_co_ci_u32_e64 v9, null, s3, v17, s1
	v_add_co_u32 v6, s1, v6, v0
	v_add_co_ci_u32_e64 v7, null, v7, v1, s1
	v_add_co_u32 v0, s1, v8, v0
	v_add_co_ci_u32_e64 v1, null, v9, v1, s1
	s_and_saveexec_b32 s1, vcc_lo
	s_cbranch_execz .LBB298_30
; %bb.29:
	global_load_dwordx2 v[8:9], v[6:7], off
	s_waitcnt vmcnt(0)
	v_mul_f64 v[8:9], s[40:41], v[8:9]
	v_fma_f64 v[4:5], s[18:19], v[4:5], v[8:9]
	global_store_dwordx2 v[0:1], v[4:5], off
.LBB298_30:
	s_or_b32 exec_lo, exec_lo, s1
	s_and_b32 exec_lo, exec_lo, s0
	s_cbranch_execz .LBB298_20
; %bb.31:
	global_load_dwordx2 v[4:5], v[6:7], off offset:128
	s_waitcnt vmcnt(0)
	v_mul_f64 v[4:5], s[40:41], v[4:5]
	v_fma_f64 v[2:3], s[18:19], v[2:3], v[4:5]
	global_store_dwordx2 v[0:1], v[2:3], off offset:128
	s_endpgm
	.section	.rodata,"a",@progbits
	.p2align	6, 0x0
	.amdhsa_kernel _ZN12_GLOBAL__N_135rocblas_gemm_batched_general_kernelIdLi16ELi16ELi32ELi32ELi8ELi32ELi8ELi8ELi32ELc84ELc78EKdS1_dEEvlllT_PT11_llS4_llS2_PT12_llPT13_lli
		.amdhsa_group_segment_fixed_size 4096
		.amdhsa_private_segment_fixed_size 0
		.amdhsa_kernarg_size 140
		.amdhsa_user_sgpr_count 6
		.amdhsa_user_sgpr_private_segment_buffer 1
		.amdhsa_user_sgpr_dispatch_ptr 0
		.amdhsa_user_sgpr_queue_ptr 0
		.amdhsa_user_sgpr_kernarg_segment_ptr 1
		.amdhsa_user_sgpr_dispatch_id 0
		.amdhsa_user_sgpr_flat_scratch_init 0
		.amdhsa_user_sgpr_private_segment_size 0
		.amdhsa_wavefront_size32 1
		.amdhsa_uses_dynamic_stack 0
		.amdhsa_system_sgpr_private_segment_wavefront_offset 0
		.amdhsa_system_sgpr_workgroup_id_x 1
		.amdhsa_system_sgpr_workgroup_id_y 1
		.amdhsa_system_sgpr_workgroup_id_z 1
		.amdhsa_system_sgpr_workgroup_info 0
		.amdhsa_system_vgpr_workitem_id 1
		.amdhsa_next_free_vgpr 44
		.amdhsa_next_free_sgpr 52
		.amdhsa_reserve_vcc 1
		.amdhsa_reserve_flat_scratch 0
		.amdhsa_float_round_mode_32 0
		.amdhsa_float_round_mode_16_64 0
		.amdhsa_float_denorm_mode_32 3
		.amdhsa_float_denorm_mode_16_64 3
		.amdhsa_dx10_clamp 1
		.amdhsa_ieee_mode 1
		.amdhsa_fp16_overflow 0
		.amdhsa_workgroup_processor_mode 1
		.amdhsa_memory_ordered 1
		.amdhsa_forward_progress 1
		.amdhsa_shared_vgpr_count 0
		.amdhsa_exception_fp_ieee_invalid_op 0
		.amdhsa_exception_fp_denorm_src 0
		.amdhsa_exception_fp_ieee_div_zero 0
		.amdhsa_exception_fp_ieee_overflow 0
		.amdhsa_exception_fp_ieee_underflow 0
		.amdhsa_exception_fp_ieee_inexact 0
		.amdhsa_exception_int_div_zero 0
	.end_amdhsa_kernel
	.section	.text._ZN12_GLOBAL__N_135rocblas_gemm_batched_general_kernelIdLi16ELi16ELi32ELi32ELi8ELi32ELi8ELi8ELi32ELc84ELc78EKdS1_dEEvlllT_PT11_llS4_llS2_PT12_llPT13_lli,"axG",@progbits,_ZN12_GLOBAL__N_135rocblas_gemm_batched_general_kernelIdLi16ELi16ELi32ELi32ELi8ELi32ELi8ELi8ELi32ELc84ELc78EKdS1_dEEvlllT_PT11_llS4_llS2_PT12_llPT13_lli,comdat
.Lfunc_end298:
	.size	_ZN12_GLOBAL__N_135rocblas_gemm_batched_general_kernelIdLi16ELi16ELi32ELi32ELi8ELi32ELi8ELi8ELi32ELc84ELc78EKdS1_dEEvlllT_PT11_llS4_llS2_PT12_llPT13_lli, .Lfunc_end298-_ZN12_GLOBAL__N_135rocblas_gemm_batched_general_kernelIdLi16ELi16ELi32ELi32ELi8ELi32ELi8ELi8ELi32ELc84ELc78EKdS1_dEEvlllT_PT11_llS4_llS2_PT12_llPT13_lli
                                        ; -- End function
	.set _ZN12_GLOBAL__N_135rocblas_gemm_batched_general_kernelIdLi16ELi16ELi32ELi32ELi8ELi32ELi8ELi8ELi32ELc84ELc78EKdS1_dEEvlllT_PT11_llS4_llS2_PT12_llPT13_lli.num_vgpr, 44
	.set _ZN12_GLOBAL__N_135rocblas_gemm_batched_general_kernelIdLi16ELi16ELi32ELi32ELi8ELi32ELi8ELi8ELi32ELc84ELc78EKdS1_dEEvlllT_PT11_llS4_llS2_PT12_llPT13_lli.num_agpr, 0
	.set _ZN12_GLOBAL__N_135rocblas_gemm_batched_general_kernelIdLi16ELi16ELi32ELi32ELi8ELi32ELi8ELi8ELi32ELc84ELc78EKdS1_dEEvlllT_PT11_llS4_llS2_PT12_llPT13_lli.numbered_sgpr, 52
	.set _ZN12_GLOBAL__N_135rocblas_gemm_batched_general_kernelIdLi16ELi16ELi32ELi32ELi8ELi32ELi8ELi8ELi32ELc84ELc78EKdS1_dEEvlllT_PT11_llS4_llS2_PT12_llPT13_lli.num_named_barrier, 0
	.set _ZN12_GLOBAL__N_135rocblas_gemm_batched_general_kernelIdLi16ELi16ELi32ELi32ELi8ELi32ELi8ELi8ELi32ELc84ELc78EKdS1_dEEvlllT_PT11_llS4_llS2_PT12_llPT13_lli.private_seg_size, 0
	.set _ZN12_GLOBAL__N_135rocblas_gemm_batched_general_kernelIdLi16ELi16ELi32ELi32ELi8ELi32ELi8ELi8ELi32ELc84ELc78EKdS1_dEEvlllT_PT11_llS4_llS2_PT12_llPT13_lli.uses_vcc, 1
	.set _ZN12_GLOBAL__N_135rocblas_gemm_batched_general_kernelIdLi16ELi16ELi32ELi32ELi8ELi32ELi8ELi8ELi32ELc84ELc78EKdS1_dEEvlllT_PT11_llS4_llS2_PT12_llPT13_lli.uses_flat_scratch, 0
	.set _ZN12_GLOBAL__N_135rocblas_gemm_batched_general_kernelIdLi16ELi16ELi32ELi32ELi8ELi32ELi8ELi8ELi32ELc84ELc78EKdS1_dEEvlllT_PT11_llS4_llS2_PT12_llPT13_lli.has_dyn_sized_stack, 0
	.set _ZN12_GLOBAL__N_135rocblas_gemm_batched_general_kernelIdLi16ELi16ELi32ELi32ELi8ELi32ELi8ELi8ELi32ELc84ELc78EKdS1_dEEvlllT_PT11_llS4_llS2_PT12_llPT13_lli.has_recursion, 0
	.set _ZN12_GLOBAL__N_135rocblas_gemm_batched_general_kernelIdLi16ELi16ELi32ELi32ELi8ELi32ELi8ELi8ELi32ELc84ELc78EKdS1_dEEvlllT_PT11_llS4_llS2_PT12_llPT13_lli.has_indirect_call, 0
	.section	.AMDGPU.csdata,"",@progbits
; Kernel info:
; codeLenInByte = 2092
; TotalNumSgprs: 54
; NumVgprs: 44
; ScratchSize: 0
; MemoryBound: 0
; FloatMode: 240
; IeeeMode: 1
; LDSByteSize: 4096 bytes/workgroup (compile time only)
; SGPRBlocks: 0
; VGPRBlocks: 5
; NumSGPRsForWavesPerEU: 54
; NumVGPRsForWavesPerEU: 44
; Occupancy: 16
; WaveLimiterHint : 0
; COMPUTE_PGM_RSRC2:SCRATCH_EN: 0
; COMPUTE_PGM_RSRC2:USER_SGPR: 6
; COMPUTE_PGM_RSRC2:TRAP_HANDLER: 0
; COMPUTE_PGM_RSRC2:TGID_X_EN: 1
; COMPUTE_PGM_RSRC2:TGID_Y_EN: 1
; COMPUTE_PGM_RSRC2:TGID_Z_EN: 1
; COMPUTE_PGM_RSRC2:TIDIG_COMP_CNT: 1
	.section	.text._ZN12_GLOBAL__N_135rocblas_gemm_batched_general_kernelIdLi16ELi16ELi32ELi32ELi8ELi32ELi8ELi8ELi32ELc78ELc84EKdS1_dEEvlllT_PT11_llS4_llS2_PT12_llPT13_lli,"axG",@progbits,_ZN12_GLOBAL__N_135rocblas_gemm_batched_general_kernelIdLi16ELi16ELi32ELi32ELi8ELi32ELi8ELi8ELi32ELc78ELc84EKdS1_dEEvlllT_PT11_llS4_llS2_PT12_llPT13_lli,comdat
	.globl	_ZN12_GLOBAL__N_135rocblas_gemm_batched_general_kernelIdLi16ELi16ELi32ELi32ELi8ELi32ELi8ELi8ELi32ELc78ELc84EKdS1_dEEvlllT_PT11_llS4_llS2_PT12_llPT13_lli ; -- Begin function _ZN12_GLOBAL__N_135rocblas_gemm_batched_general_kernelIdLi16ELi16ELi32ELi32ELi8ELi32ELi8ELi8ELi32ELc78ELc84EKdS1_dEEvlllT_PT11_llS4_llS2_PT12_llPT13_lli
	.p2align	8
	.type	_ZN12_GLOBAL__N_135rocblas_gemm_batched_general_kernelIdLi16ELi16ELi32ELi32ELi8ELi32ELi8ELi8ELi32ELc78ELc84EKdS1_dEEvlllT_PT11_llS4_llS2_PT12_llPT13_lli,@function
_ZN12_GLOBAL__N_135rocblas_gemm_batched_general_kernelIdLi16ELi16ELi32ELi32ELi8ELi32ELi8ELi8ELi32ELc78ELc84EKdS1_dEEvlllT_PT11_llS4_llS2_PT12_llPT13_lli: ; @_ZN12_GLOBAL__N_135rocblas_gemm_batched_general_kernelIdLi16ELi16ELi32ELi32ELi8ELi32ELi8ELi8ELi32ELc78ELc84EKdS1_dEEvlllT_PT11_llS4_llS2_PT12_llPT13_lli
; %bb.0:
	s_clause 0x1
	s_load_dwordx16 s[12:27], s[4:5], 0x0
	s_load_dwordx16 s[36:51], s[4:5], 0x40
	s_mov_b32 s28, s7
	s_ashr_i32 s7, s6, 31
	s_ashr_i32 s29, s28, 31
	s_lshl_b64 s[10:11], s[6:7], 5
	s_lshl_b64 s[2:3], s[28:29], 5
	s_waitcnt lgkmcnt(0)
	v_cmp_lt_i64_e64 s0, s[16:17], 1
	s_and_b32 vcc_lo, exec_lo, s0
	s_cbranch_vccnz .LBB299_7
; %bb.1:
	v_lshl_add_u32 v9, v1, 4, v0
	v_and_b32_e32 v18, 7, v0
	v_mov_b32_e32 v3, s11
	s_mul_i32 s9, s39, s8
	s_mul_hi_u32 s30, s38, s8
	v_and_b32_e32 v6, 31, v9
	v_mad_u64_u32 v[4:5], null, s36, v18, 0
	v_lshrrev_b32_e32 v8, 3, v9
	v_lshlrev_b32_e32 v10, 3, v18
	v_or_b32_e32 v2, s10, v6
	v_lshlrev_b32_e32 v12, 3, v6
	v_lshrrev_b32_e32 v19, 5, v9
	v_add_co_u32 v6, s0, v8, s2
	v_add_co_ci_u32_e64 v7, null, 0, s3, s0
	v_cmp_gt_i64_e64 s0, s[12:13], v[2:3]
	v_mov_b32_e32 v2, v5
	v_lshl_or_b32 v5, v8, 6, v10
	v_cmp_gt_i64_e64 s1, s[14:15], v[6:7]
	v_mad_u64_u32 v[6:7], null, s22, v19, 0
	v_mad_u64_u32 v[2:3], null, s37, v18, v[2:3]
	v_add_nc_u32_e32 v21, 0x800, v5
	s_add_i32 s31, s30, s9
	s_mul_i32 s30, s38, s8
	s_lshl_b64 s[28:29], s[28:29], 8
	s_lshl_b64 s[30:31], s[30:31], 3
	v_lshl_or_b32 v20, v19, 8, v12
	v_mov_b32_e32 v5, v2
	v_mov_b32_e32 v2, v7
	s_add_u32 s9, s28, s30
	s_addc_u32 s28, s29, s31
	v_lshlrev_b32_e32 v22, 3, v0
	v_lshlrev_b64 v[3:4], 3, v[4:5]
	v_lshl_add_u32 v23, v1, 6, 0x800
	v_mad_u64_u32 v[7:8], null, s23, v19, v[2:3]
	v_add_co_u32 v2, vcc_lo, s9, v3
	v_add_co_ci_u32_e64 v3, null, s28, v4, vcc_lo
	v_and_b32_e32 v4, 0x1ff8, v9
	s_mul_i32 s9, s25, s8
	s_mul_hi_u32 s25, s24, s8
	s_mul_i32 s24, s24, s8
	s_add_i32 s25, s25, s9
	v_add_co_u32 v4, vcc_lo, v2, v4
	v_add_co_ci_u32_e64 v5, null, 0, v3, vcc_lo
	v_lshlrev_b64 v[2:3], 3, v[6:7]
	s_lshl_b64 s[24:25], s[24:25], 3
	s_lshl_b64 s[28:29], s[6:7], 8
	;; [unrolled: 1-line block ×3, first 2 shown]
	s_add_u32 s9, s28, s24
	s_addc_u32 s24, s29, s25
	v_add_co_u32 v2, vcc_lo, s9, v2
	v_add_co_ci_u32_e64 v3, null, s24, v3, vcc_lo
	v_add_co_u32 v10, vcc_lo, s26, v4
	v_add_co_ci_u32_e64 v11, null, s27, v5, vcc_lo
	;; [unrolled: 2-line block ×3, first 2 shown]
	v_mov_b32_e32 v2, 0
	v_add_co_u32 v12, vcc_lo, s20, v12
	v_mov_b32_e32 v4, 0
	v_mov_b32_e32 v6, 0
	;; [unrolled: 1-line block ×7, first 2 shown]
	v_add_co_ci_u32_e64 v13, null, s21, v13, vcc_lo
	s_lshl_b64 s[20:21], s[22:23], 6
	s_mov_b64 s[22:23], 0
	s_branch .LBB299_3
.LBB299_2:                              ;   in Loop: Header=BB299_3 Depth=1
	s_or_b32 exec_lo, exec_lo, s9
	s_waitcnt vmcnt(0)
	ds_write_b64 v21, v[16:17]
	s_waitcnt lgkmcnt(0)
	s_barrier
	buffer_gl0_inv
	ds_read_b128 v[14:17], v23
	ds_read2_b64 v[24:27], v22 offset1:16
	ds_read_b128 v[28:31], v23 offset:1024
	ds_read_b128 v[32:35], v23 offset:16
	ds_read2_b64 v[36:39], v22 offset0:32 offset1:48
	ds_read_b128 v[40:43], v23 offset:1040
	s_add_u32 s22, s22, 8
	s_addc_u32 s23, s23, 0
	v_add_co_u32 v10, vcc_lo, v10, s6
	v_cmp_lt_i64_e64 s9, s[22:23], s[16:17]
	v_add_co_ci_u32_e64 v11, null, s7, v11, vcc_lo
	v_add_co_u32 v12, vcc_lo, v12, s20
	v_add_co_ci_u32_e64 v13, null, s21, v13, vcc_lo
	s_and_b32 vcc_lo, exec_lo, s9
	s_waitcnt lgkmcnt(4)
	v_fma_f64 v[8:9], v[24:25], v[14:15], v[8:9]
	v_fma_f64 v[6:7], v[26:27], v[14:15], v[6:7]
	s_waitcnt lgkmcnt(3)
	v_fma_f64 v[14:15], v[24:25], v[28:29], v[4:5]
	v_fma_f64 v[24:25], v[26:27], v[28:29], v[2:3]
	ds_read2_b64 v[2:5], v22 offset0:64 offset1:80
	s_waitcnt lgkmcnt(2)
	v_fma_f64 v[26:27], v[36:37], v[16:17], v[8:9]
	v_fma_f64 v[16:17], v[38:39], v[16:17], v[6:7]
	;; [unrolled: 1-line block ×4, first 2 shown]
	ds_read2_b64 v[6:9], v22 offset0:96 offset1:112
	s_waitcnt lgkmcnt(1)
	v_fma_f64 v[26:27], v[2:3], v[32:33], v[26:27]
	v_fma_f64 v[28:29], v[4:5], v[32:33], v[16:17]
	;; [unrolled: 1-line block ×4, first 2 shown]
	ds_read_b128 v[2:5], v23 offset:32
	ds_read2_b64 v[14:17], v22 offset0:128 offset1:144
	s_waitcnt lgkmcnt(2)
	v_fma_f64 v[36:37], v[6:7], v[34:35], v[26:27]
	v_fma_f64 v[38:39], v[8:9], v[34:35], v[28:29]
	;; [unrolled: 1-line block ×4, first 2 shown]
	ds_read_b128 v[6:9], v23 offset:1056
	ds_read_b128 v[24:27], v23 offset:48
	ds_read2_b64 v[28:31], v22 offset0:160 offset1:176
	ds_read_b128 v[32:35], v23 offset:1072
	s_waitcnt lgkmcnt(4)
	v_fma_f64 v[36:37], v[14:15], v[2:3], v[36:37]
	v_fma_f64 v[2:3], v[16:17], v[2:3], v[38:39]
	s_waitcnt lgkmcnt(3)
	v_fma_f64 v[38:39], v[14:15], v[6:7], v[40:41]
	v_fma_f64 v[6:7], v[16:17], v[6:7], v[42:43]
	ds_read2_b64 v[14:17], v22 offset0:192 offset1:208
	s_waitcnt lgkmcnt(2)
	v_fma_f64 v[36:37], v[28:29], v[4:5], v[36:37]
	v_fma_f64 v[2:3], v[30:31], v[4:5], v[2:3]
	v_fma_f64 v[4:5], v[28:29], v[8:9], v[38:39]
	v_fma_f64 v[6:7], v[30:31], v[8:9], v[6:7]
	ds_read2_b64 v[28:31], v22 offset0:224 offset1:240
	s_waitcnt lgkmcnt(0)
	s_barrier
	buffer_gl0_inv
	v_fma_f64 v[8:9], v[14:15], v[24:25], v[36:37]
	v_fma_f64 v[2:3], v[16:17], v[24:25], v[2:3]
	;; [unrolled: 1-line block ×8, first 2 shown]
	s_cbranch_vccz .LBB299_8
.LBB299_3:                              ; =>This Inner Loop Header: Depth=1
	v_add_co_u32 v14, s9, v19, s22
	v_add_co_ci_u32_e64 v15, null, 0, s23, s9
	v_cmp_gt_i64_e32 vcc_lo, s[16:17], v[14:15]
	v_mov_b32_e32 v14, 0
	v_mov_b32_e32 v15, 0
	s_and_b32 s24, s0, vcc_lo
	s_and_saveexec_b32 s9, s24
	s_cbranch_execz .LBB299_5
; %bb.4:                                ;   in Loop: Header=BB299_3 Depth=1
	global_load_dwordx2 v[14:15], v[12:13], off
.LBB299_5:                              ;   in Loop: Header=BB299_3 Depth=1
	s_or_b32 exec_lo, exec_lo, s9
	v_add_co_u32 v16, s9, v18, s22
	v_add_co_ci_u32_e64 v17, null, 0, s23, s9
	s_waitcnt vmcnt(0)
	ds_write_b64 v20, v[14:15]
	v_cmp_gt_i64_e32 vcc_lo, s[16:17], v[16:17]
	v_mov_b32_e32 v16, 0
	v_mov_b32_e32 v17, 0
	s_and_b32 s24, vcc_lo, s1
	s_and_saveexec_b32 s9, s24
	s_cbranch_execz .LBB299_2
; %bb.6:                                ;   in Loop: Header=BB299_3 Depth=1
	global_load_dwordx2 v[16:17], v[10:11], off
	s_branch .LBB299_2
.LBB299_7:
	v_mov_b32_e32 v8, 0
	v_mov_b32_e32 v6, 0
	;; [unrolled: 1-line block ×8, first 2 shown]
.LBB299_8:
	s_load_dwordx2 s[0:1], s[4:5], 0x80
	v_cmp_neq_f64_e64 s6, s[40:41], 0
	v_add_co_u32 v10, s2, s2, v1
	v_add_co_ci_u32_e64 v11, null, s3, 0, s2
	s_waitcnt lgkmcnt(0)
	s_mul_i32 s1, s1, s8
	s_mul_hi_u32 s2, s0, s8
	s_mul_i32 s0, s0, s8
	s_add_i32 s1, s2, s1
	s_lshl_b64 s[4:5], s[0:1], 3
	v_cmp_gt_i64_e64 s0, s[14:15], v[10:11]
	s_add_u32 s3, s48, s4
	s_addc_u32 s4, s49, s5
	s_and_b32 vcc_lo, exec_lo, s6
	s_cbranch_vccnz .LBB299_21
; %bb.9:
	s_and_saveexec_b32 s5, s0
	s_cbranch_execz .LBB299_19
; %bb.10:
	v_mul_lo_u32 v1, v11, s50
	v_mul_lo_u32 v14, v10, s51
	v_mad_u64_u32 v[12:13], null, v10, s50, 0
	v_add3_u32 v13, v13, v14, v1
	v_add_co_u32 v14, s1, s10, v0
	v_add_co_ci_u32_e64 v15, null, s11, 0, s1
	v_lshlrev_b64 v[16:17], 3, v[12:13]
	v_cmp_gt_i64_e32 vcc_lo, s[12:13], v[14:15]
	v_lshlrev_b64 v[12:13], 3, v[14:15]
	v_add_co_u32 v1, s1, s3, v16
	v_add_co_ci_u32_e64 v16, null, s4, v17, s1
	s_and_saveexec_b32 s2, vcc_lo
	s_cbranch_execz .LBB299_12
; %bb.11:
	v_mul_f64 v[17:18], s[18:19], v[8:9]
	v_add_co_u32 v19, s1, v1, v12
	v_add_co_ci_u32_e64 v20, null, v16, v13, s1
	global_store_dwordx2 v[19:20], v[17:18], off
.LBB299_12:
	s_or_b32 exec_lo, exec_lo, s2
	v_add_co_u32 v14, s1, v14, 16
	v_add_co_ci_u32_e64 v15, null, 0, v15, s1
	v_cmp_gt_i64_e64 s1, s[12:13], v[14:15]
	s_and_saveexec_b32 s6, s1
	s_cbranch_execz .LBB299_14
; %bb.13:
	v_mul_f64 v[14:15], s[18:19], v[6:7]
	v_add_co_u32 v17, s2, v1, v12
	v_add_co_ci_u32_e64 v18, null, v16, v13, s2
	global_store_dwordx2 v[17:18], v[14:15], off offset:128
.LBB299_14:
	s_or_b32 exec_lo, exec_lo, s6
	v_add_co_u32 v14, s2, v10, 16
	v_add_co_ci_u32_e64 v15, null, 0, v11, s2
	v_cmp_gt_i64_e64 s2, s[14:15], v[14:15]
	s_and_b32 exec_lo, exec_lo, s2
	s_cbranch_execz .LBB299_19
; %bb.15:
	s_lshl_b64 s[6:7], s[50:51], 7
	v_add_co_u32 v1, s2, v1, s6
	v_add_co_ci_u32_e64 v14, null, s7, v16, s2
	v_add_co_u32 v12, s2, v1, v12
	v_add_co_ci_u32_e64 v13, null, v14, v13, s2
	s_and_saveexec_b32 s2, vcc_lo
	s_cbranch_execz .LBB299_17
; %bb.16:
	v_mul_f64 v[14:15], s[18:19], v[4:5]
	global_store_dwordx2 v[12:13], v[14:15], off
.LBB299_17:
	s_or_b32 exec_lo, exec_lo, s2
	s_and_b32 exec_lo, exec_lo, s1
	s_cbranch_execz .LBB299_19
; %bb.18:
	v_mul_f64 v[14:15], s[18:19], v[2:3]
	global_store_dwordx2 v[12:13], v[14:15], off offset:128
.LBB299_19:
	s_or_b32 exec_lo, exec_lo, s5
	s_cbranch_execz .LBB299_22
.LBB299_20:
	s_endpgm
.LBB299_21:
.LBB299_22:
	s_and_saveexec_b32 s1, s0
	s_cbranch_execz .LBB299_20
; %bb.23:
	v_mul_lo_u32 v1, v11, s44
	v_mul_lo_u32 v12, v10, s45
	v_mad_u64_u32 v[14:15], null, v10, s44, 0
	v_mul_lo_u32 v18, v11, s50
	v_mul_lo_u32 v19, v10, s51
	v_mad_u64_u32 v[16:17], null, v10, s50, 0
	s_mul_i32 s0, s47, s8
	s_mul_hi_u32 s1, s46, s8
	v_add3_u32 v15, v15, v12, v1
	s_add_i32 s1, s1, s0
	s_mul_i32 s0, s46, s8
	v_add_co_u32 v12, s2, s10, v0
	v_add3_u32 v17, v17, v19, v18
	v_lshlrev_b64 v[0:1], 3, v[14:15]
	s_lshl_b64 s[0:1], s[0:1], 3
	v_add_co_ci_u32_e64 v13, null, s11, 0, s2
	v_lshlrev_b64 v[16:17], 3, v[16:17]
	s_add_u32 s0, s42, s0
	s_addc_u32 s1, s43, s1
	v_add_co_u32 v14, s0, s0, v0
	v_add_co_ci_u32_e64 v15, null, s1, v1, s0
	v_add_co_u32 v16, s0, s3, v16
	v_cmp_gt_i64_e32 vcc_lo, s[12:13], v[12:13]
	v_lshlrev_b64 v[0:1], 3, v[12:13]
	v_add_co_ci_u32_e64 v17, null, s4, v17, s0
	s_and_saveexec_b32 s1, vcc_lo
	s_cbranch_execz .LBB299_25
; %bb.24:
	v_add_co_u32 v18, s0, v14, v0
	v_add_co_ci_u32_e64 v19, null, v15, v1, s0
	global_load_dwordx2 v[18:19], v[18:19], off
	s_waitcnt vmcnt(0)
	v_mul_f64 v[18:19], s[40:41], v[18:19]
	v_fma_f64 v[8:9], s[18:19], v[8:9], v[18:19]
	v_add_co_u32 v18, s0, v16, v0
	v_add_co_ci_u32_e64 v19, null, v17, v1, s0
	global_store_dwordx2 v[18:19], v[8:9], off
.LBB299_25:
	s_or_b32 exec_lo, exec_lo, s1
	v_add_co_u32 v8, s0, v12, 16
	v_add_co_ci_u32_e64 v9, null, 0, v13, s0
	v_cmp_gt_i64_e64 s0, s[12:13], v[8:9]
	s_and_saveexec_b32 s2, s0
	s_cbranch_execz .LBB299_27
; %bb.26:
	v_add_co_u32 v8, s1, v14, v0
	v_add_co_ci_u32_e64 v9, null, v15, v1, s1
	global_load_dwordx2 v[8:9], v[8:9], off offset:128
	s_waitcnt vmcnt(0)
	v_mul_f64 v[8:9], s[40:41], v[8:9]
	v_fma_f64 v[6:7], s[18:19], v[6:7], v[8:9]
	v_add_co_u32 v8, s1, v16, v0
	v_add_co_ci_u32_e64 v9, null, v17, v1, s1
	global_store_dwordx2 v[8:9], v[6:7], off offset:128
.LBB299_27:
	s_or_b32 exec_lo, exec_lo, s2
	v_add_co_u32 v6, s1, v10, 16
	v_add_co_ci_u32_e64 v7, null, 0, v11, s1
	v_cmp_gt_i64_e64 s1, s[14:15], v[6:7]
	s_and_b32 exec_lo, exec_lo, s1
	s_cbranch_execz .LBB299_20
; %bb.28:
	s_lshl_b64 s[2:3], s[44:45], 7
	v_add_co_u32 v6, s1, v14, s2
	v_add_co_ci_u32_e64 v7, null, s3, v15, s1
	s_lshl_b64 s[2:3], s[50:51], 7
	v_add_co_u32 v8, s1, v16, s2
	v_add_co_ci_u32_e64 v9, null, s3, v17, s1
	v_add_co_u32 v6, s1, v6, v0
	v_add_co_ci_u32_e64 v7, null, v7, v1, s1
	;; [unrolled: 2-line block ×3, first 2 shown]
	s_and_saveexec_b32 s1, vcc_lo
	s_cbranch_execz .LBB299_30
; %bb.29:
	global_load_dwordx2 v[8:9], v[6:7], off
	s_waitcnt vmcnt(0)
	v_mul_f64 v[8:9], s[40:41], v[8:9]
	v_fma_f64 v[4:5], s[18:19], v[4:5], v[8:9]
	global_store_dwordx2 v[0:1], v[4:5], off
.LBB299_30:
	s_or_b32 exec_lo, exec_lo, s1
	s_and_b32 exec_lo, exec_lo, s0
	s_cbranch_execz .LBB299_20
; %bb.31:
	global_load_dwordx2 v[4:5], v[6:7], off offset:128
	s_waitcnt vmcnt(0)
	v_mul_f64 v[4:5], s[40:41], v[4:5]
	v_fma_f64 v[2:3], s[18:19], v[2:3], v[4:5]
	global_store_dwordx2 v[0:1], v[2:3], off offset:128
	s_endpgm
	.section	.rodata,"a",@progbits
	.p2align	6, 0x0
	.amdhsa_kernel _ZN12_GLOBAL__N_135rocblas_gemm_batched_general_kernelIdLi16ELi16ELi32ELi32ELi8ELi32ELi8ELi8ELi32ELc78ELc84EKdS1_dEEvlllT_PT11_llS4_llS2_PT12_llPT13_lli
		.amdhsa_group_segment_fixed_size 4096
		.amdhsa_private_segment_fixed_size 0
		.amdhsa_kernarg_size 140
		.amdhsa_user_sgpr_count 6
		.amdhsa_user_sgpr_private_segment_buffer 1
		.amdhsa_user_sgpr_dispatch_ptr 0
		.amdhsa_user_sgpr_queue_ptr 0
		.amdhsa_user_sgpr_kernarg_segment_ptr 1
		.amdhsa_user_sgpr_dispatch_id 0
		.amdhsa_user_sgpr_flat_scratch_init 0
		.amdhsa_user_sgpr_private_segment_size 0
		.amdhsa_wavefront_size32 1
		.amdhsa_uses_dynamic_stack 0
		.amdhsa_system_sgpr_private_segment_wavefront_offset 0
		.amdhsa_system_sgpr_workgroup_id_x 1
		.amdhsa_system_sgpr_workgroup_id_y 1
		.amdhsa_system_sgpr_workgroup_id_z 1
		.amdhsa_system_sgpr_workgroup_info 0
		.amdhsa_system_vgpr_workitem_id 1
		.amdhsa_next_free_vgpr 44
		.amdhsa_next_free_sgpr 52
		.amdhsa_reserve_vcc 1
		.amdhsa_reserve_flat_scratch 0
		.amdhsa_float_round_mode_32 0
		.amdhsa_float_round_mode_16_64 0
		.amdhsa_float_denorm_mode_32 3
		.amdhsa_float_denorm_mode_16_64 3
		.amdhsa_dx10_clamp 1
		.amdhsa_ieee_mode 1
		.amdhsa_fp16_overflow 0
		.amdhsa_workgroup_processor_mode 1
		.amdhsa_memory_ordered 1
		.amdhsa_forward_progress 1
		.amdhsa_shared_vgpr_count 0
		.amdhsa_exception_fp_ieee_invalid_op 0
		.amdhsa_exception_fp_denorm_src 0
		.amdhsa_exception_fp_ieee_div_zero 0
		.amdhsa_exception_fp_ieee_overflow 0
		.amdhsa_exception_fp_ieee_underflow 0
		.amdhsa_exception_fp_ieee_inexact 0
		.amdhsa_exception_int_div_zero 0
	.end_amdhsa_kernel
	.section	.text._ZN12_GLOBAL__N_135rocblas_gemm_batched_general_kernelIdLi16ELi16ELi32ELi32ELi8ELi32ELi8ELi8ELi32ELc78ELc84EKdS1_dEEvlllT_PT11_llS4_llS2_PT12_llPT13_lli,"axG",@progbits,_ZN12_GLOBAL__N_135rocblas_gemm_batched_general_kernelIdLi16ELi16ELi32ELi32ELi8ELi32ELi8ELi8ELi32ELc78ELc84EKdS1_dEEvlllT_PT11_llS4_llS2_PT12_llPT13_lli,comdat
.Lfunc_end299:
	.size	_ZN12_GLOBAL__N_135rocblas_gemm_batched_general_kernelIdLi16ELi16ELi32ELi32ELi8ELi32ELi8ELi8ELi32ELc78ELc84EKdS1_dEEvlllT_PT11_llS4_llS2_PT12_llPT13_lli, .Lfunc_end299-_ZN12_GLOBAL__N_135rocblas_gemm_batched_general_kernelIdLi16ELi16ELi32ELi32ELi8ELi32ELi8ELi8ELi32ELc78ELc84EKdS1_dEEvlllT_PT11_llS4_llS2_PT12_llPT13_lli
                                        ; -- End function
	.set _ZN12_GLOBAL__N_135rocblas_gemm_batched_general_kernelIdLi16ELi16ELi32ELi32ELi8ELi32ELi8ELi8ELi32ELc78ELc84EKdS1_dEEvlllT_PT11_llS4_llS2_PT12_llPT13_lli.num_vgpr, 44
	.set _ZN12_GLOBAL__N_135rocblas_gemm_batched_general_kernelIdLi16ELi16ELi32ELi32ELi8ELi32ELi8ELi8ELi32ELc78ELc84EKdS1_dEEvlllT_PT11_llS4_llS2_PT12_llPT13_lli.num_agpr, 0
	.set _ZN12_GLOBAL__N_135rocblas_gemm_batched_general_kernelIdLi16ELi16ELi32ELi32ELi8ELi32ELi8ELi8ELi32ELc78ELc84EKdS1_dEEvlllT_PT11_llS4_llS2_PT12_llPT13_lli.numbered_sgpr, 52
	.set _ZN12_GLOBAL__N_135rocblas_gemm_batched_general_kernelIdLi16ELi16ELi32ELi32ELi8ELi32ELi8ELi8ELi32ELc78ELc84EKdS1_dEEvlllT_PT11_llS4_llS2_PT12_llPT13_lli.num_named_barrier, 0
	.set _ZN12_GLOBAL__N_135rocblas_gemm_batched_general_kernelIdLi16ELi16ELi32ELi32ELi8ELi32ELi8ELi8ELi32ELc78ELc84EKdS1_dEEvlllT_PT11_llS4_llS2_PT12_llPT13_lli.private_seg_size, 0
	.set _ZN12_GLOBAL__N_135rocblas_gemm_batched_general_kernelIdLi16ELi16ELi32ELi32ELi8ELi32ELi8ELi8ELi32ELc78ELc84EKdS1_dEEvlllT_PT11_llS4_llS2_PT12_llPT13_lli.uses_vcc, 1
	.set _ZN12_GLOBAL__N_135rocblas_gemm_batched_general_kernelIdLi16ELi16ELi32ELi32ELi8ELi32ELi8ELi8ELi32ELc78ELc84EKdS1_dEEvlllT_PT11_llS4_llS2_PT12_llPT13_lli.uses_flat_scratch, 0
	.set _ZN12_GLOBAL__N_135rocblas_gemm_batched_general_kernelIdLi16ELi16ELi32ELi32ELi8ELi32ELi8ELi8ELi32ELc78ELc84EKdS1_dEEvlllT_PT11_llS4_llS2_PT12_llPT13_lli.has_dyn_sized_stack, 0
	.set _ZN12_GLOBAL__N_135rocblas_gemm_batched_general_kernelIdLi16ELi16ELi32ELi32ELi8ELi32ELi8ELi8ELi32ELc78ELc84EKdS1_dEEvlllT_PT11_llS4_llS2_PT12_llPT13_lli.has_recursion, 0
	.set _ZN12_GLOBAL__N_135rocblas_gemm_batched_general_kernelIdLi16ELi16ELi32ELi32ELi8ELi32ELi8ELi8ELi32ELc78ELc84EKdS1_dEEvlllT_PT11_llS4_llS2_PT12_llPT13_lli.has_indirect_call, 0
	.section	.AMDGPU.csdata,"",@progbits
; Kernel info:
; codeLenInByte = 2092
; TotalNumSgprs: 54
; NumVgprs: 44
; ScratchSize: 0
; MemoryBound: 0
; FloatMode: 240
; IeeeMode: 1
; LDSByteSize: 4096 bytes/workgroup (compile time only)
; SGPRBlocks: 0
; VGPRBlocks: 5
; NumSGPRsForWavesPerEU: 54
; NumVGPRsForWavesPerEU: 44
; Occupancy: 16
; WaveLimiterHint : 0
; COMPUTE_PGM_RSRC2:SCRATCH_EN: 0
; COMPUTE_PGM_RSRC2:USER_SGPR: 6
; COMPUTE_PGM_RSRC2:TRAP_HANDLER: 0
; COMPUTE_PGM_RSRC2:TGID_X_EN: 1
; COMPUTE_PGM_RSRC2:TGID_Y_EN: 1
; COMPUTE_PGM_RSRC2:TGID_Z_EN: 1
; COMPUTE_PGM_RSRC2:TIDIG_COMP_CNT: 1
	.section	.text._ZN12_GLOBAL__N_135rocblas_gemm_batched_general_kernelIdLi16ELi16ELi32ELi32ELi8ELi32ELi8ELi8ELi32ELc84ELc84EKdS1_dEEvlllT_PT11_llS4_llS2_PT12_llPT13_lli,"axG",@progbits,_ZN12_GLOBAL__N_135rocblas_gemm_batched_general_kernelIdLi16ELi16ELi32ELi32ELi8ELi32ELi8ELi8ELi32ELc84ELc84EKdS1_dEEvlllT_PT11_llS4_llS2_PT12_llPT13_lli,comdat
	.globl	_ZN12_GLOBAL__N_135rocblas_gemm_batched_general_kernelIdLi16ELi16ELi32ELi32ELi8ELi32ELi8ELi8ELi32ELc84ELc84EKdS1_dEEvlllT_PT11_llS4_llS2_PT12_llPT13_lli ; -- Begin function _ZN12_GLOBAL__N_135rocblas_gemm_batched_general_kernelIdLi16ELi16ELi32ELi32ELi8ELi32ELi8ELi8ELi32ELc84ELc84EKdS1_dEEvlllT_PT11_llS4_llS2_PT12_llPT13_lli
	.p2align	8
	.type	_ZN12_GLOBAL__N_135rocblas_gemm_batched_general_kernelIdLi16ELi16ELi32ELi32ELi8ELi32ELi8ELi8ELi32ELc84ELc84EKdS1_dEEvlllT_PT11_llS4_llS2_PT12_llPT13_lli,@function
_ZN12_GLOBAL__N_135rocblas_gemm_batched_general_kernelIdLi16ELi16ELi32ELi32ELi8ELi32ELi8ELi8ELi32ELc84ELc84EKdS1_dEEvlllT_PT11_llS4_llS2_PT12_llPT13_lli: ; @_ZN12_GLOBAL__N_135rocblas_gemm_batched_general_kernelIdLi16ELi16ELi32ELi32ELi8ELi32ELi8ELi8ELi32ELc84ELc84EKdS1_dEEvlllT_PT11_llS4_llS2_PT12_llPT13_lli
; %bb.0:
	s_clause 0x1
	s_load_dwordx16 s[12:27], s[4:5], 0x0
	s_load_dwordx16 s[36:51], s[4:5], 0x40
	s_mov_b32 s10, s7
	s_ashr_i32 s7, s6, 31
	s_ashr_i32 s11, s10, 31
	s_lshl_b64 s[6:7], s[6:7], 5
	s_lshl_b64 s[2:3], s[10:11], 5
	s_waitcnt lgkmcnt(0)
	v_cmp_lt_i64_e64 s0, s[16:17], 1
	s_and_b32 vcc_lo, exec_lo, s0
	s_cbranch_vccnz .LBB300_7
; %bb.1:
	v_lshl_add_u32 v8, v1, 4, v0
	v_and_b32_e32 v18, 7, v0
	v_mov_b32_e32 v3, s7
	s_mul_i32 s9, s39, s8
	s_mul_hi_u32 s28, s38, s8
	v_and_b32_e32 v9, 31, v8
	v_mad_u64_u32 v[4:5], null, s36, v18, 0
	v_lshrrev_b32_e32 v10, 3, v8
	s_lshl_b64 s[10:11], s[10:11], 8
	v_or_b32_e32 v2, s6, v9
	v_lshlrev_b32_e32 v11, 3, v18
	v_lshrrev_b32_e32 v19, 5, v8
	v_add_co_u32 v6, s0, v10, s2
	v_add_co_ci_u32_e64 v7, null, 0, s3, s0
	v_cmp_gt_i64_e64 s0, s[12:13], v[2:3]
	v_mov_b32_e32 v2, v5
	v_lshl_or_b32 v10, v10, 6, v11
	v_cmp_gt_i64_e64 s1, s[14:15], v[6:7]
	v_lshlrev_b32_e32 v12, 3, v9
	v_lshlrev_b32_e32 v22, 3, v0
	v_mad_u64_u32 v[2:3], null, s37, v18, v[2:3]
	v_add_co_u32 v3, s29, s6, v9
	v_add_co_ci_u32_e64 v6, null, s7, 0, s29
	s_add_i32 s29, s28, s9
	v_mul_lo_u32 v7, s23, v3
	v_mov_b32_e32 v5, v2
	v_mul_lo_u32 v6, s22, v6
	v_mad_u64_u32 v[2:3], null, s22, v3, 0
	s_mul_i32 s28, s38, s8
	v_lshlrev_b64 v[4:5], 3, v[4:5]
	s_lshl_b64 s[22:23], s[28:29], 3
	v_add_nc_u32_e32 v21, 0x800, v10
	s_add_u32 s9, s10, s22
	s_addc_u32 s10, s11, s23
	v_add3_u32 v3, v3, v6, v7
	v_add_co_u32 v4, vcc_lo, s9, v4
	v_and_b32_e32 v6, 0x1ff8, v8
	v_add_co_ci_u32_e64 v5, null, s10, v5, vcc_lo
	s_mul_i32 s9, s25, s8
	s_mul_hi_u32 s10, s24, s8
	v_lshlrev_b64 v[2:3], 3, v[2:3]
	s_add_i32 s11, s10, s9
	s_mul_i32 s10, s24, s8
	v_add_co_u32 v4, vcc_lo, v4, v6
	s_lshl_b64 s[10:11], s[10:11], 3
	v_add_co_ci_u32_e64 v5, null, 0, v5, vcc_lo
	v_add_co_u32 v2, vcc_lo, v2, s10
	v_lshlrev_b32_e32 v6, 3, v19
	v_add_co_ci_u32_e64 v3, null, s11, v3, vcc_lo
	v_add_co_u32 v10, vcc_lo, s26, v4
	v_lshl_or_b32 v20, v19, 8, v12
	v_add_co_ci_u32_e64 v11, null, s27, v5, vcc_lo
	v_add_co_u32 v12, vcc_lo, v2, v6
	v_add_co_ci_u32_e64 v13, null, 0, v3, vcc_lo
	v_mov_b32_e32 v2, 0
	v_add_co_u32 v12, vcc_lo, s20, v12
	v_mov_b32_e32 v4, 0
	v_mov_b32_e32 v6, 0
	;; [unrolled: 1-line block ×3, first 2 shown]
	v_lshl_add_u32 v23, v1, 6, 0x800
	v_mov_b32_e32 v3, 0
	v_mov_b32_e32 v5, 0
	;; [unrolled: 1-line block ×4, first 2 shown]
	v_add_co_ci_u32_e64 v13, null, s21, v13, vcc_lo
	s_lshl_b64 s[10:11], s[36:37], 6
	s_mov_b64 s[20:21], 0
	s_branch .LBB300_3
.LBB300_2:                              ;   in Loop: Header=BB300_3 Depth=1
	s_or_b32 exec_lo, exec_lo, s9
	s_waitcnt vmcnt(0)
	ds_write_b64 v21, v[16:17]
	s_waitcnt lgkmcnt(0)
	s_barrier
	buffer_gl0_inv
	ds_read_b128 v[14:17], v23
	ds_read2_b64 v[24:27], v22 offset1:16
	ds_read_b128 v[28:31], v23 offset:1024
	ds_read_b128 v[32:35], v23 offset:16
	ds_read2_b64 v[36:39], v22 offset0:32 offset1:48
	ds_read_b128 v[40:43], v23 offset:1040
	s_add_u32 s20, s20, 8
	s_addc_u32 s21, s21, 0
	v_add_co_u32 v10, vcc_lo, v10, s10
	v_cmp_lt_i64_e64 s9, s[20:21], s[16:17]
	v_add_co_ci_u32_e64 v11, null, s11, v11, vcc_lo
	v_add_co_u32 v12, vcc_lo, v12, 64
	v_add_co_ci_u32_e64 v13, null, 0, v13, vcc_lo
	s_and_b32 vcc_lo, exec_lo, s9
	s_waitcnt lgkmcnt(4)
	v_fma_f64 v[8:9], v[24:25], v[14:15], v[8:9]
	v_fma_f64 v[6:7], v[26:27], v[14:15], v[6:7]
	s_waitcnt lgkmcnt(3)
	v_fma_f64 v[14:15], v[24:25], v[28:29], v[4:5]
	v_fma_f64 v[24:25], v[26:27], v[28:29], v[2:3]
	ds_read2_b64 v[2:5], v22 offset0:64 offset1:80
	s_waitcnt lgkmcnt(2)
	v_fma_f64 v[26:27], v[36:37], v[16:17], v[8:9]
	v_fma_f64 v[16:17], v[38:39], v[16:17], v[6:7]
	;; [unrolled: 1-line block ×4, first 2 shown]
	ds_read2_b64 v[6:9], v22 offset0:96 offset1:112
	s_waitcnt lgkmcnt(1)
	v_fma_f64 v[26:27], v[2:3], v[32:33], v[26:27]
	v_fma_f64 v[28:29], v[4:5], v[32:33], v[16:17]
	;; [unrolled: 1-line block ×4, first 2 shown]
	ds_read_b128 v[2:5], v23 offset:32
	ds_read2_b64 v[14:17], v22 offset0:128 offset1:144
	s_waitcnt lgkmcnt(2)
	v_fma_f64 v[36:37], v[6:7], v[34:35], v[26:27]
	v_fma_f64 v[38:39], v[8:9], v[34:35], v[28:29]
	;; [unrolled: 1-line block ×4, first 2 shown]
	ds_read_b128 v[6:9], v23 offset:1056
	ds_read_b128 v[24:27], v23 offset:48
	ds_read2_b64 v[28:31], v22 offset0:160 offset1:176
	ds_read_b128 v[32:35], v23 offset:1072
	s_waitcnt lgkmcnt(4)
	v_fma_f64 v[36:37], v[14:15], v[2:3], v[36:37]
	v_fma_f64 v[2:3], v[16:17], v[2:3], v[38:39]
	s_waitcnt lgkmcnt(3)
	v_fma_f64 v[38:39], v[14:15], v[6:7], v[40:41]
	v_fma_f64 v[6:7], v[16:17], v[6:7], v[42:43]
	ds_read2_b64 v[14:17], v22 offset0:192 offset1:208
	s_waitcnt lgkmcnt(2)
	v_fma_f64 v[36:37], v[28:29], v[4:5], v[36:37]
	v_fma_f64 v[2:3], v[30:31], v[4:5], v[2:3]
	v_fma_f64 v[4:5], v[28:29], v[8:9], v[38:39]
	v_fma_f64 v[6:7], v[30:31], v[8:9], v[6:7]
	ds_read2_b64 v[28:31], v22 offset0:224 offset1:240
	s_waitcnt lgkmcnt(0)
	s_barrier
	buffer_gl0_inv
	v_fma_f64 v[8:9], v[14:15], v[24:25], v[36:37]
	v_fma_f64 v[2:3], v[16:17], v[24:25], v[2:3]
	;; [unrolled: 1-line block ×8, first 2 shown]
	s_cbranch_vccz .LBB300_8
.LBB300_3:                              ; =>This Inner Loop Header: Depth=1
	v_add_co_u32 v14, s9, v19, s20
	v_add_co_ci_u32_e64 v15, null, 0, s21, s9
	v_cmp_gt_i64_e32 vcc_lo, s[16:17], v[14:15]
	v_mov_b32_e32 v14, 0
	v_mov_b32_e32 v15, 0
	s_and_b32 s22, s0, vcc_lo
	s_and_saveexec_b32 s9, s22
	s_cbranch_execz .LBB300_5
; %bb.4:                                ;   in Loop: Header=BB300_3 Depth=1
	global_load_dwordx2 v[14:15], v[12:13], off
.LBB300_5:                              ;   in Loop: Header=BB300_3 Depth=1
	s_or_b32 exec_lo, exec_lo, s9
	v_add_co_u32 v16, s9, v18, s20
	v_add_co_ci_u32_e64 v17, null, 0, s21, s9
	s_waitcnt vmcnt(0)
	ds_write_b64 v20, v[14:15]
	v_cmp_gt_i64_e32 vcc_lo, s[16:17], v[16:17]
	v_mov_b32_e32 v16, 0
	v_mov_b32_e32 v17, 0
	s_and_b32 s22, vcc_lo, s1
	s_and_saveexec_b32 s9, s22
	s_cbranch_execz .LBB300_2
; %bb.6:                                ;   in Loop: Header=BB300_3 Depth=1
	global_load_dwordx2 v[16:17], v[10:11], off
	s_branch .LBB300_2
.LBB300_7:
	v_mov_b32_e32 v8, 0
	v_mov_b32_e32 v6, 0
	;; [unrolled: 1-line block ×8, first 2 shown]
.LBB300_8:
	s_load_dwordx2 s[0:1], s[4:5], 0x80
	v_cmp_neq_f64_e64 s9, s[40:41], 0
	v_add_co_u32 v10, s2, s2, v1
	v_add_co_ci_u32_e64 v11, null, s3, 0, s2
	s_waitcnt lgkmcnt(0)
	s_mul_i32 s1, s1, s8
	s_mul_hi_u32 s2, s0, s8
	s_mul_i32 s0, s0, s8
	s_add_i32 s1, s2, s1
	s_lshl_b64 s[4:5], s[0:1], 3
	v_cmp_gt_i64_e64 s0, s[14:15], v[10:11]
	s_add_u32 s3, s48, s4
	s_addc_u32 s4, s49, s5
	s_and_b32 vcc_lo, exec_lo, s9
	s_cbranch_vccnz .LBB300_21
; %bb.9:
	s_and_saveexec_b32 s5, s0
	s_cbranch_execz .LBB300_19
; %bb.10:
	v_mul_lo_u32 v1, v11, s50
	v_mul_lo_u32 v14, v10, s51
	v_mad_u64_u32 v[12:13], null, v10, s50, 0
	v_add3_u32 v13, v13, v14, v1
	v_add_co_u32 v14, s1, s6, v0
	v_add_co_ci_u32_e64 v15, null, s7, 0, s1
	v_lshlrev_b64 v[16:17], 3, v[12:13]
	v_cmp_gt_i64_e32 vcc_lo, s[12:13], v[14:15]
	v_lshlrev_b64 v[12:13], 3, v[14:15]
	v_add_co_u32 v1, s1, s3, v16
	v_add_co_ci_u32_e64 v16, null, s4, v17, s1
	s_and_saveexec_b32 s2, vcc_lo
	s_cbranch_execz .LBB300_12
; %bb.11:
	v_mul_f64 v[17:18], s[18:19], v[8:9]
	v_add_co_u32 v19, s1, v1, v12
	v_add_co_ci_u32_e64 v20, null, v16, v13, s1
	global_store_dwordx2 v[19:20], v[17:18], off
.LBB300_12:
	s_or_b32 exec_lo, exec_lo, s2
	v_add_co_u32 v14, s1, v14, 16
	v_add_co_ci_u32_e64 v15, null, 0, v15, s1
	v_cmp_gt_i64_e64 s1, s[12:13], v[14:15]
	s_and_saveexec_b32 s9, s1
	s_cbranch_execz .LBB300_14
; %bb.13:
	v_mul_f64 v[14:15], s[18:19], v[6:7]
	v_add_co_u32 v17, s2, v1, v12
	v_add_co_ci_u32_e64 v18, null, v16, v13, s2
	global_store_dwordx2 v[17:18], v[14:15], off offset:128
.LBB300_14:
	s_or_b32 exec_lo, exec_lo, s9
	v_add_co_u32 v14, s2, v10, 16
	v_add_co_ci_u32_e64 v15, null, 0, v11, s2
	v_cmp_gt_i64_e64 s2, s[14:15], v[14:15]
	s_and_b32 exec_lo, exec_lo, s2
	s_cbranch_execz .LBB300_19
; %bb.15:
	s_lshl_b64 s[10:11], s[50:51], 7
	v_add_co_u32 v1, s2, v1, s10
	v_add_co_ci_u32_e64 v14, null, s11, v16, s2
	v_add_co_u32 v12, s2, v1, v12
	v_add_co_ci_u32_e64 v13, null, v14, v13, s2
	s_and_saveexec_b32 s2, vcc_lo
	s_cbranch_execz .LBB300_17
; %bb.16:
	v_mul_f64 v[14:15], s[18:19], v[4:5]
	global_store_dwordx2 v[12:13], v[14:15], off
.LBB300_17:
	s_or_b32 exec_lo, exec_lo, s2
	s_and_b32 exec_lo, exec_lo, s1
	s_cbranch_execz .LBB300_19
; %bb.18:
	v_mul_f64 v[14:15], s[18:19], v[2:3]
	global_store_dwordx2 v[12:13], v[14:15], off offset:128
.LBB300_19:
	s_or_b32 exec_lo, exec_lo, s5
	s_cbranch_execz .LBB300_22
.LBB300_20:
	s_endpgm
.LBB300_21:
.LBB300_22:
	s_and_saveexec_b32 s1, s0
	s_cbranch_execz .LBB300_20
; %bb.23:
	v_mul_lo_u32 v1, v11, s44
	v_mul_lo_u32 v12, v10, s45
	v_mad_u64_u32 v[14:15], null, v10, s44, 0
	v_mul_lo_u32 v18, v11, s50
	v_mul_lo_u32 v19, v10, s51
	v_mad_u64_u32 v[16:17], null, v10, s50, 0
	s_mul_i32 s0, s47, s8
	s_mul_hi_u32 s1, s46, s8
	v_add3_u32 v15, v15, v12, v1
	s_add_i32 s1, s1, s0
	s_mul_i32 s0, s46, s8
	v_add_co_u32 v12, s2, s6, v0
	v_add3_u32 v17, v17, v19, v18
	v_lshlrev_b64 v[0:1], 3, v[14:15]
	s_lshl_b64 s[0:1], s[0:1], 3
	v_add_co_ci_u32_e64 v13, null, s7, 0, s2
	v_lshlrev_b64 v[16:17], 3, v[16:17]
	s_add_u32 s0, s42, s0
	s_addc_u32 s1, s43, s1
	v_add_co_u32 v14, s0, s0, v0
	v_add_co_ci_u32_e64 v15, null, s1, v1, s0
	v_add_co_u32 v16, s0, s3, v16
	v_cmp_gt_i64_e32 vcc_lo, s[12:13], v[12:13]
	v_lshlrev_b64 v[0:1], 3, v[12:13]
	v_add_co_ci_u32_e64 v17, null, s4, v17, s0
	s_and_saveexec_b32 s1, vcc_lo
	s_cbranch_execz .LBB300_25
; %bb.24:
	v_add_co_u32 v18, s0, v14, v0
	v_add_co_ci_u32_e64 v19, null, v15, v1, s0
	global_load_dwordx2 v[18:19], v[18:19], off
	s_waitcnt vmcnt(0)
	v_mul_f64 v[18:19], s[40:41], v[18:19]
	v_fma_f64 v[8:9], s[18:19], v[8:9], v[18:19]
	v_add_co_u32 v18, s0, v16, v0
	v_add_co_ci_u32_e64 v19, null, v17, v1, s0
	global_store_dwordx2 v[18:19], v[8:9], off
.LBB300_25:
	s_or_b32 exec_lo, exec_lo, s1
	v_add_co_u32 v8, s0, v12, 16
	v_add_co_ci_u32_e64 v9, null, 0, v13, s0
	v_cmp_gt_i64_e64 s0, s[12:13], v[8:9]
	s_and_saveexec_b32 s2, s0
	s_cbranch_execz .LBB300_27
; %bb.26:
	v_add_co_u32 v8, s1, v14, v0
	v_add_co_ci_u32_e64 v9, null, v15, v1, s1
	global_load_dwordx2 v[8:9], v[8:9], off offset:128
	s_waitcnt vmcnt(0)
	v_mul_f64 v[8:9], s[40:41], v[8:9]
	v_fma_f64 v[6:7], s[18:19], v[6:7], v[8:9]
	v_add_co_u32 v8, s1, v16, v0
	v_add_co_ci_u32_e64 v9, null, v17, v1, s1
	global_store_dwordx2 v[8:9], v[6:7], off offset:128
.LBB300_27:
	s_or_b32 exec_lo, exec_lo, s2
	v_add_co_u32 v6, s1, v10, 16
	v_add_co_ci_u32_e64 v7, null, 0, v11, s1
	v_cmp_gt_i64_e64 s1, s[14:15], v[6:7]
	s_and_b32 exec_lo, exec_lo, s1
	s_cbranch_execz .LBB300_20
; %bb.28:
	s_lshl_b64 s[2:3], s[44:45], 7
	v_add_co_u32 v6, s1, v14, s2
	v_add_co_ci_u32_e64 v7, null, s3, v15, s1
	s_lshl_b64 s[2:3], s[50:51], 7
	v_add_co_u32 v8, s1, v16, s2
	v_add_co_ci_u32_e64 v9, null, s3, v17, s1
	v_add_co_u32 v6, s1, v6, v0
	v_add_co_ci_u32_e64 v7, null, v7, v1, s1
	;; [unrolled: 2-line block ×3, first 2 shown]
	s_and_saveexec_b32 s1, vcc_lo
	s_cbranch_execz .LBB300_30
; %bb.29:
	global_load_dwordx2 v[8:9], v[6:7], off
	s_waitcnt vmcnt(0)
	v_mul_f64 v[8:9], s[40:41], v[8:9]
	v_fma_f64 v[4:5], s[18:19], v[4:5], v[8:9]
	global_store_dwordx2 v[0:1], v[4:5], off
.LBB300_30:
	s_or_b32 exec_lo, exec_lo, s1
	s_and_b32 exec_lo, exec_lo, s0
	s_cbranch_execz .LBB300_20
; %bb.31:
	global_load_dwordx2 v[4:5], v[6:7], off offset:128
	s_waitcnt vmcnt(0)
	v_mul_f64 v[4:5], s[40:41], v[4:5]
	v_fma_f64 v[2:3], s[18:19], v[2:3], v[4:5]
	global_store_dwordx2 v[0:1], v[2:3], off offset:128
	s_endpgm
	.section	.rodata,"a",@progbits
	.p2align	6, 0x0
	.amdhsa_kernel _ZN12_GLOBAL__N_135rocblas_gemm_batched_general_kernelIdLi16ELi16ELi32ELi32ELi8ELi32ELi8ELi8ELi32ELc84ELc84EKdS1_dEEvlllT_PT11_llS4_llS2_PT12_llPT13_lli
		.amdhsa_group_segment_fixed_size 4096
		.amdhsa_private_segment_fixed_size 0
		.amdhsa_kernarg_size 140
		.amdhsa_user_sgpr_count 6
		.amdhsa_user_sgpr_private_segment_buffer 1
		.amdhsa_user_sgpr_dispatch_ptr 0
		.amdhsa_user_sgpr_queue_ptr 0
		.amdhsa_user_sgpr_kernarg_segment_ptr 1
		.amdhsa_user_sgpr_dispatch_id 0
		.amdhsa_user_sgpr_flat_scratch_init 0
		.amdhsa_user_sgpr_private_segment_size 0
		.amdhsa_wavefront_size32 1
		.amdhsa_uses_dynamic_stack 0
		.amdhsa_system_sgpr_private_segment_wavefront_offset 0
		.amdhsa_system_sgpr_workgroup_id_x 1
		.amdhsa_system_sgpr_workgroup_id_y 1
		.amdhsa_system_sgpr_workgroup_id_z 1
		.amdhsa_system_sgpr_workgroup_info 0
		.amdhsa_system_vgpr_workitem_id 1
		.amdhsa_next_free_vgpr 44
		.amdhsa_next_free_sgpr 52
		.amdhsa_reserve_vcc 1
		.amdhsa_reserve_flat_scratch 0
		.amdhsa_float_round_mode_32 0
		.amdhsa_float_round_mode_16_64 0
		.amdhsa_float_denorm_mode_32 3
		.amdhsa_float_denorm_mode_16_64 3
		.amdhsa_dx10_clamp 1
		.amdhsa_ieee_mode 1
		.amdhsa_fp16_overflow 0
		.amdhsa_workgroup_processor_mode 1
		.amdhsa_memory_ordered 1
		.amdhsa_forward_progress 1
		.amdhsa_shared_vgpr_count 0
		.amdhsa_exception_fp_ieee_invalid_op 0
		.amdhsa_exception_fp_denorm_src 0
		.amdhsa_exception_fp_ieee_div_zero 0
		.amdhsa_exception_fp_ieee_overflow 0
		.amdhsa_exception_fp_ieee_underflow 0
		.amdhsa_exception_fp_ieee_inexact 0
		.amdhsa_exception_int_div_zero 0
	.end_amdhsa_kernel
	.section	.text._ZN12_GLOBAL__N_135rocblas_gemm_batched_general_kernelIdLi16ELi16ELi32ELi32ELi8ELi32ELi8ELi8ELi32ELc84ELc84EKdS1_dEEvlllT_PT11_llS4_llS2_PT12_llPT13_lli,"axG",@progbits,_ZN12_GLOBAL__N_135rocblas_gemm_batched_general_kernelIdLi16ELi16ELi32ELi32ELi8ELi32ELi8ELi8ELi32ELc84ELc84EKdS1_dEEvlllT_PT11_llS4_llS2_PT12_llPT13_lli,comdat
.Lfunc_end300:
	.size	_ZN12_GLOBAL__N_135rocblas_gemm_batched_general_kernelIdLi16ELi16ELi32ELi32ELi8ELi32ELi8ELi8ELi32ELc84ELc84EKdS1_dEEvlllT_PT11_llS4_llS2_PT12_llPT13_lli, .Lfunc_end300-_ZN12_GLOBAL__N_135rocblas_gemm_batched_general_kernelIdLi16ELi16ELi32ELi32ELi8ELi32ELi8ELi8ELi32ELc84ELc84EKdS1_dEEvlllT_PT11_llS4_llS2_PT12_llPT13_lli
                                        ; -- End function
	.set _ZN12_GLOBAL__N_135rocblas_gemm_batched_general_kernelIdLi16ELi16ELi32ELi32ELi8ELi32ELi8ELi8ELi32ELc84ELc84EKdS1_dEEvlllT_PT11_llS4_llS2_PT12_llPT13_lli.num_vgpr, 44
	.set _ZN12_GLOBAL__N_135rocblas_gemm_batched_general_kernelIdLi16ELi16ELi32ELi32ELi8ELi32ELi8ELi8ELi32ELc84ELc84EKdS1_dEEvlllT_PT11_llS4_llS2_PT12_llPT13_lli.num_agpr, 0
	.set _ZN12_GLOBAL__N_135rocblas_gemm_batched_general_kernelIdLi16ELi16ELi32ELi32ELi8ELi32ELi8ELi8ELi32ELc84ELc84EKdS1_dEEvlllT_PT11_llS4_llS2_PT12_llPT13_lli.numbered_sgpr, 52
	.set _ZN12_GLOBAL__N_135rocblas_gemm_batched_general_kernelIdLi16ELi16ELi32ELi32ELi8ELi32ELi8ELi8ELi32ELc84ELc84EKdS1_dEEvlllT_PT11_llS4_llS2_PT12_llPT13_lli.num_named_barrier, 0
	.set _ZN12_GLOBAL__N_135rocblas_gemm_batched_general_kernelIdLi16ELi16ELi32ELi32ELi8ELi32ELi8ELi8ELi32ELc84ELc84EKdS1_dEEvlllT_PT11_llS4_llS2_PT12_llPT13_lli.private_seg_size, 0
	.set _ZN12_GLOBAL__N_135rocblas_gemm_batched_general_kernelIdLi16ELi16ELi32ELi32ELi8ELi32ELi8ELi8ELi32ELc84ELc84EKdS1_dEEvlllT_PT11_llS4_llS2_PT12_llPT13_lli.uses_vcc, 1
	.set _ZN12_GLOBAL__N_135rocblas_gemm_batched_general_kernelIdLi16ELi16ELi32ELi32ELi8ELi32ELi8ELi8ELi32ELc84ELc84EKdS1_dEEvlllT_PT11_llS4_llS2_PT12_llPT13_lli.uses_flat_scratch, 0
	.set _ZN12_GLOBAL__N_135rocblas_gemm_batched_general_kernelIdLi16ELi16ELi32ELi32ELi8ELi32ELi8ELi8ELi32ELc84ELc84EKdS1_dEEvlllT_PT11_llS4_llS2_PT12_llPT13_lli.has_dyn_sized_stack, 0
	.set _ZN12_GLOBAL__N_135rocblas_gemm_batched_general_kernelIdLi16ELi16ELi32ELi32ELi8ELi32ELi8ELi8ELi32ELc84ELc84EKdS1_dEEvlllT_PT11_llS4_llS2_PT12_llPT13_lli.has_recursion, 0
	.set _ZN12_GLOBAL__N_135rocblas_gemm_batched_general_kernelIdLi16ELi16ELi32ELi32ELi8ELi32ELi8ELi8ELi32ELc84ELc84EKdS1_dEEvlllT_PT11_llS4_llS2_PT12_llPT13_lli.has_indirect_call, 0
	.section	.AMDGPU.csdata,"",@progbits
; Kernel info:
; codeLenInByte = 2108
; TotalNumSgprs: 54
; NumVgprs: 44
; ScratchSize: 0
; MemoryBound: 0
; FloatMode: 240
; IeeeMode: 1
; LDSByteSize: 4096 bytes/workgroup (compile time only)
; SGPRBlocks: 0
; VGPRBlocks: 5
; NumSGPRsForWavesPerEU: 54
; NumVGPRsForWavesPerEU: 44
; Occupancy: 16
; WaveLimiterHint : 0
; COMPUTE_PGM_RSRC2:SCRATCH_EN: 0
; COMPUTE_PGM_RSRC2:USER_SGPR: 6
; COMPUTE_PGM_RSRC2:TRAP_HANDLER: 0
; COMPUTE_PGM_RSRC2:TGID_X_EN: 1
; COMPUTE_PGM_RSRC2:TGID_Y_EN: 1
; COMPUTE_PGM_RSRC2:TGID_Z_EN: 1
; COMPUTE_PGM_RSRC2:TIDIG_COMP_CNT: 1
	.section	.text._ZN12_GLOBAL__N_135rocblas_gemm_batched_general_kernelIdLi16ELi16ELi32ELi32ELi8ELi32ELi8ELi8ELi32ELc67ELc67EKdS1_dEEvlllT_PT11_llS4_llS2_PT12_llPT13_lli,"axG",@progbits,_ZN12_GLOBAL__N_135rocblas_gemm_batched_general_kernelIdLi16ELi16ELi32ELi32ELi8ELi32ELi8ELi8ELi32ELc67ELc67EKdS1_dEEvlllT_PT11_llS4_llS2_PT12_llPT13_lli,comdat
	.globl	_ZN12_GLOBAL__N_135rocblas_gemm_batched_general_kernelIdLi16ELi16ELi32ELi32ELi8ELi32ELi8ELi8ELi32ELc67ELc67EKdS1_dEEvlllT_PT11_llS4_llS2_PT12_llPT13_lli ; -- Begin function _ZN12_GLOBAL__N_135rocblas_gemm_batched_general_kernelIdLi16ELi16ELi32ELi32ELi8ELi32ELi8ELi8ELi32ELc67ELc67EKdS1_dEEvlllT_PT11_llS4_llS2_PT12_llPT13_lli
	.p2align	8
	.type	_ZN12_GLOBAL__N_135rocblas_gemm_batched_general_kernelIdLi16ELi16ELi32ELi32ELi8ELi32ELi8ELi8ELi32ELc67ELc67EKdS1_dEEvlllT_PT11_llS4_llS2_PT12_llPT13_lli,@function
_ZN12_GLOBAL__N_135rocblas_gemm_batched_general_kernelIdLi16ELi16ELi32ELi32ELi8ELi32ELi8ELi8ELi32ELc67ELc67EKdS1_dEEvlllT_PT11_llS4_llS2_PT12_llPT13_lli: ; @_ZN12_GLOBAL__N_135rocblas_gemm_batched_general_kernelIdLi16ELi16ELi32ELi32ELi8ELi32ELi8ELi8ELi32ELc67ELc67EKdS1_dEEvlllT_PT11_llS4_llS2_PT12_llPT13_lli
; %bb.0:
	s_clause 0x1
	s_load_dwordx16 s[12:27], s[4:5], 0x0
	s_load_dwordx16 s[36:51], s[4:5], 0x40
	s_mov_b32 s10, s7
	s_ashr_i32 s7, s6, 31
	s_ashr_i32 s11, s10, 31
	s_lshl_b64 s[6:7], s[6:7], 5
	s_lshl_b64 s[2:3], s[10:11], 5
	s_waitcnt lgkmcnt(0)
	v_cmp_lt_i64_e64 s0, s[16:17], 1
	s_and_b32 vcc_lo, exec_lo, s0
	s_cbranch_vccnz .LBB301_7
; %bb.1:
	v_lshl_add_u32 v8, v1, 4, v0
	v_and_b32_e32 v18, 7, v0
	v_mov_b32_e32 v3, s7
	s_mul_i32 s9, s39, s8
	s_mul_hi_u32 s28, s38, s8
	v_and_b32_e32 v9, 31, v8
	v_mad_u64_u32 v[4:5], null, s36, v18, 0
	v_lshrrev_b32_e32 v10, 3, v8
	s_lshl_b64 s[10:11], s[10:11], 8
	v_or_b32_e32 v2, s6, v9
	v_lshlrev_b32_e32 v11, 3, v18
	v_lshrrev_b32_e32 v19, 5, v8
	v_add_co_u32 v6, s0, v10, s2
	v_add_co_ci_u32_e64 v7, null, 0, s3, s0
	v_cmp_gt_i64_e64 s0, s[12:13], v[2:3]
	v_mov_b32_e32 v2, v5
	v_lshl_or_b32 v10, v10, 6, v11
	v_cmp_gt_i64_e64 s1, s[14:15], v[6:7]
	v_lshlrev_b32_e32 v12, 3, v9
	v_lshlrev_b32_e32 v22, 3, v0
	v_mad_u64_u32 v[2:3], null, s37, v18, v[2:3]
	v_add_co_u32 v3, s29, s6, v9
	v_add_co_ci_u32_e64 v6, null, s7, 0, s29
	s_add_i32 s29, s28, s9
	v_mul_lo_u32 v7, s23, v3
	v_mov_b32_e32 v5, v2
	v_mul_lo_u32 v6, s22, v6
	v_mad_u64_u32 v[2:3], null, s22, v3, 0
	s_mul_i32 s28, s38, s8
	v_lshlrev_b64 v[4:5], 3, v[4:5]
	s_lshl_b64 s[22:23], s[28:29], 3
	v_add_nc_u32_e32 v21, 0x800, v10
	s_add_u32 s9, s10, s22
	s_addc_u32 s10, s11, s23
	v_add3_u32 v3, v3, v6, v7
	v_add_co_u32 v4, vcc_lo, s9, v4
	v_and_b32_e32 v6, 0x1ff8, v8
	v_add_co_ci_u32_e64 v5, null, s10, v5, vcc_lo
	s_mul_i32 s9, s25, s8
	s_mul_hi_u32 s10, s24, s8
	v_lshlrev_b64 v[2:3], 3, v[2:3]
	s_add_i32 s11, s10, s9
	s_mul_i32 s10, s24, s8
	v_add_co_u32 v4, vcc_lo, v4, v6
	s_lshl_b64 s[10:11], s[10:11], 3
	v_add_co_ci_u32_e64 v5, null, 0, v5, vcc_lo
	v_add_co_u32 v2, vcc_lo, v2, s10
	v_lshlrev_b32_e32 v6, 3, v19
	v_add_co_ci_u32_e64 v3, null, s11, v3, vcc_lo
	v_add_co_u32 v10, vcc_lo, s26, v4
	v_lshl_or_b32 v20, v19, 8, v12
	v_add_co_ci_u32_e64 v11, null, s27, v5, vcc_lo
	v_add_co_u32 v12, vcc_lo, v2, v6
	v_add_co_ci_u32_e64 v13, null, 0, v3, vcc_lo
	v_mov_b32_e32 v2, 0
	v_add_co_u32 v12, vcc_lo, s20, v12
	v_mov_b32_e32 v4, 0
	v_mov_b32_e32 v6, 0
	;; [unrolled: 1-line block ×3, first 2 shown]
	v_lshl_add_u32 v23, v1, 6, 0x800
	v_mov_b32_e32 v3, 0
	v_mov_b32_e32 v5, 0
	;; [unrolled: 1-line block ×4, first 2 shown]
	v_add_co_ci_u32_e64 v13, null, s21, v13, vcc_lo
	s_lshl_b64 s[10:11], s[36:37], 6
	s_mov_b64 s[20:21], 0
	s_branch .LBB301_3
.LBB301_2:                              ;   in Loop: Header=BB301_3 Depth=1
	s_or_b32 exec_lo, exec_lo, s9
	s_waitcnt vmcnt(0)
	ds_write_b64 v21, v[16:17]
	s_waitcnt lgkmcnt(0)
	s_barrier
	buffer_gl0_inv
	ds_read_b128 v[14:17], v23
	ds_read2_b64 v[24:27], v22 offset1:16
	ds_read_b128 v[28:31], v23 offset:1024
	ds_read_b128 v[32:35], v23 offset:16
	ds_read2_b64 v[36:39], v22 offset0:32 offset1:48
	ds_read_b128 v[40:43], v23 offset:1040
	s_add_u32 s20, s20, 8
	s_addc_u32 s21, s21, 0
	v_add_co_u32 v10, vcc_lo, v10, s10
	v_cmp_lt_i64_e64 s9, s[20:21], s[16:17]
	v_add_co_ci_u32_e64 v11, null, s11, v11, vcc_lo
	v_add_co_u32 v12, vcc_lo, v12, 64
	v_add_co_ci_u32_e64 v13, null, 0, v13, vcc_lo
	s_and_b32 vcc_lo, exec_lo, s9
	s_waitcnt lgkmcnt(4)
	v_fma_f64 v[8:9], v[24:25], v[14:15], v[8:9]
	v_fma_f64 v[6:7], v[26:27], v[14:15], v[6:7]
	s_waitcnt lgkmcnt(3)
	v_fma_f64 v[14:15], v[24:25], v[28:29], v[4:5]
	v_fma_f64 v[24:25], v[26:27], v[28:29], v[2:3]
	ds_read2_b64 v[2:5], v22 offset0:64 offset1:80
	s_waitcnt lgkmcnt(2)
	v_fma_f64 v[26:27], v[36:37], v[16:17], v[8:9]
	v_fma_f64 v[16:17], v[38:39], v[16:17], v[6:7]
	;; [unrolled: 1-line block ×4, first 2 shown]
	ds_read2_b64 v[6:9], v22 offset0:96 offset1:112
	s_waitcnt lgkmcnt(1)
	v_fma_f64 v[26:27], v[2:3], v[32:33], v[26:27]
	v_fma_f64 v[28:29], v[4:5], v[32:33], v[16:17]
	;; [unrolled: 1-line block ×4, first 2 shown]
	ds_read_b128 v[2:5], v23 offset:32
	ds_read2_b64 v[14:17], v22 offset0:128 offset1:144
	s_waitcnt lgkmcnt(2)
	v_fma_f64 v[36:37], v[6:7], v[34:35], v[26:27]
	v_fma_f64 v[38:39], v[8:9], v[34:35], v[28:29]
	;; [unrolled: 1-line block ×4, first 2 shown]
	ds_read_b128 v[6:9], v23 offset:1056
	ds_read_b128 v[24:27], v23 offset:48
	ds_read2_b64 v[28:31], v22 offset0:160 offset1:176
	ds_read_b128 v[32:35], v23 offset:1072
	s_waitcnt lgkmcnt(4)
	v_fma_f64 v[36:37], v[14:15], v[2:3], v[36:37]
	v_fma_f64 v[2:3], v[16:17], v[2:3], v[38:39]
	s_waitcnt lgkmcnt(3)
	v_fma_f64 v[38:39], v[14:15], v[6:7], v[40:41]
	v_fma_f64 v[6:7], v[16:17], v[6:7], v[42:43]
	ds_read2_b64 v[14:17], v22 offset0:192 offset1:208
	s_waitcnt lgkmcnt(2)
	v_fma_f64 v[36:37], v[28:29], v[4:5], v[36:37]
	v_fma_f64 v[2:3], v[30:31], v[4:5], v[2:3]
	;; [unrolled: 1-line block ×4, first 2 shown]
	ds_read2_b64 v[28:31], v22 offset0:224 offset1:240
	s_waitcnt lgkmcnt(0)
	s_barrier
	buffer_gl0_inv
	v_fma_f64 v[8:9], v[14:15], v[24:25], v[36:37]
	v_fma_f64 v[2:3], v[16:17], v[24:25], v[2:3]
	v_fma_f64 v[4:5], v[14:15], v[32:33], v[4:5]
	v_fma_f64 v[14:15], v[16:17], v[32:33], v[6:7]
	v_fma_f64 v[8:9], v[28:29], v[26:27], v[8:9]
	v_fma_f64 v[6:7], v[30:31], v[26:27], v[2:3]
	v_fma_f64 v[4:5], v[28:29], v[34:35], v[4:5]
	v_fma_f64 v[2:3], v[30:31], v[34:35], v[14:15]
	s_cbranch_vccz .LBB301_8
.LBB301_3:                              ; =>This Inner Loop Header: Depth=1
	v_add_co_u32 v14, s9, v19, s20
	v_add_co_ci_u32_e64 v15, null, 0, s21, s9
	v_cmp_gt_i64_e32 vcc_lo, s[16:17], v[14:15]
	v_mov_b32_e32 v14, 0
	v_mov_b32_e32 v15, 0
	s_and_b32 s22, s0, vcc_lo
	s_and_saveexec_b32 s9, s22
	s_cbranch_execz .LBB301_5
; %bb.4:                                ;   in Loop: Header=BB301_3 Depth=1
	global_load_dwordx2 v[14:15], v[12:13], off
.LBB301_5:                              ;   in Loop: Header=BB301_3 Depth=1
	s_or_b32 exec_lo, exec_lo, s9
	v_add_co_u32 v16, s9, v18, s20
	v_add_co_ci_u32_e64 v17, null, 0, s21, s9
	s_waitcnt vmcnt(0)
	ds_write_b64 v20, v[14:15]
	v_cmp_gt_i64_e32 vcc_lo, s[16:17], v[16:17]
	v_mov_b32_e32 v16, 0
	v_mov_b32_e32 v17, 0
	s_and_b32 s22, vcc_lo, s1
	s_and_saveexec_b32 s9, s22
	s_cbranch_execz .LBB301_2
; %bb.6:                                ;   in Loop: Header=BB301_3 Depth=1
	global_load_dwordx2 v[16:17], v[10:11], off
	s_branch .LBB301_2
.LBB301_7:
	v_mov_b32_e32 v8, 0
	v_mov_b32_e32 v6, 0
	;; [unrolled: 1-line block ×8, first 2 shown]
.LBB301_8:
	s_load_dwordx2 s[0:1], s[4:5], 0x80
	v_cmp_neq_f64_e64 s9, s[40:41], 0
	v_add_co_u32 v10, s2, s2, v1
	v_add_co_ci_u32_e64 v11, null, s3, 0, s2
	s_waitcnt lgkmcnt(0)
	s_mul_i32 s1, s1, s8
	s_mul_hi_u32 s2, s0, s8
	s_mul_i32 s0, s0, s8
	s_add_i32 s1, s2, s1
	s_lshl_b64 s[4:5], s[0:1], 3
	v_cmp_gt_i64_e64 s0, s[14:15], v[10:11]
	s_add_u32 s3, s48, s4
	s_addc_u32 s4, s49, s5
	s_and_b32 vcc_lo, exec_lo, s9
	s_cbranch_vccnz .LBB301_21
; %bb.9:
	s_and_saveexec_b32 s5, s0
	s_cbranch_execz .LBB301_19
; %bb.10:
	v_mul_lo_u32 v1, v11, s50
	v_mul_lo_u32 v14, v10, s51
	v_mad_u64_u32 v[12:13], null, v10, s50, 0
	v_add3_u32 v13, v13, v14, v1
	v_add_co_u32 v14, s1, s6, v0
	v_add_co_ci_u32_e64 v15, null, s7, 0, s1
	v_lshlrev_b64 v[16:17], 3, v[12:13]
	v_cmp_gt_i64_e32 vcc_lo, s[12:13], v[14:15]
	v_lshlrev_b64 v[12:13], 3, v[14:15]
	v_add_co_u32 v1, s1, s3, v16
	v_add_co_ci_u32_e64 v16, null, s4, v17, s1
	s_and_saveexec_b32 s2, vcc_lo
	s_cbranch_execz .LBB301_12
; %bb.11:
	v_mul_f64 v[17:18], s[18:19], v[8:9]
	v_add_co_u32 v19, s1, v1, v12
	v_add_co_ci_u32_e64 v20, null, v16, v13, s1
	global_store_dwordx2 v[19:20], v[17:18], off
.LBB301_12:
	s_or_b32 exec_lo, exec_lo, s2
	v_add_co_u32 v14, s1, v14, 16
	v_add_co_ci_u32_e64 v15, null, 0, v15, s1
	v_cmp_gt_i64_e64 s1, s[12:13], v[14:15]
	s_and_saveexec_b32 s9, s1
	s_cbranch_execz .LBB301_14
; %bb.13:
	v_mul_f64 v[14:15], s[18:19], v[6:7]
	v_add_co_u32 v17, s2, v1, v12
	v_add_co_ci_u32_e64 v18, null, v16, v13, s2
	global_store_dwordx2 v[17:18], v[14:15], off offset:128
.LBB301_14:
	s_or_b32 exec_lo, exec_lo, s9
	v_add_co_u32 v14, s2, v10, 16
	v_add_co_ci_u32_e64 v15, null, 0, v11, s2
	v_cmp_gt_i64_e64 s2, s[14:15], v[14:15]
	s_and_b32 exec_lo, exec_lo, s2
	s_cbranch_execz .LBB301_19
; %bb.15:
	s_lshl_b64 s[10:11], s[50:51], 7
	v_add_co_u32 v1, s2, v1, s10
	v_add_co_ci_u32_e64 v14, null, s11, v16, s2
	v_add_co_u32 v12, s2, v1, v12
	v_add_co_ci_u32_e64 v13, null, v14, v13, s2
	s_and_saveexec_b32 s2, vcc_lo
	s_cbranch_execz .LBB301_17
; %bb.16:
	v_mul_f64 v[14:15], s[18:19], v[4:5]
	global_store_dwordx2 v[12:13], v[14:15], off
.LBB301_17:
	s_or_b32 exec_lo, exec_lo, s2
	s_and_b32 exec_lo, exec_lo, s1
	s_cbranch_execz .LBB301_19
; %bb.18:
	v_mul_f64 v[14:15], s[18:19], v[2:3]
	global_store_dwordx2 v[12:13], v[14:15], off offset:128
.LBB301_19:
	s_or_b32 exec_lo, exec_lo, s5
	s_cbranch_execz .LBB301_22
.LBB301_20:
	s_endpgm
.LBB301_21:
.LBB301_22:
	s_and_saveexec_b32 s1, s0
	s_cbranch_execz .LBB301_20
; %bb.23:
	v_mul_lo_u32 v1, v11, s44
	v_mul_lo_u32 v12, v10, s45
	v_mad_u64_u32 v[14:15], null, v10, s44, 0
	v_mul_lo_u32 v18, v11, s50
	v_mul_lo_u32 v19, v10, s51
	v_mad_u64_u32 v[16:17], null, v10, s50, 0
	s_mul_i32 s0, s47, s8
	s_mul_hi_u32 s1, s46, s8
	v_add3_u32 v15, v15, v12, v1
	s_add_i32 s1, s1, s0
	s_mul_i32 s0, s46, s8
	v_add_co_u32 v12, s2, s6, v0
	v_add3_u32 v17, v17, v19, v18
	v_lshlrev_b64 v[0:1], 3, v[14:15]
	s_lshl_b64 s[0:1], s[0:1], 3
	v_add_co_ci_u32_e64 v13, null, s7, 0, s2
	v_lshlrev_b64 v[16:17], 3, v[16:17]
	s_add_u32 s0, s42, s0
	s_addc_u32 s1, s43, s1
	v_add_co_u32 v14, s0, s0, v0
	v_add_co_ci_u32_e64 v15, null, s1, v1, s0
	v_add_co_u32 v16, s0, s3, v16
	v_cmp_gt_i64_e32 vcc_lo, s[12:13], v[12:13]
	v_lshlrev_b64 v[0:1], 3, v[12:13]
	v_add_co_ci_u32_e64 v17, null, s4, v17, s0
	s_and_saveexec_b32 s1, vcc_lo
	s_cbranch_execz .LBB301_25
; %bb.24:
	v_add_co_u32 v18, s0, v14, v0
	v_add_co_ci_u32_e64 v19, null, v15, v1, s0
	global_load_dwordx2 v[18:19], v[18:19], off
	s_waitcnt vmcnt(0)
	v_mul_f64 v[18:19], s[40:41], v[18:19]
	v_fma_f64 v[8:9], s[18:19], v[8:9], v[18:19]
	v_add_co_u32 v18, s0, v16, v0
	v_add_co_ci_u32_e64 v19, null, v17, v1, s0
	global_store_dwordx2 v[18:19], v[8:9], off
.LBB301_25:
	s_or_b32 exec_lo, exec_lo, s1
	v_add_co_u32 v8, s0, v12, 16
	v_add_co_ci_u32_e64 v9, null, 0, v13, s0
	v_cmp_gt_i64_e64 s0, s[12:13], v[8:9]
	s_and_saveexec_b32 s2, s0
	s_cbranch_execz .LBB301_27
; %bb.26:
	v_add_co_u32 v8, s1, v14, v0
	v_add_co_ci_u32_e64 v9, null, v15, v1, s1
	global_load_dwordx2 v[8:9], v[8:9], off offset:128
	s_waitcnt vmcnt(0)
	v_mul_f64 v[8:9], s[40:41], v[8:9]
	v_fma_f64 v[6:7], s[18:19], v[6:7], v[8:9]
	v_add_co_u32 v8, s1, v16, v0
	v_add_co_ci_u32_e64 v9, null, v17, v1, s1
	global_store_dwordx2 v[8:9], v[6:7], off offset:128
.LBB301_27:
	s_or_b32 exec_lo, exec_lo, s2
	v_add_co_u32 v6, s1, v10, 16
	v_add_co_ci_u32_e64 v7, null, 0, v11, s1
	v_cmp_gt_i64_e64 s1, s[14:15], v[6:7]
	s_and_b32 exec_lo, exec_lo, s1
	s_cbranch_execz .LBB301_20
; %bb.28:
	s_lshl_b64 s[2:3], s[44:45], 7
	v_add_co_u32 v6, s1, v14, s2
	v_add_co_ci_u32_e64 v7, null, s3, v15, s1
	s_lshl_b64 s[2:3], s[50:51], 7
	v_add_co_u32 v8, s1, v16, s2
	v_add_co_ci_u32_e64 v9, null, s3, v17, s1
	v_add_co_u32 v6, s1, v6, v0
	v_add_co_ci_u32_e64 v7, null, v7, v1, s1
	;; [unrolled: 2-line block ×3, first 2 shown]
	s_and_saveexec_b32 s1, vcc_lo
	s_cbranch_execz .LBB301_30
; %bb.29:
	global_load_dwordx2 v[8:9], v[6:7], off
	s_waitcnt vmcnt(0)
	v_mul_f64 v[8:9], s[40:41], v[8:9]
	v_fma_f64 v[4:5], s[18:19], v[4:5], v[8:9]
	global_store_dwordx2 v[0:1], v[4:5], off
.LBB301_30:
	s_or_b32 exec_lo, exec_lo, s1
	s_and_b32 exec_lo, exec_lo, s0
	s_cbranch_execz .LBB301_20
; %bb.31:
	global_load_dwordx2 v[4:5], v[6:7], off offset:128
	s_waitcnt vmcnt(0)
	v_mul_f64 v[4:5], s[40:41], v[4:5]
	v_fma_f64 v[2:3], s[18:19], v[2:3], v[4:5]
	global_store_dwordx2 v[0:1], v[2:3], off offset:128
	s_endpgm
	.section	.rodata,"a",@progbits
	.p2align	6, 0x0
	.amdhsa_kernel _ZN12_GLOBAL__N_135rocblas_gemm_batched_general_kernelIdLi16ELi16ELi32ELi32ELi8ELi32ELi8ELi8ELi32ELc67ELc67EKdS1_dEEvlllT_PT11_llS4_llS2_PT12_llPT13_lli
		.amdhsa_group_segment_fixed_size 4096
		.amdhsa_private_segment_fixed_size 0
		.amdhsa_kernarg_size 140
		.amdhsa_user_sgpr_count 6
		.amdhsa_user_sgpr_private_segment_buffer 1
		.amdhsa_user_sgpr_dispatch_ptr 0
		.amdhsa_user_sgpr_queue_ptr 0
		.amdhsa_user_sgpr_kernarg_segment_ptr 1
		.amdhsa_user_sgpr_dispatch_id 0
		.amdhsa_user_sgpr_flat_scratch_init 0
		.amdhsa_user_sgpr_private_segment_size 0
		.amdhsa_wavefront_size32 1
		.amdhsa_uses_dynamic_stack 0
		.amdhsa_system_sgpr_private_segment_wavefront_offset 0
		.amdhsa_system_sgpr_workgroup_id_x 1
		.amdhsa_system_sgpr_workgroup_id_y 1
		.amdhsa_system_sgpr_workgroup_id_z 1
		.amdhsa_system_sgpr_workgroup_info 0
		.amdhsa_system_vgpr_workitem_id 1
		.amdhsa_next_free_vgpr 44
		.amdhsa_next_free_sgpr 52
		.amdhsa_reserve_vcc 1
		.amdhsa_reserve_flat_scratch 0
		.amdhsa_float_round_mode_32 0
		.amdhsa_float_round_mode_16_64 0
		.amdhsa_float_denorm_mode_32 3
		.amdhsa_float_denorm_mode_16_64 3
		.amdhsa_dx10_clamp 1
		.amdhsa_ieee_mode 1
		.amdhsa_fp16_overflow 0
		.amdhsa_workgroup_processor_mode 1
		.amdhsa_memory_ordered 1
		.amdhsa_forward_progress 1
		.amdhsa_shared_vgpr_count 0
		.amdhsa_exception_fp_ieee_invalid_op 0
		.amdhsa_exception_fp_denorm_src 0
		.amdhsa_exception_fp_ieee_div_zero 0
		.amdhsa_exception_fp_ieee_overflow 0
		.amdhsa_exception_fp_ieee_underflow 0
		.amdhsa_exception_fp_ieee_inexact 0
		.amdhsa_exception_int_div_zero 0
	.end_amdhsa_kernel
	.section	.text._ZN12_GLOBAL__N_135rocblas_gemm_batched_general_kernelIdLi16ELi16ELi32ELi32ELi8ELi32ELi8ELi8ELi32ELc67ELc67EKdS1_dEEvlllT_PT11_llS4_llS2_PT12_llPT13_lli,"axG",@progbits,_ZN12_GLOBAL__N_135rocblas_gemm_batched_general_kernelIdLi16ELi16ELi32ELi32ELi8ELi32ELi8ELi8ELi32ELc67ELc67EKdS1_dEEvlllT_PT11_llS4_llS2_PT12_llPT13_lli,comdat
.Lfunc_end301:
	.size	_ZN12_GLOBAL__N_135rocblas_gemm_batched_general_kernelIdLi16ELi16ELi32ELi32ELi8ELi32ELi8ELi8ELi32ELc67ELc67EKdS1_dEEvlllT_PT11_llS4_llS2_PT12_llPT13_lli, .Lfunc_end301-_ZN12_GLOBAL__N_135rocblas_gemm_batched_general_kernelIdLi16ELi16ELi32ELi32ELi8ELi32ELi8ELi8ELi32ELc67ELc67EKdS1_dEEvlllT_PT11_llS4_llS2_PT12_llPT13_lli
                                        ; -- End function
	.set _ZN12_GLOBAL__N_135rocblas_gemm_batched_general_kernelIdLi16ELi16ELi32ELi32ELi8ELi32ELi8ELi8ELi32ELc67ELc67EKdS1_dEEvlllT_PT11_llS4_llS2_PT12_llPT13_lli.num_vgpr, 44
	.set _ZN12_GLOBAL__N_135rocblas_gemm_batched_general_kernelIdLi16ELi16ELi32ELi32ELi8ELi32ELi8ELi8ELi32ELc67ELc67EKdS1_dEEvlllT_PT11_llS4_llS2_PT12_llPT13_lli.num_agpr, 0
	.set _ZN12_GLOBAL__N_135rocblas_gemm_batched_general_kernelIdLi16ELi16ELi32ELi32ELi8ELi32ELi8ELi8ELi32ELc67ELc67EKdS1_dEEvlllT_PT11_llS4_llS2_PT12_llPT13_lli.numbered_sgpr, 52
	.set _ZN12_GLOBAL__N_135rocblas_gemm_batched_general_kernelIdLi16ELi16ELi32ELi32ELi8ELi32ELi8ELi8ELi32ELc67ELc67EKdS1_dEEvlllT_PT11_llS4_llS2_PT12_llPT13_lli.num_named_barrier, 0
	.set _ZN12_GLOBAL__N_135rocblas_gemm_batched_general_kernelIdLi16ELi16ELi32ELi32ELi8ELi32ELi8ELi8ELi32ELc67ELc67EKdS1_dEEvlllT_PT11_llS4_llS2_PT12_llPT13_lli.private_seg_size, 0
	.set _ZN12_GLOBAL__N_135rocblas_gemm_batched_general_kernelIdLi16ELi16ELi32ELi32ELi8ELi32ELi8ELi8ELi32ELc67ELc67EKdS1_dEEvlllT_PT11_llS4_llS2_PT12_llPT13_lli.uses_vcc, 1
	.set _ZN12_GLOBAL__N_135rocblas_gemm_batched_general_kernelIdLi16ELi16ELi32ELi32ELi8ELi32ELi8ELi8ELi32ELc67ELc67EKdS1_dEEvlllT_PT11_llS4_llS2_PT12_llPT13_lli.uses_flat_scratch, 0
	.set _ZN12_GLOBAL__N_135rocblas_gemm_batched_general_kernelIdLi16ELi16ELi32ELi32ELi8ELi32ELi8ELi8ELi32ELc67ELc67EKdS1_dEEvlllT_PT11_llS4_llS2_PT12_llPT13_lli.has_dyn_sized_stack, 0
	.set _ZN12_GLOBAL__N_135rocblas_gemm_batched_general_kernelIdLi16ELi16ELi32ELi32ELi8ELi32ELi8ELi8ELi32ELc67ELc67EKdS1_dEEvlllT_PT11_llS4_llS2_PT12_llPT13_lli.has_recursion, 0
	.set _ZN12_GLOBAL__N_135rocblas_gemm_batched_general_kernelIdLi16ELi16ELi32ELi32ELi8ELi32ELi8ELi8ELi32ELc67ELc67EKdS1_dEEvlllT_PT11_llS4_llS2_PT12_llPT13_lli.has_indirect_call, 0
	.section	.AMDGPU.csdata,"",@progbits
; Kernel info:
; codeLenInByte = 2108
; TotalNumSgprs: 54
; NumVgprs: 44
; ScratchSize: 0
; MemoryBound: 0
; FloatMode: 240
; IeeeMode: 1
; LDSByteSize: 4096 bytes/workgroup (compile time only)
; SGPRBlocks: 0
; VGPRBlocks: 5
; NumSGPRsForWavesPerEU: 54
; NumVGPRsForWavesPerEU: 44
; Occupancy: 16
; WaveLimiterHint : 0
; COMPUTE_PGM_RSRC2:SCRATCH_EN: 0
; COMPUTE_PGM_RSRC2:USER_SGPR: 6
; COMPUTE_PGM_RSRC2:TRAP_HANDLER: 0
; COMPUTE_PGM_RSRC2:TGID_X_EN: 1
; COMPUTE_PGM_RSRC2:TGID_Y_EN: 1
; COMPUTE_PGM_RSRC2:TGID_Z_EN: 1
; COMPUTE_PGM_RSRC2:TIDIG_COMP_CNT: 1
	.section	.text._ZN12_GLOBAL__N_135rocblas_gemm_batched_general_kernelIdLi16ELi16ELi32ELi32ELi8ELi32ELi8ELi8ELi32ELc67ELc78EKdS1_dEEvlllT_PT11_llS4_llS2_PT12_llPT13_lli,"axG",@progbits,_ZN12_GLOBAL__N_135rocblas_gemm_batched_general_kernelIdLi16ELi16ELi32ELi32ELi8ELi32ELi8ELi8ELi32ELc67ELc78EKdS1_dEEvlllT_PT11_llS4_llS2_PT12_llPT13_lli,comdat
	.globl	_ZN12_GLOBAL__N_135rocblas_gemm_batched_general_kernelIdLi16ELi16ELi32ELi32ELi8ELi32ELi8ELi8ELi32ELc67ELc78EKdS1_dEEvlllT_PT11_llS4_llS2_PT12_llPT13_lli ; -- Begin function _ZN12_GLOBAL__N_135rocblas_gemm_batched_general_kernelIdLi16ELi16ELi32ELi32ELi8ELi32ELi8ELi8ELi32ELc67ELc78EKdS1_dEEvlllT_PT11_llS4_llS2_PT12_llPT13_lli
	.p2align	8
	.type	_ZN12_GLOBAL__N_135rocblas_gemm_batched_general_kernelIdLi16ELi16ELi32ELi32ELi8ELi32ELi8ELi8ELi32ELc67ELc78EKdS1_dEEvlllT_PT11_llS4_llS2_PT12_llPT13_lli,@function
_ZN12_GLOBAL__N_135rocblas_gemm_batched_general_kernelIdLi16ELi16ELi32ELi32ELi8ELi32ELi8ELi8ELi32ELc67ELc78EKdS1_dEEvlllT_PT11_llS4_llS2_PT12_llPT13_lli: ; @_ZN12_GLOBAL__N_135rocblas_gemm_batched_general_kernelIdLi16ELi16ELi32ELi32ELi8ELi32ELi8ELi8ELi32ELc67ELc78EKdS1_dEEvlllT_PT11_llS4_llS2_PT12_llPT13_lli
; %bb.0:
	s_clause 0x1
	s_load_dwordx16 s[12:27], s[4:5], 0x0
	s_load_dwordx16 s[36:51], s[4:5], 0x40
	s_mov_b32 s0, s7
	s_ashr_i32 s7, s6, 31
	s_ashr_i32 s1, s0, 31
	s_lshl_b64 s[6:7], s[6:7], 5
	s_waitcnt lgkmcnt(0)
	v_cmp_lt_i64_e64 s2, s[16:17], 1
	s_and_b32 vcc_lo, exec_lo, s2
	s_lshl_b64 s[2:3], s[0:1], 5
	s_cbranch_vccnz .LBB302_7
; %bb.1:
	v_lshl_add_u32 v2, v1, 4, v0
	v_and_b32_e32 v18, 7, v0
	v_mov_b32_e32 v3, s7
	s_mul_hi_u32 s10, s38, s8
	v_lshlrev_b32_e32 v22, 3, v0
	v_lshrrev_b32_e32 v7, 3, v2
	v_and_b32_e32 v6, 31, v2
	v_lshrrev_b32_e32 v19, 5, v2
	v_lshlrev_b32_e32 v9, 3, v18
	v_lshl_add_u32 v23, v1, 6, 0x800
	v_add_co_u32 v4, s0, v7, s2
	v_or_b32_e32 v2, s6, v6
	v_lshlrev_b32_e32 v8, 3, v6
	v_add_co_ci_u32_e64 v5, null, 0, s3, s0
	v_add_co_u32 v6, s9, s6, v6
	v_cmp_gt_i64_e64 s0, s[12:13], v[2:3]
	v_lshl_or_b32 v20, v19, 8, v8
	v_cmp_gt_i64_e64 s1, s[14:15], v[4:5]
	v_mul_lo_u32 v8, s37, v4
	v_mul_lo_u32 v5, s36, v5
	v_mad_u64_u32 v[2:3], null, s36, v4, 0
	v_lshl_or_b32 v4, v7, 6, v9
	v_add_co_ci_u32_e64 v7, null, s7, 0, s9
	s_mul_i32 s9, s39, s8
	v_add_nc_u32_e32 v21, 0x800, v4
	v_add3_u32 v3, v3, v5, v8
	v_mul_lo_u32 v8, s23, v6
	v_mul_lo_u32 v7, s22, v7
	v_mad_u64_u32 v[4:5], null, s22, v6, 0
	v_lshlrev_b64 v[2:3], 3, v[2:3]
	s_add_i32 s11, s10, s9
	s_mul_i32 s10, s38, s8
	s_mul_i32 s9, s25, s8
	s_lshl_b64 s[10:11], s[10:11], 3
	v_add3_u32 v5, v5, v7, v8
	v_add_co_u32 v6, vcc_lo, v2, s10
	v_add_co_ci_u32_e64 v7, null, s11, v3, vcc_lo
	s_mul_hi_u32 s10, s24, s8
	v_lshlrev_b64 v[2:3], 3, v[4:5]
	s_add_i32 s11, s10, s9
	s_mul_i32 s10, s24, s8
	v_add_co_u32 v4, vcc_lo, v6, v9
	s_lshl_b64 s[10:11], s[10:11], 3
	v_add_co_ci_u32_e64 v5, null, 0, v7, vcc_lo
	v_add_co_u32 v2, vcc_lo, v2, s10
	v_lshlrev_b32_e32 v6, 3, v19
	v_add_co_ci_u32_e64 v3, null, s11, v3, vcc_lo
	v_add_co_u32 v10, vcc_lo, s26, v4
	v_add_co_ci_u32_e64 v11, null, s27, v5, vcc_lo
	v_add_co_u32 v12, vcc_lo, v2, v6
	v_add_co_ci_u32_e64 v13, null, 0, v3, vcc_lo
	v_mov_b32_e32 v2, 0
	v_add_co_u32 v12, vcc_lo, s20, v12
	v_mov_b32_e32 v4, 0
	v_mov_b32_e32 v6, 0
	;; [unrolled: 1-line block ×7, first 2 shown]
	v_add_co_ci_u32_e64 v13, null, s21, v13, vcc_lo
	s_mov_b64 s[10:11], 0
	s_branch .LBB302_3
.LBB302_2:                              ;   in Loop: Header=BB302_3 Depth=1
	s_or_b32 exec_lo, exec_lo, s9
	s_waitcnt vmcnt(0)
	ds_write_b64 v21, v[16:17]
	s_waitcnt lgkmcnt(0)
	s_barrier
	buffer_gl0_inv
	ds_read_b128 v[14:17], v23
	ds_read2_b64 v[24:27], v22 offset1:16
	ds_read_b128 v[28:31], v23 offset:1024
	ds_read_b128 v[32:35], v23 offset:16
	ds_read2_b64 v[36:39], v22 offset0:32 offset1:48
	ds_read_b128 v[40:43], v23 offset:1040
	s_add_u32 s10, s10, 8
	s_addc_u32 s11, s11, 0
	v_add_co_u32 v10, vcc_lo, v10, 64
	v_cmp_lt_i64_e64 s9, s[10:11], s[16:17]
	v_add_co_ci_u32_e64 v11, null, 0, v11, vcc_lo
	v_add_co_u32 v12, vcc_lo, v12, 64
	v_add_co_ci_u32_e64 v13, null, 0, v13, vcc_lo
	s_and_b32 vcc_lo, exec_lo, s9
	s_waitcnt lgkmcnt(4)
	v_fma_f64 v[8:9], v[24:25], v[14:15], v[8:9]
	v_fma_f64 v[6:7], v[26:27], v[14:15], v[6:7]
	s_waitcnt lgkmcnt(3)
	v_fma_f64 v[14:15], v[24:25], v[28:29], v[4:5]
	v_fma_f64 v[24:25], v[26:27], v[28:29], v[2:3]
	ds_read2_b64 v[2:5], v22 offset0:64 offset1:80
	s_waitcnt lgkmcnt(2)
	v_fma_f64 v[26:27], v[36:37], v[16:17], v[8:9]
	v_fma_f64 v[16:17], v[38:39], v[16:17], v[6:7]
	;; [unrolled: 1-line block ×4, first 2 shown]
	ds_read2_b64 v[6:9], v22 offset0:96 offset1:112
	s_waitcnt lgkmcnt(1)
	v_fma_f64 v[26:27], v[2:3], v[32:33], v[26:27]
	v_fma_f64 v[28:29], v[4:5], v[32:33], v[16:17]
	;; [unrolled: 1-line block ×4, first 2 shown]
	ds_read_b128 v[2:5], v23 offset:32
	ds_read2_b64 v[14:17], v22 offset0:128 offset1:144
	s_waitcnt lgkmcnt(2)
	v_fma_f64 v[36:37], v[6:7], v[34:35], v[26:27]
	v_fma_f64 v[38:39], v[8:9], v[34:35], v[28:29]
	;; [unrolled: 1-line block ×4, first 2 shown]
	ds_read_b128 v[6:9], v23 offset:1056
	ds_read_b128 v[24:27], v23 offset:48
	ds_read2_b64 v[28:31], v22 offset0:160 offset1:176
	ds_read_b128 v[32:35], v23 offset:1072
	s_waitcnt lgkmcnt(4)
	v_fma_f64 v[36:37], v[14:15], v[2:3], v[36:37]
	v_fma_f64 v[2:3], v[16:17], v[2:3], v[38:39]
	s_waitcnt lgkmcnt(3)
	v_fma_f64 v[38:39], v[14:15], v[6:7], v[40:41]
	v_fma_f64 v[6:7], v[16:17], v[6:7], v[42:43]
	ds_read2_b64 v[14:17], v22 offset0:192 offset1:208
	s_waitcnt lgkmcnt(2)
	v_fma_f64 v[36:37], v[28:29], v[4:5], v[36:37]
	v_fma_f64 v[2:3], v[30:31], v[4:5], v[2:3]
	;; [unrolled: 1-line block ×4, first 2 shown]
	ds_read2_b64 v[28:31], v22 offset0:224 offset1:240
	s_waitcnt lgkmcnt(0)
	s_barrier
	buffer_gl0_inv
	v_fma_f64 v[8:9], v[14:15], v[24:25], v[36:37]
	v_fma_f64 v[2:3], v[16:17], v[24:25], v[2:3]
	;; [unrolled: 1-line block ×8, first 2 shown]
	s_cbranch_vccz .LBB302_8
.LBB302_3:                              ; =>This Inner Loop Header: Depth=1
	v_add_co_u32 v14, s9, v19, s10
	v_add_co_ci_u32_e64 v15, null, 0, s11, s9
	v_cmp_gt_i64_e32 vcc_lo, s[16:17], v[14:15]
	v_mov_b32_e32 v14, 0
	v_mov_b32_e32 v15, 0
	s_and_b32 s20, s0, vcc_lo
	s_and_saveexec_b32 s9, s20
	s_cbranch_execz .LBB302_5
; %bb.4:                                ;   in Loop: Header=BB302_3 Depth=1
	global_load_dwordx2 v[14:15], v[12:13], off
.LBB302_5:                              ;   in Loop: Header=BB302_3 Depth=1
	s_or_b32 exec_lo, exec_lo, s9
	v_add_co_u32 v16, s9, v18, s10
	v_add_co_ci_u32_e64 v17, null, 0, s11, s9
	s_waitcnt vmcnt(0)
	ds_write_b64 v20, v[14:15]
	v_cmp_gt_i64_e32 vcc_lo, s[16:17], v[16:17]
	v_mov_b32_e32 v16, 0
	v_mov_b32_e32 v17, 0
	s_and_b32 s20, vcc_lo, s1
	s_and_saveexec_b32 s9, s20
	s_cbranch_execz .LBB302_2
; %bb.6:                                ;   in Loop: Header=BB302_3 Depth=1
	global_load_dwordx2 v[16:17], v[10:11], off
	s_branch .LBB302_2
.LBB302_7:
	v_mov_b32_e32 v8, 0
	v_mov_b32_e32 v6, 0
	;; [unrolled: 1-line block ×8, first 2 shown]
.LBB302_8:
	s_load_dwordx2 s[0:1], s[4:5], 0x80
	v_cmp_neq_f64_e64 s9, s[40:41], 0
	v_add_co_u32 v10, s2, s2, v1
	v_add_co_ci_u32_e64 v11, null, s3, 0, s2
	s_waitcnt lgkmcnt(0)
	s_mul_i32 s1, s1, s8
	s_mul_hi_u32 s2, s0, s8
	s_mul_i32 s0, s0, s8
	s_add_i32 s1, s2, s1
	s_lshl_b64 s[4:5], s[0:1], 3
	v_cmp_gt_i64_e64 s0, s[14:15], v[10:11]
	s_add_u32 s3, s48, s4
	s_addc_u32 s4, s49, s5
	s_and_b32 vcc_lo, exec_lo, s9
	s_cbranch_vccnz .LBB302_21
; %bb.9:
	s_and_saveexec_b32 s5, s0
	s_cbranch_execz .LBB302_19
; %bb.10:
	v_mul_lo_u32 v1, v11, s50
	v_mul_lo_u32 v14, v10, s51
	v_mad_u64_u32 v[12:13], null, v10, s50, 0
	v_add3_u32 v13, v13, v14, v1
	v_add_co_u32 v14, s1, s6, v0
	v_add_co_ci_u32_e64 v15, null, s7, 0, s1
	v_lshlrev_b64 v[16:17], 3, v[12:13]
	v_cmp_gt_i64_e32 vcc_lo, s[12:13], v[14:15]
	v_lshlrev_b64 v[12:13], 3, v[14:15]
	v_add_co_u32 v1, s1, s3, v16
	v_add_co_ci_u32_e64 v16, null, s4, v17, s1
	s_and_saveexec_b32 s2, vcc_lo
	s_cbranch_execz .LBB302_12
; %bb.11:
	v_mul_f64 v[17:18], s[18:19], v[8:9]
	v_add_co_u32 v19, s1, v1, v12
	v_add_co_ci_u32_e64 v20, null, v16, v13, s1
	global_store_dwordx2 v[19:20], v[17:18], off
.LBB302_12:
	s_or_b32 exec_lo, exec_lo, s2
	v_add_co_u32 v14, s1, v14, 16
	v_add_co_ci_u32_e64 v15, null, 0, v15, s1
	v_cmp_gt_i64_e64 s1, s[12:13], v[14:15]
	s_and_saveexec_b32 s9, s1
	s_cbranch_execz .LBB302_14
; %bb.13:
	v_mul_f64 v[14:15], s[18:19], v[6:7]
	v_add_co_u32 v17, s2, v1, v12
	v_add_co_ci_u32_e64 v18, null, v16, v13, s2
	global_store_dwordx2 v[17:18], v[14:15], off offset:128
.LBB302_14:
	s_or_b32 exec_lo, exec_lo, s9
	v_add_co_u32 v14, s2, v10, 16
	v_add_co_ci_u32_e64 v15, null, 0, v11, s2
	v_cmp_gt_i64_e64 s2, s[14:15], v[14:15]
	s_and_b32 exec_lo, exec_lo, s2
	s_cbranch_execz .LBB302_19
; %bb.15:
	s_lshl_b64 s[10:11], s[50:51], 7
	v_add_co_u32 v1, s2, v1, s10
	v_add_co_ci_u32_e64 v14, null, s11, v16, s2
	v_add_co_u32 v12, s2, v1, v12
	v_add_co_ci_u32_e64 v13, null, v14, v13, s2
	s_and_saveexec_b32 s2, vcc_lo
	s_cbranch_execz .LBB302_17
; %bb.16:
	v_mul_f64 v[14:15], s[18:19], v[4:5]
	global_store_dwordx2 v[12:13], v[14:15], off
.LBB302_17:
	s_or_b32 exec_lo, exec_lo, s2
	s_and_b32 exec_lo, exec_lo, s1
	s_cbranch_execz .LBB302_19
; %bb.18:
	v_mul_f64 v[14:15], s[18:19], v[2:3]
	global_store_dwordx2 v[12:13], v[14:15], off offset:128
.LBB302_19:
	s_or_b32 exec_lo, exec_lo, s5
	s_cbranch_execz .LBB302_22
.LBB302_20:
	s_endpgm
.LBB302_21:
.LBB302_22:
	s_and_saveexec_b32 s1, s0
	s_cbranch_execz .LBB302_20
; %bb.23:
	v_mul_lo_u32 v1, v11, s44
	v_mul_lo_u32 v12, v10, s45
	v_mad_u64_u32 v[14:15], null, v10, s44, 0
	v_mul_lo_u32 v18, v11, s50
	v_mul_lo_u32 v19, v10, s51
	v_mad_u64_u32 v[16:17], null, v10, s50, 0
	s_mul_i32 s0, s47, s8
	s_mul_hi_u32 s1, s46, s8
	v_add3_u32 v15, v15, v12, v1
	s_add_i32 s1, s1, s0
	s_mul_i32 s0, s46, s8
	v_add_co_u32 v12, s2, s6, v0
	v_add3_u32 v17, v17, v19, v18
	v_lshlrev_b64 v[0:1], 3, v[14:15]
	s_lshl_b64 s[0:1], s[0:1], 3
	v_add_co_ci_u32_e64 v13, null, s7, 0, s2
	v_lshlrev_b64 v[16:17], 3, v[16:17]
	s_add_u32 s0, s42, s0
	s_addc_u32 s1, s43, s1
	v_add_co_u32 v14, s0, s0, v0
	v_add_co_ci_u32_e64 v15, null, s1, v1, s0
	v_add_co_u32 v16, s0, s3, v16
	v_cmp_gt_i64_e32 vcc_lo, s[12:13], v[12:13]
	v_lshlrev_b64 v[0:1], 3, v[12:13]
	v_add_co_ci_u32_e64 v17, null, s4, v17, s0
	s_and_saveexec_b32 s1, vcc_lo
	s_cbranch_execz .LBB302_25
; %bb.24:
	v_add_co_u32 v18, s0, v14, v0
	v_add_co_ci_u32_e64 v19, null, v15, v1, s0
	global_load_dwordx2 v[18:19], v[18:19], off
	s_waitcnt vmcnt(0)
	v_mul_f64 v[18:19], s[40:41], v[18:19]
	v_fma_f64 v[8:9], s[18:19], v[8:9], v[18:19]
	v_add_co_u32 v18, s0, v16, v0
	v_add_co_ci_u32_e64 v19, null, v17, v1, s0
	global_store_dwordx2 v[18:19], v[8:9], off
.LBB302_25:
	s_or_b32 exec_lo, exec_lo, s1
	v_add_co_u32 v8, s0, v12, 16
	v_add_co_ci_u32_e64 v9, null, 0, v13, s0
	v_cmp_gt_i64_e64 s0, s[12:13], v[8:9]
	s_and_saveexec_b32 s2, s0
	s_cbranch_execz .LBB302_27
; %bb.26:
	v_add_co_u32 v8, s1, v14, v0
	v_add_co_ci_u32_e64 v9, null, v15, v1, s1
	global_load_dwordx2 v[8:9], v[8:9], off offset:128
	s_waitcnt vmcnt(0)
	v_mul_f64 v[8:9], s[40:41], v[8:9]
	v_fma_f64 v[6:7], s[18:19], v[6:7], v[8:9]
	v_add_co_u32 v8, s1, v16, v0
	v_add_co_ci_u32_e64 v9, null, v17, v1, s1
	global_store_dwordx2 v[8:9], v[6:7], off offset:128
.LBB302_27:
	s_or_b32 exec_lo, exec_lo, s2
	v_add_co_u32 v6, s1, v10, 16
	v_add_co_ci_u32_e64 v7, null, 0, v11, s1
	v_cmp_gt_i64_e64 s1, s[14:15], v[6:7]
	s_and_b32 exec_lo, exec_lo, s1
	s_cbranch_execz .LBB302_20
; %bb.28:
	s_lshl_b64 s[2:3], s[44:45], 7
	v_add_co_u32 v6, s1, v14, s2
	v_add_co_ci_u32_e64 v7, null, s3, v15, s1
	s_lshl_b64 s[2:3], s[50:51], 7
	v_add_co_u32 v8, s1, v16, s2
	v_add_co_ci_u32_e64 v9, null, s3, v17, s1
	v_add_co_u32 v6, s1, v6, v0
	v_add_co_ci_u32_e64 v7, null, v7, v1, s1
	;; [unrolled: 2-line block ×3, first 2 shown]
	s_and_saveexec_b32 s1, vcc_lo
	s_cbranch_execz .LBB302_30
; %bb.29:
	global_load_dwordx2 v[8:9], v[6:7], off
	s_waitcnt vmcnt(0)
	v_mul_f64 v[8:9], s[40:41], v[8:9]
	v_fma_f64 v[4:5], s[18:19], v[4:5], v[8:9]
	global_store_dwordx2 v[0:1], v[4:5], off
.LBB302_30:
	s_or_b32 exec_lo, exec_lo, s1
	s_and_b32 exec_lo, exec_lo, s0
	s_cbranch_execz .LBB302_20
; %bb.31:
	global_load_dwordx2 v[4:5], v[6:7], off offset:128
	s_waitcnt vmcnt(0)
	v_mul_f64 v[4:5], s[40:41], v[4:5]
	v_fma_f64 v[2:3], s[18:19], v[2:3], v[4:5]
	global_store_dwordx2 v[0:1], v[2:3], off offset:128
	s_endpgm
	.section	.rodata,"a",@progbits
	.p2align	6, 0x0
	.amdhsa_kernel _ZN12_GLOBAL__N_135rocblas_gemm_batched_general_kernelIdLi16ELi16ELi32ELi32ELi8ELi32ELi8ELi8ELi32ELc67ELc78EKdS1_dEEvlllT_PT11_llS4_llS2_PT12_llPT13_lli
		.amdhsa_group_segment_fixed_size 4096
		.amdhsa_private_segment_fixed_size 0
		.amdhsa_kernarg_size 140
		.amdhsa_user_sgpr_count 6
		.amdhsa_user_sgpr_private_segment_buffer 1
		.amdhsa_user_sgpr_dispatch_ptr 0
		.amdhsa_user_sgpr_queue_ptr 0
		.amdhsa_user_sgpr_kernarg_segment_ptr 1
		.amdhsa_user_sgpr_dispatch_id 0
		.amdhsa_user_sgpr_flat_scratch_init 0
		.amdhsa_user_sgpr_private_segment_size 0
		.amdhsa_wavefront_size32 1
		.amdhsa_uses_dynamic_stack 0
		.amdhsa_system_sgpr_private_segment_wavefront_offset 0
		.amdhsa_system_sgpr_workgroup_id_x 1
		.amdhsa_system_sgpr_workgroup_id_y 1
		.amdhsa_system_sgpr_workgroup_id_z 1
		.amdhsa_system_sgpr_workgroup_info 0
		.amdhsa_system_vgpr_workitem_id 1
		.amdhsa_next_free_vgpr 44
		.amdhsa_next_free_sgpr 52
		.amdhsa_reserve_vcc 1
		.amdhsa_reserve_flat_scratch 0
		.amdhsa_float_round_mode_32 0
		.amdhsa_float_round_mode_16_64 0
		.amdhsa_float_denorm_mode_32 3
		.amdhsa_float_denorm_mode_16_64 3
		.amdhsa_dx10_clamp 1
		.amdhsa_ieee_mode 1
		.amdhsa_fp16_overflow 0
		.amdhsa_workgroup_processor_mode 1
		.amdhsa_memory_ordered 1
		.amdhsa_forward_progress 1
		.amdhsa_shared_vgpr_count 0
		.amdhsa_exception_fp_ieee_invalid_op 0
		.amdhsa_exception_fp_denorm_src 0
		.amdhsa_exception_fp_ieee_div_zero 0
		.amdhsa_exception_fp_ieee_overflow 0
		.amdhsa_exception_fp_ieee_underflow 0
		.amdhsa_exception_fp_ieee_inexact 0
		.amdhsa_exception_int_div_zero 0
	.end_amdhsa_kernel
	.section	.text._ZN12_GLOBAL__N_135rocblas_gemm_batched_general_kernelIdLi16ELi16ELi32ELi32ELi8ELi32ELi8ELi8ELi32ELc67ELc78EKdS1_dEEvlllT_PT11_llS4_llS2_PT12_llPT13_lli,"axG",@progbits,_ZN12_GLOBAL__N_135rocblas_gemm_batched_general_kernelIdLi16ELi16ELi32ELi32ELi8ELi32ELi8ELi8ELi32ELc67ELc78EKdS1_dEEvlllT_PT11_llS4_llS2_PT12_llPT13_lli,comdat
.Lfunc_end302:
	.size	_ZN12_GLOBAL__N_135rocblas_gemm_batched_general_kernelIdLi16ELi16ELi32ELi32ELi8ELi32ELi8ELi8ELi32ELc67ELc78EKdS1_dEEvlllT_PT11_llS4_llS2_PT12_llPT13_lli, .Lfunc_end302-_ZN12_GLOBAL__N_135rocblas_gemm_batched_general_kernelIdLi16ELi16ELi32ELi32ELi8ELi32ELi8ELi8ELi32ELc67ELc78EKdS1_dEEvlllT_PT11_llS4_llS2_PT12_llPT13_lli
                                        ; -- End function
	.set _ZN12_GLOBAL__N_135rocblas_gemm_batched_general_kernelIdLi16ELi16ELi32ELi32ELi8ELi32ELi8ELi8ELi32ELc67ELc78EKdS1_dEEvlllT_PT11_llS4_llS2_PT12_llPT13_lli.num_vgpr, 44
	.set _ZN12_GLOBAL__N_135rocblas_gemm_batched_general_kernelIdLi16ELi16ELi32ELi32ELi8ELi32ELi8ELi8ELi32ELc67ELc78EKdS1_dEEvlllT_PT11_llS4_llS2_PT12_llPT13_lli.num_agpr, 0
	.set _ZN12_GLOBAL__N_135rocblas_gemm_batched_general_kernelIdLi16ELi16ELi32ELi32ELi8ELi32ELi8ELi8ELi32ELc67ELc78EKdS1_dEEvlllT_PT11_llS4_llS2_PT12_llPT13_lli.numbered_sgpr, 52
	.set _ZN12_GLOBAL__N_135rocblas_gemm_batched_general_kernelIdLi16ELi16ELi32ELi32ELi8ELi32ELi8ELi8ELi32ELc67ELc78EKdS1_dEEvlllT_PT11_llS4_llS2_PT12_llPT13_lli.num_named_barrier, 0
	.set _ZN12_GLOBAL__N_135rocblas_gemm_batched_general_kernelIdLi16ELi16ELi32ELi32ELi8ELi32ELi8ELi8ELi32ELc67ELc78EKdS1_dEEvlllT_PT11_llS4_llS2_PT12_llPT13_lli.private_seg_size, 0
	.set _ZN12_GLOBAL__N_135rocblas_gemm_batched_general_kernelIdLi16ELi16ELi32ELi32ELi8ELi32ELi8ELi8ELi32ELc67ELc78EKdS1_dEEvlllT_PT11_llS4_llS2_PT12_llPT13_lli.uses_vcc, 1
	.set _ZN12_GLOBAL__N_135rocblas_gemm_batched_general_kernelIdLi16ELi16ELi32ELi32ELi8ELi32ELi8ELi8ELi32ELc67ELc78EKdS1_dEEvlllT_PT11_llS4_llS2_PT12_llPT13_lli.uses_flat_scratch, 0
	.set _ZN12_GLOBAL__N_135rocblas_gemm_batched_general_kernelIdLi16ELi16ELi32ELi32ELi8ELi32ELi8ELi8ELi32ELc67ELc78EKdS1_dEEvlllT_PT11_llS4_llS2_PT12_llPT13_lli.has_dyn_sized_stack, 0
	.set _ZN12_GLOBAL__N_135rocblas_gemm_batched_general_kernelIdLi16ELi16ELi32ELi32ELi8ELi32ELi8ELi8ELi32ELc67ELc78EKdS1_dEEvlllT_PT11_llS4_llS2_PT12_llPT13_lli.has_recursion, 0
	.set _ZN12_GLOBAL__N_135rocblas_gemm_batched_general_kernelIdLi16ELi16ELi32ELi32ELi8ELi32ELi8ELi8ELi32ELc67ELc78EKdS1_dEEvlllT_PT11_llS4_llS2_PT12_llPT13_lli.has_indirect_call, 0
	.section	.AMDGPU.csdata,"",@progbits
; Kernel info:
; codeLenInByte = 2092
; TotalNumSgprs: 54
; NumVgprs: 44
; ScratchSize: 0
; MemoryBound: 0
; FloatMode: 240
; IeeeMode: 1
; LDSByteSize: 4096 bytes/workgroup (compile time only)
; SGPRBlocks: 0
; VGPRBlocks: 5
; NumSGPRsForWavesPerEU: 54
; NumVGPRsForWavesPerEU: 44
; Occupancy: 16
; WaveLimiterHint : 0
; COMPUTE_PGM_RSRC2:SCRATCH_EN: 0
; COMPUTE_PGM_RSRC2:USER_SGPR: 6
; COMPUTE_PGM_RSRC2:TRAP_HANDLER: 0
; COMPUTE_PGM_RSRC2:TGID_X_EN: 1
; COMPUTE_PGM_RSRC2:TGID_Y_EN: 1
; COMPUTE_PGM_RSRC2:TGID_Z_EN: 1
; COMPUTE_PGM_RSRC2:TIDIG_COMP_CNT: 1
	.section	.text._ZN12_GLOBAL__N_135rocblas_gemm_batched_general_kernelIdLi16ELi16ELi32ELi32ELi8ELi32ELi8ELi8ELi32ELc67ELc84EKdS1_dEEvlllT_PT11_llS4_llS2_PT12_llPT13_lli,"axG",@progbits,_ZN12_GLOBAL__N_135rocblas_gemm_batched_general_kernelIdLi16ELi16ELi32ELi32ELi8ELi32ELi8ELi8ELi32ELc67ELc84EKdS1_dEEvlllT_PT11_llS4_llS2_PT12_llPT13_lli,comdat
	.globl	_ZN12_GLOBAL__N_135rocblas_gemm_batched_general_kernelIdLi16ELi16ELi32ELi32ELi8ELi32ELi8ELi8ELi32ELc67ELc84EKdS1_dEEvlllT_PT11_llS4_llS2_PT12_llPT13_lli ; -- Begin function _ZN12_GLOBAL__N_135rocblas_gemm_batched_general_kernelIdLi16ELi16ELi32ELi32ELi8ELi32ELi8ELi8ELi32ELc67ELc84EKdS1_dEEvlllT_PT11_llS4_llS2_PT12_llPT13_lli
	.p2align	8
	.type	_ZN12_GLOBAL__N_135rocblas_gemm_batched_general_kernelIdLi16ELi16ELi32ELi32ELi8ELi32ELi8ELi8ELi32ELc67ELc84EKdS1_dEEvlllT_PT11_llS4_llS2_PT12_llPT13_lli,@function
_ZN12_GLOBAL__N_135rocblas_gemm_batched_general_kernelIdLi16ELi16ELi32ELi32ELi8ELi32ELi8ELi8ELi32ELc67ELc84EKdS1_dEEvlllT_PT11_llS4_llS2_PT12_llPT13_lli: ; @_ZN12_GLOBAL__N_135rocblas_gemm_batched_general_kernelIdLi16ELi16ELi32ELi32ELi8ELi32ELi8ELi8ELi32ELc67ELc84EKdS1_dEEvlllT_PT11_llS4_llS2_PT12_llPT13_lli
; %bb.0:
	s_clause 0x1
	s_load_dwordx16 s[12:27], s[4:5], 0x0
	s_load_dwordx16 s[36:51], s[4:5], 0x40
	s_mov_b32 s10, s7
	s_ashr_i32 s7, s6, 31
	s_ashr_i32 s11, s10, 31
	s_lshl_b64 s[6:7], s[6:7], 5
	s_lshl_b64 s[2:3], s[10:11], 5
	s_waitcnt lgkmcnt(0)
	v_cmp_lt_i64_e64 s0, s[16:17], 1
	s_and_b32 vcc_lo, exec_lo, s0
	s_cbranch_vccnz .LBB303_7
; %bb.1:
	v_lshl_add_u32 v8, v1, 4, v0
	v_and_b32_e32 v18, 7, v0
	v_mov_b32_e32 v3, s7
	s_mul_i32 s9, s39, s8
	s_mul_hi_u32 s28, s38, s8
	v_and_b32_e32 v9, 31, v8
	v_mad_u64_u32 v[4:5], null, s36, v18, 0
	v_lshrrev_b32_e32 v10, 3, v8
	s_lshl_b64 s[10:11], s[10:11], 8
	v_or_b32_e32 v2, s6, v9
	v_lshlrev_b32_e32 v11, 3, v18
	v_lshrrev_b32_e32 v19, 5, v8
	v_add_co_u32 v6, s0, v10, s2
	v_add_co_ci_u32_e64 v7, null, 0, s3, s0
	v_cmp_gt_i64_e64 s0, s[12:13], v[2:3]
	v_mov_b32_e32 v2, v5
	v_lshl_or_b32 v10, v10, 6, v11
	v_cmp_gt_i64_e64 s1, s[14:15], v[6:7]
	v_lshlrev_b32_e32 v12, 3, v9
	v_lshlrev_b32_e32 v22, 3, v0
	v_mad_u64_u32 v[2:3], null, s37, v18, v[2:3]
	v_add_co_u32 v3, s29, s6, v9
	v_add_co_ci_u32_e64 v6, null, s7, 0, s29
	s_add_i32 s29, s28, s9
	v_mul_lo_u32 v7, s23, v3
	v_mov_b32_e32 v5, v2
	v_mul_lo_u32 v6, s22, v6
	v_mad_u64_u32 v[2:3], null, s22, v3, 0
	s_mul_i32 s28, s38, s8
	v_lshlrev_b64 v[4:5], 3, v[4:5]
	s_lshl_b64 s[22:23], s[28:29], 3
	v_add_nc_u32_e32 v21, 0x800, v10
	s_add_u32 s9, s10, s22
	s_addc_u32 s10, s11, s23
	v_add3_u32 v3, v3, v6, v7
	v_add_co_u32 v4, vcc_lo, s9, v4
	v_and_b32_e32 v6, 0x1ff8, v8
	v_add_co_ci_u32_e64 v5, null, s10, v5, vcc_lo
	s_mul_i32 s9, s25, s8
	s_mul_hi_u32 s10, s24, s8
	v_lshlrev_b64 v[2:3], 3, v[2:3]
	s_add_i32 s11, s10, s9
	s_mul_i32 s10, s24, s8
	v_add_co_u32 v4, vcc_lo, v4, v6
	s_lshl_b64 s[10:11], s[10:11], 3
	v_add_co_ci_u32_e64 v5, null, 0, v5, vcc_lo
	v_add_co_u32 v2, vcc_lo, v2, s10
	v_lshlrev_b32_e32 v6, 3, v19
	v_add_co_ci_u32_e64 v3, null, s11, v3, vcc_lo
	v_add_co_u32 v10, vcc_lo, s26, v4
	v_lshl_or_b32 v20, v19, 8, v12
	v_add_co_ci_u32_e64 v11, null, s27, v5, vcc_lo
	v_add_co_u32 v12, vcc_lo, v2, v6
	v_add_co_ci_u32_e64 v13, null, 0, v3, vcc_lo
	v_mov_b32_e32 v2, 0
	v_add_co_u32 v12, vcc_lo, s20, v12
	v_mov_b32_e32 v4, 0
	v_mov_b32_e32 v6, 0
	;; [unrolled: 1-line block ×3, first 2 shown]
	v_lshl_add_u32 v23, v1, 6, 0x800
	v_mov_b32_e32 v3, 0
	v_mov_b32_e32 v5, 0
	;; [unrolled: 1-line block ×4, first 2 shown]
	v_add_co_ci_u32_e64 v13, null, s21, v13, vcc_lo
	s_lshl_b64 s[10:11], s[36:37], 6
	s_mov_b64 s[20:21], 0
	s_branch .LBB303_3
.LBB303_2:                              ;   in Loop: Header=BB303_3 Depth=1
	s_or_b32 exec_lo, exec_lo, s9
	s_waitcnt vmcnt(0)
	ds_write_b64 v21, v[16:17]
	s_waitcnt lgkmcnt(0)
	s_barrier
	buffer_gl0_inv
	ds_read_b128 v[14:17], v23
	ds_read2_b64 v[24:27], v22 offset1:16
	ds_read_b128 v[28:31], v23 offset:1024
	ds_read_b128 v[32:35], v23 offset:16
	ds_read2_b64 v[36:39], v22 offset0:32 offset1:48
	ds_read_b128 v[40:43], v23 offset:1040
	s_add_u32 s20, s20, 8
	s_addc_u32 s21, s21, 0
	v_add_co_u32 v10, vcc_lo, v10, s10
	v_cmp_lt_i64_e64 s9, s[20:21], s[16:17]
	v_add_co_ci_u32_e64 v11, null, s11, v11, vcc_lo
	v_add_co_u32 v12, vcc_lo, v12, 64
	v_add_co_ci_u32_e64 v13, null, 0, v13, vcc_lo
	s_and_b32 vcc_lo, exec_lo, s9
	s_waitcnt lgkmcnt(4)
	v_fma_f64 v[8:9], v[24:25], v[14:15], v[8:9]
	v_fma_f64 v[6:7], v[26:27], v[14:15], v[6:7]
	s_waitcnt lgkmcnt(3)
	v_fma_f64 v[14:15], v[24:25], v[28:29], v[4:5]
	v_fma_f64 v[24:25], v[26:27], v[28:29], v[2:3]
	ds_read2_b64 v[2:5], v22 offset0:64 offset1:80
	s_waitcnt lgkmcnt(2)
	v_fma_f64 v[26:27], v[36:37], v[16:17], v[8:9]
	v_fma_f64 v[16:17], v[38:39], v[16:17], v[6:7]
	;; [unrolled: 1-line block ×4, first 2 shown]
	ds_read2_b64 v[6:9], v22 offset0:96 offset1:112
	s_waitcnt lgkmcnt(1)
	v_fma_f64 v[26:27], v[2:3], v[32:33], v[26:27]
	v_fma_f64 v[28:29], v[4:5], v[32:33], v[16:17]
	;; [unrolled: 1-line block ×4, first 2 shown]
	ds_read_b128 v[2:5], v23 offset:32
	ds_read2_b64 v[14:17], v22 offset0:128 offset1:144
	s_waitcnt lgkmcnt(2)
	v_fma_f64 v[36:37], v[6:7], v[34:35], v[26:27]
	v_fma_f64 v[38:39], v[8:9], v[34:35], v[28:29]
	;; [unrolled: 1-line block ×4, first 2 shown]
	ds_read_b128 v[6:9], v23 offset:1056
	ds_read_b128 v[24:27], v23 offset:48
	ds_read2_b64 v[28:31], v22 offset0:160 offset1:176
	ds_read_b128 v[32:35], v23 offset:1072
	s_waitcnt lgkmcnt(4)
	v_fma_f64 v[36:37], v[14:15], v[2:3], v[36:37]
	v_fma_f64 v[2:3], v[16:17], v[2:3], v[38:39]
	s_waitcnt lgkmcnt(3)
	v_fma_f64 v[38:39], v[14:15], v[6:7], v[40:41]
	v_fma_f64 v[6:7], v[16:17], v[6:7], v[42:43]
	ds_read2_b64 v[14:17], v22 offset0:192 offset1:208
	s_waitcnt lgkmcnt(2)
	v_fma_f64 v[36:37], v[28:29], v[4:5], v[36:37]
	v_fma_f64 v[2:3], v[30:31], v[4:5], v[2:3]
	v_fma_f64 v[4:5], v[28:29], v[8:9], v[38:39]
	v_fma_f64 v[6:7], v[30:31], v[8:9], v[6:7]
	ds_read2_b64 v[28:31], v22 offset0:224 offset1:240
	s_waitcnt lgkmcnt(0)
	s_barrier
	buffer_gl0_inv
	v_fma_f64 v[8:9], v[14:15], v[24:25], v[36:37]
	v_fma_f64 v[2:3], v[16:17], v[24:25], v[2:3]
	;; [unrolled: 1-line block ×8, first 2 shown]
	s_cbranch_vccz .LBB303_8
.LBB303_3:                              ; =>This Inner Loop Header: Depth=1
	v_add_co_u32 v14, s9, v19, s20
	v_add_co_ci_u32_e64 v15, null, 0, s21, s9
	v_cmp_gt_i64_e32 vcc_lo, s[16:17], v[14:15]
	v_mov_b32_e32 v14, 0
	v_mov_b32_e32 v15, 0
	s_and_b32 s22, s0, vcc_lo
	s_and_saveexec_b32 s9, s22
	s_cbranch_execz .LBB303_5
; %bb.4:                                ;   in Loop: Header=BB303_3 Depth=1
	global_load_dwordx2 v[14:15], v[12:13], off
.LBB303_5:                              ;   in Loop: Header=BB303_3 Depth=1
	s_or_b32 exec_lo, exec_lo, s9
	v_add_co_u32 v16, s9, v18, s20
	v_add_co_ci_u32_e64 v17, null, 0, s21, s9
	s_waitcnt vmcnt(0)
	ds_write_b64 v20, v[14:15]
	v_cmp_gt_i64_e32 vcc_lo, s[16:17], v[16:17]
	v_mov_b32_e32 v16, 0
	v_mov_b32_e32 v17, 0
	s_and_b32 s22, vcc_lo, s1
	s_and_saveexec_b32 s9, s22
	s_cbranch_execz .LBB303_2
; %bb.6:                                ;   in Loop: Header=BB303_3 Depth=1
	global_load_dwordx2 v[16:17], v[10:11], off
	s_branch .LBB303_2
.LBB303_7:
	v_mov_b32_e32 v8, 0
	v_mov_b32_e32 v6, 0
	;; [unrolled: 1-line block ×8, first 2 shown]
.LBB303_8:
	s_load_dwordx2 s[0:1], s[4:5], 0x80
	v_cmp_neq_f64_e64 s9, s[40:41], 0
	v_add_co_u32 v10, s2, s2, v1
	v_add_co_ci_u32_e64 v11, null, s3, 0, s2
	s_waitcnt lgkmcnt(0)
	s_mul_i32 s1, s1, s8
	s_mul_hi_u32 s2, s0, s8
	s_mul_i32 s0, s0, s8
	s_add_i32 s1, s2, s1
	s_lshl_b64 s[4:5], s[0:1], 3
	v_cmp_gt_i64_e64 s0, s[14:15], v[10:11]
	s_add_u32 s3, s48, s4
	s_addc_u32 s4, s49, s5
	s_and_b32 vcc_lo, exec_lo, s9
	s_cbranch_vccnz .LBB303_21
; %bb.9:
	s_and_saveexec_b32 s5, s0
	s_cbranch_execz .LBB303_19
; %bb.10:
	v_mul_lo_u32 v1, v11, s50
	v_mul_lo_u32 v14, v10, s51
	v_mad_u64_u32 v[12:13], null, v10, s50, 0
	v_add3_u32 v13, v13, v14, v1
	v_add_co_u32 v14, s1, s6, v0
	v_add_co_ci_u32_e64 v15, null, s7, 0, s1
	v_lshlrev_b64 v[16:17], 3, v[12:13]
	v_cmp_gt_i64_e32 vcc_lo, s[12:13], v[14:15]
	v_lshlrev_b64 v[12:13], 3, v[14:15]
	v_add_co_u32 v1, s1, s3, v16
	v_add_co_ci_u32_e64 v16, null, s4, v17, s1
	s_and_saveexec_b32 s2, vcc_lo
	s_cbranch_execz .LBB303_12
; %bb.11:
	v_mul_f64 v[17:18], s[18:19], v[8:9]
	v_add_co_u32 v19, s1, v1, v12
	v_add_co_ci_u32_e64 v20, null, v16, v13, s1
	global_store_dwordx2 v[19:20], v[17:18], off
.LBB303_12:
	s_or_b32 exec_lo, exec_lo, s2
	v_add_co_u32 v14, s1, v14, 16
	v_add_co_ci_u32_e64 v15, null, 0, v15, s1
	v_cmp_gt_i64_e64 s1, s[12:13], v[14:15]
	s_and_saveexec_b32 s9, s1
	s_cbranch_execz .LBB303_14
; %bb.13:
	v_mul_f64 v[14:15], s[18:19], v[6:7]
	v_add_co_u32 v17, s2, v1, v12
	v_add_co_ci_u32_e64 v18, null, v16, v13, s2
	global_store_dwordx2 v[17:18], v[14:15], off offset:128
.LBB303_14:
	s_or_b32 exec_lo, exec_lo, s9
	v_add_co_u32 v14, s2, v10, 16
	v_add_co_ci_u32_e64 v15, null, 0, v11, s2
	v_cmp_gt_i64_e64 s2, s[14:15], v[14:15]
	s_and_b32 exec_lo, exec_lo, s2
	s_cbranch_execz .LBB303_19
; %bb.15:
	s_lshl_b64 s[10:11], s[50:51], 7
	v_add_co_u32 v1, s2, v1, s10
	v_add_co_ci_u32_e64 v14, null, s11, v16, s2
	v_add_co_u32 v12, s2, v1, v12
	v_add_co_ci_u32_e64 v13, null, v14, v13, s2
	s_and_saveexec_b32 s2, vcc_lo
	s_cbranch_execz .LBB303_17
; %bb.16:
	v_mul_f64 v[14:15], s[18:19], v[4:5]
	global_store_dwordx2 v[12:13], v[14:15], off
.LBB303_17:
	s_or_b32 exec_lo, exec_lo, s2
	s_and_b32 exec_lo, exec_lo, s1
	s_cbranch_execz .LBB303_19
; %bb.18:
	v_mul_f64 v[14:15], s[18:19], v[2:3]
	global_store_dwordx2 v[12:13], v[14:15], off offset:128
.LBB303_19:
	s_or_b32 exec_lo, exec_lo, s5
	s_cbranch_execz .LBB303_22
.LBB303_20:
	s_endpgm
.LBB303_21:
.LBB303_22:
	s_and_saveexec_b32 s1, s0
	s_cbranch_execz .LBB303_20
; %bb.23:
	v_mul_lo_u32 v1, v11, s44
	v_mul_lo_u32 v12, v10, s45
	v_mad_u64_u32 v[14:15], null, v10, s44, 0
	v_mul_lo_u32 v18, v11, s50
	v_mul_lo_u32 v19, v10, s51
	v_mad_u64_u32 v[16:17], null, v10, s50, 0
	s_mul_i32 s0, s47, s8
	s_mul_hi_u32 s1, s46, s8
	v_add3_u32 v15, v15, v12, v1
	s_add_i32 s1, s1, s0
	s_mul_i32 s0, s46, s8
	v_add_co_u32 v12, s2, s6, v0
	v_add3_u32 v17, v17, v19, v18
	v_lshlrev_b64 v[0:1], 3, v[14:15]
	s_lshl_b64 s[0:1], s[0:1], 3
	v_add_co_ci_u32_e64 v13, null, s7, 0, s2
	v_lshlrev_b64 v[16:17], 3, v[16:17]
	s_add_u32 s0, s42, s0
	s_addc_u32 s1, s43, s1
	v_add_co_u32 v14, s0, s0, v0
	v_add_co_ci_u32_e64 v15, null, s1, v1, s0
	v_add_co_u32 v16, s0, s3, v16
	v_cmp_gt_i64_e32 vcc_lo, s[12:13], v[12:13]
	v_lshlrev_b64 v[0:1], 3, v[12:13]
	v_add_co_ci_u32_e64 v17, null, s4, v17, s0
	s_and_saveexec_b32 s1, vcc_lo
	s_cbranch_execz .LBB303_25
; %bb.24:
	v_add_co_u32 v18, s0, v14, v0
	v_add_co_ci_u32_e64 v19, null, v15, v1, s0
	global_load_dwordx2 v[18:19], v[18:19], off
	s_waitcnt vmcnt(0)
	v_mul_f64 v[18:19], s[40:41], v[18:19]
	v_fma_f64 v[8:9], s[18:19], v[8:9], v[18:19]
	v_add_co_u32 v18, s0, v16, v0
	v_add_co_ci_u32_e64 v19, null, v17, v1, s0
	global_store_dwordx2 v[18:19], v[8:9], off
.LBB303_25:
	s_or_b32 exec_lo, exec_lo, s1
	v_add_co_u32 v8, s0, v12, 16
	v_add_co_ci_u32_e64 v9, null, 0, v13, s0
	v_cmp_gt_i64_e64 s0, s[12:13], v[8:9]
	s_and_saveexec_b32 s2, s0
	s_cbranch_execz .LBB303_27
; %bb.26:
	v_add_co_u32 v8, s1, v14, v0
	v_add_co_ci_u32_e64 v9, null, v15, v1, s1
	global_load_dwordx2 v[8:9], v[8:9], off offset:128
	s_waitcnt vmcnt(0)
	v_mul_f64 v[8:9], s[40:41], v[8:9]
	v_fma_f64 v[6:7], s[18:19], v[6:7], v[8:9]
	v_add_co_u32 v8, s1, v16, v0
	v_add_co_ci_u32_e64 v9, null, v17, v1, s1
	global_store_dwordx2 v[8:9], v[6:7], off offset:128
.LBB303_27:
	s_or_b32 exec_lo, exec_lo, s2
	v_add_co_u32 v6, s1, v10, 16
	v_add_co_ci_u32_e64 v7, null, 0, v11, s1
	v_cmp_gt_i64_e64 s1, s[14:15], v[6:7]
	s_and_b32 exec_lo, exec_lo, s1
	s_cbranch_execz .LBB303_20
; %bb.28:
	s_lshl_b64 s[2:3], s[44:45], 7
	v_add_co_u32 v6, s1, v14, s2
	v_add_co_ci_u32_e64 v7, null, s3, v15, s1
	s_lshl_b64 s[2:3], s[50:51], 7
	v_add_co_u32 v8, s1, v16, s2
	v_add_co_ci_u32_e64 v9, null, s3, v17, s1
	v_add_co_u32 v6, s1, v6, v0
	v_add_co_ci_u32_e64 v7, null, v7, v1, s1
	;; [unrolled: 2-line block ×3, first 2 shown]
	s_and_saveexec_b32 s1, vcc_lo
	s_cbranch_execz .LBB303_30
; %bb.29:
	global_load_dwordx2 v[8:9], v[6:7], off
	s_waitcnt vmcnt(0)
	v_mul_f64 v[8:9], s[40:41], v[8:9]
	v_fma_f64 v[4:5], s[18:19], v[4:5], v[8:9]
	global_store_dwordx2 v[0:1], v[4:5], off
.LBB303_30:
	s_or_b32 exec_lo, exec_lo, s1
	s_and_b32 exec_lo, exec_lo, s0
	s_cbranch_execz .LBB303_20
; %bb.31:
	global_load_dwordx2 v[4:5], v[6:7], off offset:128
	s_waitcnt vmcnt(0)
	v_mul_f64 v[4:5], s[40:41], v[4:5]
	v_fma_f64 v[2:3], s[18:19], v[2:3], v[4:5]
	global_store_dwordx2 v[0:1], v[2:3], off offset:128
	s_endpgm
	.section	.rodata,"a",@progbits
	.p2align	6, 0x0
	.amdhsa_kernel _ZN12_GLOBAL__N_135rocblas_gemm_batched_general_kernelIdLi16ELi16ELi32ELi32ELi8ELi32ELi8ELi8ELi32ELc67ELc84EKdS1_dEEvlllT_PT11_llS4_llS2_PT12_llPT13_lli
		.amdhsa_group_segment_fixed_size 4096
		.amdhsa_private_segment_fixed_size 0
		.amdhsa_kernarg_size 140
		.amdhsa_user_sgpr_count 6
		.amdhsa_user_sgpr_private_segment_buffer 1
		.amdhsa_user_sgpr_dispatch_ptr 0
		.amdhsa_user_sgpr_queue_ptr 0
		.amdhsa_user_sgpr_kernarg_segment_ptr 1
		.amdhsa_user_sgpr_dispatch_id 0
		.amdhsa_user_sgpr_flat_scratch_init 0
		.amdhsa_user_sgpr_private_segment_size 0
		.amdhsa_wavefront_size32 1
		.amdhsa_uses_dynamic_stack 0
		.amdhsa_system_sgpr_private_segment_wavefront_offset 0
		.amdhsa_system_sgpr_workgroup_id_x 1
		.amdhsa_system_sgpr_workgroup_id_y 1
		.amdhsa_system_sgpr_workgroup_id_z 1
		.amdhsa_system_sgpr_workgroup_info 0
		.amdhsa_system_vgpr_workitem_id 1
		.amdhsa_next_free_vgpr 44
		.amdhsa_next_free_sgpr 52
		.amdhsa_reserve_vcc 1
		.amdhsa_reserve_flat_scratch 0
		.amdhsa_float_round_mode_32 0
		.amdhsa_float_round_mode_16_64 0
		.amdhsa_float_denorm_mode_32 3
		.amdhsa_float_denorm_mode_16_64 3
		.amdhsa_dx10_clamp 1
		.amdhsa_ieee_mode 1
		.amdhsa_fp16_overflow 0
		.amdhsa_workgroup_processor_mode 1
		.amdhsa_memory_ordered 1
		.amdhsa_forward_progress 1
		.amdhsa_shared_vgpr_count 0
		.amdhsa_exception_fp_ieee_invalid_op 0
		.amdhsa_exception_fp_denorm_src 0
		.amdhsa_exception_fp_ieee_div_zero 0
		.amdhsa_exception_fp_ieee_overflow 0
		.amdhsa_exception_fp_ieee_underflow 0
		.amdhsa_exception_fp_ieee_inexact 0
		.amdhsa_exception_int_div_zero 0
	.end_amdhsa_kernel
	.section	.text._ZN12_GLOBAL__N_135rocblas_gemm_batched_general_kernelIdLi16ELi16ELi32ELi32ELi8ELi32ELi8ELi8ELi32ELc67ELc84EKdS1_dEEvlllT_PT11_llS4_llS2_PT12_llPT13_lli,"axG",@progbits,_ZN12_GLOBAL__N_135rocblas_gemm_batched_general_kernelIdLi16ELi16ELi32ELi32ELi8ELi32ELi8ELi8ELi32ELc67ELc84EKdS1_dEEvlllT_PT11_llS4_llS2_PT12_llPT13_lli,comdat
.Lfunc_end303:
	.size	_ZN12_GLOBAL__N_135rocblas_gemm_batched_general_kernelIdLi16ELi16ELi32ELi32ELi8ELi32ELi8ELi8ELi32ELc67ELc84EKdS1_dEEvlllT_PT11_llS4_llS2_PT12_llPT13_lli, .Lfunc_end303-_ZN12_GLOBAL__N_135rocblas_gemm_batched_general_kernelIdLi16ELi16ELi32ELi32ELi8ELi32ELi8ELi8ELi32ELc67ELc84EKdS1_dEEvlllT_PT11_llS4_llS2_PT12_llPT13_lli
                                        ; -- End function
	.set _ZN12_GLOBAL__N_135rocblas_gemm_batched_general_kernelIdLi16ELi16ELi32ELi32ELi8ELi32ELi8ELi8ELi32ELc67ELc84EKdS1_dEEvlllT_PT11_llS4_llS2_PT12_llPT13_lli.num_vgpr, 44
	.set _ZN12_GLOBAL__N_135rocblas_gemm_batched_general_kernelIdLi16ELi16ELi32ELi32ELi8ELi32ELi8ELi8ELi32ELc67ELc84EKdS1_dEEvlllT_PT11_llS4_llS2_PT12_llPT13_lli.num_agpr, 0
	.set _ZN12_GLOBAL__N_135rocblas_gemm_batched_general_kernelIdLi16ELi16ELi32ELi32ELi8ELi32ELi8ELi8ELi32ELc67ELc84EKdS1_dEEvlllT_PT11_llS4_llS2_PT12_llPT13_lli.numbered_sgpr, 52
	.set _ZN12_GLOBAL__N_135rocblas_gemm_batched_general_kernelIdLi16ELi16ELi32ELi32ELi8ELi32ELi8ELi8ELi32ELc67ELc84EKdS1_dEEvlllT_PT11_llS4_llS2_PT12_llPT13_lli.num_named_barrier, 0
	.set _ZN12_GLOBAL__N_135rocblas_gemm_batched_general_kernelIdLi16ELi16ELi32ELi32ELi8ELi32ELi8ELi8ELi32ELc67ELc84EKdS1_dEEvlllT_PT11_llS4_llS2_PT12_llPT13_lli.private_seg_size, 0
	.set _ZN12_GLOBAL__N_135rocblas_gemm_batched_general_kernelIdLi16ELi16ELi32ELi32ELi8ELi32ELi8ELi8ELi32ELc67ELc84EKdS1_dEEvlllT_PT11_llS4_llS2_PT12_llPT13_lli.uses_vcc, 1
	.set _ZN12_GLOBAL__N_135rocblas_gemm_batched_general_kernelIdLi16ELi16ELi32ELi32ELi8ELi32ELi8ELi8ELi32ELc67ELc84EKdS1_dEEvlllT_PT11_llS4_llS2_PT12_llPT13_lli.uses_flat_scratch, 0
	.set _ZN12_GLOBAL__N_135rocblas_gemm_batched_general_kernelIdLi16ELi16ELi32ELi32ELi8ELi32ELi8ELi8ELi32ELc67ELc84EKdS1_dEEvlllT_PT11_llS4_llS2_PT12_llPT13_lli.has_dyn_sized_stack, 0
	.set _ZN12_GLOBAL__N_135rocblas_gemm_batched_general_kernelIdLi16ELi16ELi32ELi32ELi8ELi32ELi8ELi8ELi32ELc67ELc84EKdS1_dEEvlllT_PT11_llS4_llS2_PT12_llPT13_lli.has_recursion, 0
	.set _ZN12_GLOBAL__N_135rocblas_gemm_batched_general_kernelIdLi16ELi16ELi32ELi32ELi8ELi32ELi8ELi8ELi32ELc67ELc84EKdS1_dEEvlllT_PT11_llS4_llS2_PT12_llPT13_lli.has_indirect_call, 0
	.section	.AMDGPU.csdata,"",@progbits
; Kernel info:
; codeLenInByte = 2108
; TotalNumSgprs: 54
; NumVgprs: 44
; ScratchSize: 0
; MemoryBound: 0
; FloatMode: 240
; IeeeMode: 1
; LDSByteSize: 4096 bytes/workgroup (compile time only)
; SGPRBlocks: 0
; VGPRBlocks: 5
; NumSGPRsForWavesPerEU: 54
; NumVGPRsForWavesPerEU: 44
; Occupancy: 16
; WaveLimiterHint : 0
; COMPUTE_PGM_RSRC2:SCRATCH_EN: 0
; COMPUTE_PGM_RSRC2:USER_SGPR: 6
; COMPUTE_PGM_RSRC2:TRAP_HANDLER: 0
; COMPUTE_PGM_RSRC2:TGID_X_EN: 1
; COMPUTE_PGM_RSRC2:TGID_Y_EN: 1
; COMPUTE_PGM_RSRC2:TGID_Z_EN: 1
; COMPUTE_PGM_RSRC2:TIDIG_COMP_CNT: 1
	.section	.text._ZN12_GLOBAL__N_135rocblas_gemm_batched_general_kernelIdLi16ELi16ELi32ELi32ELi8ELi32ELi8ELi8ELi32ELc78ELc67EKdS1_dEEvlllT_PT11_llS4_llS2_PT12_llPT13_lli,"axG",@progbits,_ZN12_GLOBAL__N_135rocblas_gemm_batched_general_kernelIdLi16ELi16ELi32ELi32ELi8ELi32ELi8ELi8ELi32ELc78ELc67EKdS1_dEEvlllT_PT11_llS4_llS2_PT12_llPT13_lli,comdat
	.globl	_ZN12_GLOBAL__N_135rocblas_gemm_batched_general_kernelIdLi16ELi16ELi32ELi32ELi8ELi32ELi8ELi8ELi32ELc78ELc67EKdS1_dEEvlllT_PT11_llS4_llS2_PT12_llPT13_lli ; -- Begin function _ZN12_GLOBAL__N_135rocblas_gemm_batched_general_kernelIdLi16ELi16ELi32ELi32ELi8ELi32ELi8ELi8ELi32ELc78ELc67EKdS1_dEEvlllT_PT11_llS4_llS2_PT12_llPT13_lli
	.p2align	8
	.type	_ZN12_GLOBAL__N_135rocblas_gemm_batched_general_kernelIdLi16ELi16ELi32ELi32ELi8ELi32ELi8ELi8ELi32ELc78ELc67EKdS1_dEEvlllT_PT11_llS4_llS2_PT12_llPT13_lli,@function
_ZN12_GLOBAL__N_135rocblas_gemm_batched_general_kernelIdLi16ELi16ELi32ELi32ELi8ELi32ELi8ELi8ELi32ELc78ELc67EKdS1_dEEvlllT_PT11_llS4_llS2_PT12_llPT13_lli: ; @_ZN12_GLOBAL__N_135rocblas_gemm_batched_general_kernelIdLi16ELi16ELi32ELi32ELi8ELi32ELi8ELi8ELi32ELc78ELc67EKdS1_dEEvlllT_PT11_llS4_llS2_PT12_llPT13_lli
; %bb.0:
	s_clause 0x1
	s_load_dwordx16 s[12:27], s[4:5], 0x0
	s_load_dwordx16 s[36:51], s[4:5], 0x40
	s_mov_b32 s28, s7
	s_ashr_i32 s7, s6, 31
	s_ashr_i32 s29, s28, 31
	s_lshl_b64 s[10:11], s[6:7], 5
	s_lshl_b64 s[2:3], s[28:29], 5
	s_waitcnt lgkmcnt(0)
	v_cmp_lt_i64_e64 s0, s[16:17], 1
	s_and_b32 vcc_lo, exec_lo, s0
	s_cbranch_vccnz .LBB304_7
; %bb.1:
	v_lshl_add_u32 v9, v1, 4, v0
	v_and_b32_e32 v18, 7, v0
	v_mov_b32_e32 v3, s11
	s_mul_i32 s9, s39, s8
	s_mul_hi_u32 s30, s38, s8
	v_and_b32_e32 v6, 31, v9
	v_mad_u64_u32 v[4:5], null, s36, v18, 0
	v_lshrrev_b32_e32 v8, 3, v9
	v_lshlrev_b32_e32 v10, 3, v18
	v_or_b32_e32 v2, s10, v6
	v_lshlrev_b32_e32 v12, 3, v6
	v_lshrrev_b32_e32 v19, 5, v9
	v_add_co_u32 v6, s0, v8, s2
	v_add_co_ci_u32_e64 v7, null, 0, s3, s0
	v_cmp_gt_i64_e64 s0, s[12:13], v[2:3]
	v_mov_b32_e32 v2, v5
	v_lshl_or_b32 v5, v8, 6, v10
	v_cmp_gt_i64_e64 s1, s[14:15], v[6:7]
	v_mad_u64_u32 v[6:7], null, s22, v19, 0
	v_mad_u64_u32 v[2:3], null, s37, v18, v[2:3]
	v_add_nc_u32_e32 v21, 0x800, v5
	s_add_i32 s31, s30, s9
	s_mul_i32 s30, s38, s8
	s_lshl_b64 s[28:29], s[28:29], 8
	s_lshl_b64 s[30:31], s[30:31], 3
	v_lshl_or_b32 v20, v19, 8, v12
	v_mov_b32_e32 v5, v2
	v_mov_b32_e32 v2, v7
	s_add_u32 s9, s28, s30
	s_addc_u32 s28, s29, s31
	v_lshlrev_b32_e32 v22, 3, v0
	v_lshlrev_b64 v[3:4], 3, v[4:5]
	v_lshl_add_u32 v23, v1, 6, 0x800
	v_mad_u64_u32 v[7:8], null, s23, v19, v[2:3]
	v_add_co_u32 v2, vcc_lo, s9, v3
	v_add_co_ci_u32_e64 v3, null, s28, v4, vcc_lo
	v_and_b32_e32 v4, 0x1ff8, v9
	s_mul_i32 s9, s25, s8
	s_mul_hi_u32 s25, s24, s8
	s_mul_i32 s24, s24, s8
	s_add_i32 s25, s25, s9
	v_add_co_u32 v4, vcc_lo, v2, v4
	v_add_co_ci_u32_e64 v5, null, 0, v3, vcc_lo
	v_lshlrev_b64 v[2:3], 3, v[6:7]
	s_lshl_b64 s[24:25], s[24:25], 3
	s_lshl_b64 s[28:29], s[6:7], 8
	;; [unrolled: 1-line block ×3, first 2 shown]
	s_add_u32 s9, s28, s24
	s_addc_u32 s24, s29, s25
	v_add_co_u32 v2, vcc_lo, s9, v2
	v_add_co_ci_u32_e64 v3, null, s24, v3, vcc_lo
	v_add_co_u32 v10, vcc_lo, s26, v4
	v_add_co_ci_u32_e64 v11, null, s27, v5, vcc_lo
	;; [unrolled: 2-line block ×3, first 2 shown]
	v_mov_b32_e32 v2, 0
	v_add_co_u32 v12, vcc_lo, s20, v12
	v_mov_b32_e32 v4, 0
	v_mov_b32_e32 v6, 0
	;; [unrolled: 1-line block ×7, first 2 shown]
	v_add_co_ci_u32_e64 v13, null, s21, v13, vcc_lo
	s_lshl_b64 s[20:21], s[22:23], 6
	s_mov_b64 s[22:23], 0
	s_branch .LBB304_3
.LBB304_2:                              ;   in Loop: Header=BB304_3 Depth=1
	s_or_b32 exec_lo, exec_lo, s9
	s_waitcnt vmcnt(0)
	ds_write_b64 v21, v[16:17]
	s_waitcnt lgkmcnt(0)
	s_barrier
	buffer_gl0_inv
	ds_read_b128 v[14:17], v23
	ds_read2_b64 v[24:27], v22 offset1:16
	ds_read_b128 v[28:31], v23 offset:1024
	ds_read_b128 v[32:35], v23 offset:16
	ds_read2_b64 v[36:39], v22 offset0:32 offset1:48
	ds_read_b128 v[40:43], v23 offset:1040
	s_add_u32 s22, s22, 8
	s_addc_u32 s23, s23, 0
	v_add_co_u32 v10, vcc_lo, v10, s6
	v_cmp_lt_i64_e64 s9, s[22:23], s[16:17]
	v_add_co_ci_u32_e64 v11, null, s7, v11, vcc_lo
	v_add_co_u32 v12, vcc_lo, v12, s20
	v_add_co_ci_u32_e64 v13, null, s21, v13, vcc_lo
	s_and_b32 vcc_lo, exec_lo, s9
	s_waitcnt lgkmcnt(4)
	v_fma_f64 v[8:9], v[24:25], v[14:15], v[8:9]
	v_fma_f64 v[6:7], v[26:27], v[14:15], v[6:7]
	s_waitcnt lgkmcnt(3)
	v_fma_f64 v[14:15], v[24:25], v[28:29], v[4:5]
	v_fma_f64 v[24:25], v[26:27], v[28:29], v[2:3]
	ds_read2_b64 v[2:5], v22 offset0:64 offset1:80
	s_waitcnt lgkmcnt(2)
	v_fma_f64 v[26:27], v[36:37], v[16:17], v[8:9]
	v_fma_f64 v[16:17], v[38:39], v[16:17], v[6:7]
	;; [unrolled: 1-line block ×4, first 2 shown]
	ds_read2_b64 v[6:9], v22 offset0:96 offset1:112
	s_waitcnt lgkmcnt(1)
	v_fma_f64 v[26:27], v[2:3], v[32:33], v[26:27]
	v_fma_f64 v[28:29], v[4:5], v[32:33], v[16:17]
	;; [unrolled: 1-line block ×4, first 2 shown]
	ds_read_b128 v[2:5], v23 offset:32
	ds_read2_b64 v[14:17], v22 offset0:128 offset1:144
	s_waitcnt lgkmcnt(2)
	v_fma_f64 v[36:37], v[6:7], v[34:35], v[26:27]
	v_fma_f64 v[38:39], v[8:9], v[34:35], v[28:29]
	v_fma_f64 v[40:41], v[6:7], v[42:43], v[30:31]
	v_fma_f64 v[42:43], v[8:9], v[42:43], v[24:25]
	ds_read_b128 v[6:9], v23 offset:1056
	ds_read_b128 v[24:27], v23 offset:48
	ds_read2_b64 v[28:31], v22 offset0:160 offset1:176
	ds_read_b128 v[32:35], v23 offset:1072
	s_waitcnt lgkmcnt(4)
	v_fma_f64 v[36:37], v[14:15], v[2:3], v[36:37]
	v_fma_f64 v[2:3], v[16:17], v[2:3], v[38:39]
	s_waitcnt lgkmcnt(3)
	v_fma_f64 v[38:39], v[14:15], v[6:7], v[40:41]
	v_fma_f64 v[6:7], v[16:17], v[6:7], v[42:43]
	ds_read2_b64 v[14:17], v22 offset0:192 offset1:208
	s_waitcnt lgkmcnt(2)
	v_fma_f64 v[36:37], v[28:29], v[4:5], v[36:37]
	v_fma_f64 v[2:3], v[30:31], v[4:5], v[2:3]
	;; [unrolled: 1-line block ×4, first 2 shown]
	ds_read2_b64 v[28:31], v22 offset0:224 offset1:240
	s_waitcnt lgkmcnt(0)
	s_barrier
	buffer_gl0_inv
	v_fma_f64 v[8:9], v[14:15], v[24:25], v[36:37]
	v_fma_f64 v[2:3], v[16:17], v[24:25], v[2:3]
	v_fma_f64 v[4:5], v[14:15], v[32:33], v[4:5]
	v_fma_f64 v[14:15], v[16:17], v[32:33], v[6:7]
	v_fma_f64 v[8:9], v[28:29], v[26:27], v[8:9]
	v_fma_f64 v[6:7], v[30:31], v[26:27], v[2:3]
	v_fma_f64 v[4:5], v[28:29], v[34:35], v[4:5]
	v_fma_f64 v[2:3], v[30:31], v[34:35], v[14:15]
	s_cbranch_vccz .LBB304_8
.LBB304_3:                              ; =>This Inner Loop Header: Depth=1
	v_add_co_u32 v14, s9, v19, s22
	v_add_co_ci_u32_e64 v15, null, 0, s23, s9
	v_cmp_gt_i64_e32 vcc_lo, s[16:17], v[14:15]
	v_mov_b32_e32 v14, 0
	v_mov_b32_e32 v15, 0
	s_and_b32 s24, s0, vcc_lo
	s_and_saveexec_b32 s9, s24
	s_cbranch_execz .LBB304_5
; %bb.4:                                ;   in Loop: Header=BB304_3 Depth=1
	global_load_dwordx2 v[14:15], v[12:13], off
.LBB304_5:                              ;   in Loop: Header=BB304_3 Depth=1
	s_or_b32 exec_lo, exec_lo, s9
	v_add_co_u32 v16, s9, v18, s22
	v_add_co_ci_u32_e64 v17, null, 0, s23, s9
	s_waitcnt vmcnt(0)
	ds_write_b64 v20, v[14:15]
	v_cmp_gt_i64_e32 vcc_lo, s[16:17], v[16:17]
	v_mov_b32_e32 v16, 0
	v_mov_b32_e32 v17, 0
	s_and_b32 s24, vcc_lo, s1
	s_and_saveexec_b32 s9, s24
	s_cbranch_execz .LBB304_2
; %bb.6:                                ;   in Loop: Header=BB304_3 Depth=1
	global_load_dwordx2 v[16:17], v[10:11], off
	s_branch .LBB304_2
.LBB304_7:
	v_mov_b32_e32 v8, 0
	v_mov_b32_e32 v6, 0
	;; [unrolled: 1-line block ×8, first 2 shown]
.LBB304_8:
	s_load_dwordx2 s[0:1], s[4:5], 0x80
	v_cmp_neq_f64_e64 s6, s[40:41], 0
	v_add_co_u32 v10, s2, s2, v1
	v_add_co_ci_u32_e64 v11, null, s3, 0, s2
	s_waitcnt lgkmcnt(0)
	s_mul_i32 s1, s1, s8
	s_mul_hi_u32 s2, s0, s8
	s_mul_i32 s0, s0, s8
	s_add_i32 s1, s2, s1
	s_lshl_b64 s[4:5], s[0:1], 3
	v_cmp_gt_i64_e64 s0, s[14:15], v[10:11]
	s_add_u32 s3, s48, s4
	s_addc_u32 s4, s49, s5
	s_and_b32 vcc_lo, exec_lo, s6
	s_cbranch_vccnz .LBB304_21
; %bb.9:
	s_and_saveexec_b32 s5, s0
	s_cbranch_execz .LBB304_19
; %bb.10:
	v_mul_lo_u32 v1, v11, s50
	v_mul_lo_u32 v14, v10, s51
	v_mad_u64_u32 v[12:13], null, v10, s50, 0
	v_add3_u32 v13, v13, v14, v1
	v_add_co_u32 v14, s1, s10, v0
	v_add_co_ci_u32_e64 v15, null, s11, 0, s1
	v_lshlrev_b64 v[16:17], 3, v[12:13]
	v_cmp_gt_i64_e32 vcc_lo, s[12:13], v[14:15]
	v_lshlrev_b64 v[12:13], 3, v[14:15]
	v_add_co_u32 v1, s1, s3, v16
	v_add_co_ci_u32_e64 v16, null, s4, v17, s1
	s_and_saveexec_b32 s2, vcc_lo
	s_cbranch_execz .LBB304_12
; %bb.11:
	v_mul_f64 v[17:18], s[18:19], v[8:9]
	v_add_co_u32 v19, s1, v1, v12
	v_add_co_ci_u32_e64 v20, null, v16, v13, s1
	global_store_dwordx2 v[19:20], v[17:18], off
.LBB304_12:
	s_or_b32 exec_lo, exec_lo, s2
	v_add_co_u32 v14, s1, v14, 16
	v_add_co_ci_u32_e64 v15, null, 0, v15, s1
	v_cmp_gt_i64_e64 s1, s[12:13], v[14:15]
	s_and_saveexec_b32 s6, s1
	s_cbranch_execz .LBB304_14
; %bb.13:
	v_mul_f64 v[14:15], s[18:19], v[6:7]
	v_add_co_u32 v17, s2, v1, v12
	v_add_co_ci_u32_e64 v18, null, v16, v13, s2
	global_store_dwordx2 v[17:18], v[14:15], off offset:128
.LBB304_14:
	s_or_b32 exec_lo, exec_lo, s6
	v_add_co_u32 v14, s2, v10, 16
	v_add_co_ci_u32_e64 v15, null, 0, v11, s2
	v_cmp_gt_i64_e64 s2, s[14:15], v[14:15]
	s_and_b32 exec_lo, exec_lo, s2
	s_cbranch_execz .LBB304_19
; %bb.15:
	s_lshl_b64 s[6:7], s[50:51], 7
	v_add_co_u32 v1, s2, v1, s6
	v_add_co_ci_u32_e64 v14, null, s7, v16, s2
	v_add_co_u32 v12, s2, v1, v12
	v_add_co_ci_u32_e64 v13, null, v14, v13, s2
	s_and_saveexec_b32 s2, vcc_lo
	s_cbranch_execz .LBB304_17
; %bb.16:
	v_mul_f64 v[14:15], s[18:19], v[4:5]
	global_store_dwordx2 v[12:13], v[14:15], off
.LBB304_17:
	s_or_b32 exec_lo, exec_lo, s2
	s_and_b32 exec_lo, exec_lo, s1
	s_cbranch_execz .LBB304_19
; %bb.18:
	v_mul_f64 v[14:15], s[18:19], v[2:3]
	global_store_dwordx2 v[12:13], v[14:15], off offset:128
.LBB304_19:
	s_or_b32 exec_lo, exec_lo, s5
	s_cbranch_execz .LBB304_22
.LBB304_20:
	s_endpgm
.LBB304_21:
.LBB304_22:
	s_and_saveexec_b32 s1, s0
	s_cbranch_execz .LBB304_20
; %bb.23:
	v_mul_lo_u32 v1, v11, s44
	v_mul_lo_u32 v12, v10, s45
	v_mad_u64_u32 v[14:15], null, v10, s44, 0
	v_mul_lo_u32 v18, v11, s50
	v_mul_lo_u32 v19, v10, s51
	v_mad_u64_u32 v[16:17], null, v10, s50, 0
	s_mul_i32 s0, s47, s8
	s_mul_hi_u32 s1, s46, s8
	v_add3_u32 v15, v15, v12, v1
	s_add_i32 s1, s1, s0
	s_mul_i32 s0, s46, s8
	v_add_co_u32 v12, s2, s10, v0
	v_add3_u32 v17, v17, v19, v18
	v_lshlrev_b64 v[0:1], 3, v[14:15]
	s_lshl_b64 s[0:1], s[0:1], 3
	v_add_co_ci_u32_e64 v13, null, s11, 0, s2
	v_lshlrev_b64 v[16:17], 3, v[16:17]
	s_add_u32 s0, s42, s0
	s_addc_u32 s1, s43, s1
	v_add_co_u32 v14, s0, s0, v0
	v_add_co_ci_u32_e64 v15, null, s1, v1, s0
	v_add_co_u32 v16, s0, s3, v16
	v_cmp_gt_i64_e32 vcc_lo, s[12:13], v[12:13]
	v_lshlrev_b64 v[0:1], 3, v[12:13]
	v_add_co_ci_u32_e64 v17, null, s4, v17, s0
	s_and_saveexec_b32 s1, vcc_lo
	s_cbranch_execz .LBB304_25
; %bb.24:
	v_add_co_u32 v18, s0, v14, v0
	v_add_co_ci_u32_e64 v19, null, v15, v1, s0
	global_load_dwordx2 v[18:19], v[18:19], off
	s_waitcnt vmcnt(0)
	v_mul_f64 v[18:19], s[40:41], v[18:19]
	v_fma_f64 v[8:9], s[18:19], v[8:9], v[18:19]
	v_add_co_u32 v18, s0, v16, v0
	v_add_co_ci_u32_e64 v19, null, v17, v1, s0
	global_store_dwordx2 v[18:19], v[8:9], off
.LBB304_25:
	s_or_b32 exec_lo, exec_lo, s1
	v_add_co_u32 v8, s0, v12, 16
	v_add_co_ci_u32_e64 v9, null, 0, v13, s0
	v_cmp_gt_i64_e64 s0, s[12:13], v[8:9]
	s_and_saveexec_b32 s2, s0
	s_cbranch_execz .LBB304_27
; %bb.26:
	v_add_co_u32 v8, s1, v14, v0
	v_add_co_ci_u32_e64 v9, null, v15, v1, s1
	global_load_dwordx2 v[8:9], v[8:9], off offset:128
	s_waitcnt vmcnt(0)
	v_mul_f64 v[8:9], s[40:41], v[8:9]
	v_fma_f64 v[6:7], s[18:19], v[6:7], v[8:9]
	v_add_co_u32 v8, s1, v16, v0
	v_add_co_ci_u32_e64 v9, null, v17, v1, s1
	global_store_dwordx2 v[8:9], v[6:7], off offset:128
.LBB304_27:
	s_or_b32 exec_lo, exec_lo, s2
	v_add_co_u32 v6, s1, v10, 16
	v_add_co_ci_u32_e64 v7, null, 0, v11, s1
	v_cmp_gt_i64_e64 s1, s[14:15], v[6:7]
	s_and_b32 exec_lo, exec_lo, s1
	s_cbranch_execz .LBB304_20
; %bb.28:
	s_lshl_b64 s[2:3], s[44:45], 7
	v_add_co_u32 v6, s1, v14, s2
	v_add_co_ci_u32_e64 v7, null, s3, v15, s1
	s_lshl_b64 s[2:3], s[50:51], 7
	v_add_co_u32 v8, s1, v16, s2
	v_add_co_ci_u32_e64 v9, null, s3, v17, s1
	v_add_co_u32 v6, s1, v6, v0
	v_add_co_ci_u32_e64 v7, null, v7, v1, s1
	;; [unrolled: 2-line block ×3, first 2 shown]
	s_and_saveexec_b32 s1, vcc_lo
	s_cbranch_execz .LBB304_30
; %bb.29:
	global_load_dwordx2 v[8:9], v[6:7], off
	s_waitcnt vmcnt(0)
	v_mul_f64 v[8:9], s[40:41], v[8:9]
	v_fma_f64 v[4:5], s[18:19], v[4:5], v[8:9]
	global_store_dwordx2 v[0:1], v[4:5], off
.LBB304_30:
	s_or_b32 exec_lo, exec_lo, s1
	s_and_b32 exec_lo, exec_lo, s0
	s_cbranch_execz .LBB304_20
; %bb.31:
	global_load_dwordx2 v[4:5], v[6:7], off offset:128
	s_waitcnt vmcnt(0)
	v_mul_f64 v[4:5], s[40:41], v[4:5]
	v_fma_f64 v[2:3], s[18:19], v[2:3], v[4:5]
	global_store_dwordx2 v[0:1], v[2:3], off offset:128
	s_endpgm
	.section	.rodata,"a",@progbits
	.p2align	6, 0x0
	.amdhsa_kernel _ZN12_GLOBAL__N_135rocblas_gemm_batched_general_kernelIdLi16ELi16ELi32ELi32ELi8ELi32ELi8ELi8ELi32ELc78ELc67EKdS1_dEEvlllT_PT11_llS4_llS2_PT12_llPT13_lli
		.amdhsa_group_segment_fixed_size 4096
		.amdhsa_private_segment_fixed_size 0
		.amdhsa_kernarg_size 140
		.amdhsa_user_sgpr_count 6
		.amdhsa_user_sgpr_private_segment_buffer 1
		.amdhsa_user_sgpr_dispatch_ptr 0
		.amdhsa_user_sgpr_queue_ptr 0
		.amdhsa_user_sgpr_kernarg_segment_ptr 1
		.amdhsa_user_sgpr_dispatch_id 0
		.amdhsa_user_sgpr_flat_scratch_init 0
		.amdhsa_user_sgpr_private_segment_size 0
		.amdhsa_wavefront_size32 1
		.amdhsa_uses_dynamic_stack 0
		.amdhsa_system_sgpr_private_segment_wavefront_offset 0
		.amdhsa_system_sgpr_workgroup_id_x 1
		.amdhsa_system_sgpr_workgroup_id_y 1
		.amdhsa_system_sgpr_workgroup_id_z 1
		.amdhsa_system_sgpr_workgroup_info 0
		.amdhsa_system_vgpr_workitem_id 1
		.amdhsa_next_free_vgpr 44
		.amdhsa_next_free_sgpr 52
		.amdhsa_reserve_vcc 1
		.amdhsa_reserve_flat_scratch 0
		.amdhsa_float_round_mode_32 0
		.amdhsa_float_round_mode_16_64 0
		.amdhsa_float_denorm_mode_32 3
		.amdhsa_float_denorm_mode_16_64 3
		.amdhsa_dx10_clamp 1
		.amdhsa_ieee_mode 1
		.amdhsa_fp16_overflow 0
		.amdhsa_workgroup_processor_mode 1
		.amdhsa_memory_ordered 1
		.amdhsa_forward_progress 1
		.amdhsa_shared_vgpr_count 0
		.amdhsa_exception_fp_ieee_invalid_op 0
		.amdhsa_exception_fp_denorm_src 0
		.amdhsa_exception_fp_ieee_div_zero 0
		.amdhsa_exception_fp_ieee_overflow 0
		.amdhsa_exception_fp_ieee_underflow 0
		.amdhsa_exception_fp_ieee_inexact 0
		.amdhsa_exception_int_div_zero 0
	.end_amdhsa_kernel
	.section	.text._ZN12_GLOBAL__N_135rocblas_gemm_batched_general_kernelIdLi16ELi16ELi32ELi32ELi8ELi32ELi8ELi8ELi32ELc78ELc67EKdS1_dEEvlllT_PT11_llS4_llS2_PT12_llPT13_lli,"axG",@progbits,_ZN12_GLOBAL__N_135rocblas_gemm_batched_general_kernelIdLi16ELi16ELi32ELi32ELi8ELi32ELi8ELi8ELi32ELc78ELc67EKdS1_dEEvlllT_PT11_llS4_llS2_PT12_llPT13_lli,comdat
.Lfunc_end304:
	.size	_ZN12_GLOBAL__N_135rocblas_gemm_batched_general_kernelIdLi16ELi16ELi32ELi32ELi8ELi32ELi8ELi8ELi32ELc78ELc67EKdS1_dEEvlllT_PT11_llS4_llS2_PT12_llPT13_lli, .Lfunc_end304-_ZN12_GLOBAL__N_135rocblas_gemm_batched_general_kernelIdLi16ELi16ELi32ELi32ELi8ELi32ELi8ELi8ELi32ELc78ELc67EKdS1_dEEvlllT_PT11_llS4_llS2_PT12_llPT13_lli
                                        ; -- End function
	.set _ZN12_GLOBAL__N_135rocblas_gemm_batched_general_kernelIdLi16ELi16ELi32ELi32ELi8ELi32ELi8ELi8ELi32ELc78ELc67EKdS1_dEEvlllT_PT11_llS4_llS2_PT12_llPT13_lli.num_vgpr, 44
	.set _ZN12_GLOBAL__N_135rocblas_gemm_batched_general_kernelIdLi16ELi16ELi32ELi32ELi8ELi32ELi8ELi8ELi32ELc78ELc67EKdS1_dEEvlllT_PT11_llS4_llS2_PT12_llPT13_lli.num_agpr, 0
	.set _ZN12_GLOBAL__N_135rocblas_gemm_batched_general_kernelIdLi16ELi16ELi32ELi32ELi8ELi32ELi8ELi8ELi32ELc78ELc67EKdS1_dEEvlllT_PT11_llS4_llS2_PT12_llPT13_lli.numbered_sgpr, 52
	.set _ZN12_GLOBAL__N_135rocblas_gemm_batched_general_kernelIdLi16ELi16ELi32ELi32ELi8ELi32ELi8ELi8ELi32ELc78ELc67EKdS1_dEEvlllT_PT11_llS4_llS2_PT12_llPT13_lli.num_named_barrier, 0
	.set _ZN12_GLOBAL__N_135rocblas_gemm_batched_general_kernelIdLi16ELi16ELi32ELi32ELi8ELi32ELi8ELi8ELi32ELc78ELc67EKdS1_dEEvlllT_PT11_llS4_llS2_PT12_llPT13_lli.private_seg_size, 0
	.set _ZN12_GLOBAL__N_135rocblas_gemm_batched_general_kernelIdLi16ELi16ELi32ELi32ELi8ELi32ELi8ELi8ELi32ELc78ELc67EKdS1_dEEvlllT_PT11_llS4_llS2_PT12_llPT13_lli.uses_vcc, 1
	.set _ZN12_GLOBAL__N_135rocblas_gemm_batched_general_kernelIdLi16ELi16ELi32ELi32ELi8ELi32ELi8ELi8ELi32ELc78ELc67EKdS1_dEEvlllT_PT11_llS4_llS2_PT12_llPT13_lli.uses_flat_scratch, 0
	.set _ZN12_GLOBAL__N_135rocblas_gemm_batched_general_kernelIdLi16ELi16ELi32ELi32ELi8ELi32ELi8ELi8ELi32ELc78ELc67EKdS1_dEEvlllT_PT11_llS4_llS2_PT12_llPT13_lli.has_dyn_sized_stack, 0
	.set _ZN12_GLOBAL__N_135rocblas_gemm_batched_general_kernelIdLi16ELi16ELi32ELi32ELi8ELi32ELi8ELi8ELi32ELc78ELc67EKdS1_dEEvlllT_PT11_llS4_llS2_PT12_llPT13_lli.has_recursion, 0
	.set _ZN12_GLOBAL__N_135rocblas_gemm_batched_general_kernelIdLi16ELi16ELi32ELi32ELi8ELi32ELi8ELi8ELi32ELc78ELc67EKdS1_dEEvlllT_PT11_llS4_llS2_PT12_llPT13_lli.has_indirect_call, 0
	.section	.AMDGPU.csdata,"",@progbits
; Kernel info:
; codeLenInByte = 2092
; TotalNumSgprs: 54
; NumVgprs: 44
; ScratchSize: 0
; MemoryBound: 0
; FloatMode: 240
; IeeeMode: 1
; LDSByteSize: 4096 bytes/workgroup (compile time only)
; SGPRBlocks: 0
; VGPRBlocks: 5
; NumSGPRsForWavesPerEU: 54
; NumVGPRsForWavesPerEU: 44
; Occupancy: 16
; WaveLimiterHint : 0
; COMPUTE_PGM_RSRC2:SCRATCH_EN: 0
; COMPUTE_PGM_RSRC2:USER_SGPR: 6
; COMPUTE_PGM_RSRC2:TRAP_HANDLER: 0
; COMPUTE_PGM_RSRC2:TGID_X_EN: 1
; COMPUTE_PGM_RSRC2:TGID_Y_EN: 1
; COMPUTE_PGM_RSRC2:TGID_Z_EN: 1
; COMPUTE_PGM_RSRC2:TIDIG_COMP_CNT: 1
	.section	.text._ZN12_GLOBAL__N_135rocblas_gemm_batched_general_kernelIdLi16ELi16ELi32ELi32ELi8ELi32ELi8ELi8ELi32ELc84ELc67EKdS1_dEEvlllT_PT11_llS4_llS2_PT12_llPT13_lli,"axG",@progbits,_ZN12_GLOBAL__N_135rocblas_gemm_batched_general_kernelIdLi16ELi16ELi32ELi32ELi8ELi32ELi8ELi8ELi32ELc84ELc67EKdS1_dEEvlllT_PT11_llS4_llS2_PT12_llPT13_lli,comdat
	.globl	_ZN12_GLOBAL__N_135rocblas_gemm_batched_general_kernelIdLi16ELi16ELi32ELi32ELi8ELi32ELi8ELi8ELi32ELc84ELc67EKdS1_dEEvlllT_PT11_llS4_llS2_PT12_llPT13_lli ; -- Begin function _ZN12_GLOBAL__N_135rocblas_gemm_batched_general_kernelIdLi16ELi16ELi32ELi32ELi8ELi32ELi8ELi8ELi32ELc84ELc67EKdS1_dEEvlllT_PT11_llS4_llS2_PT12_llPT13_lli
	.p2align	8
	.type	_ZN12_GLOBAL__N_135rocblas_gemm_batched_general_kernelIdLi16ELi16ELi32ELi32ELi8ELi32ELi8ELi8ELi32ELc84ELc67EKdS1_dEEvlllT_PT11_llS4_llS2_PT12_llPT13_lli,@function
_ZN12_GLOBAL__N_135rocblas_gemm_batched_general_kernelIdLi16ELi16ELi32ELi32ELi8ELi32ELi8ELi8ELi32ELc84ELc67EKdS1_dEEvlllT_PT11_llS4_llS2_PT12_llPT13_lli: ; @_ZN12_GLOBAL__N_135rocblas_gemm_batched_general_kernelIdLi16ELi16ELi32ELi32ELi8ELi32ELi8ELi8ELi32ELc84ELc67EKdS1_dEEvlllT_PT11_llS4_llS2_PT12_llPT13_lli
; %bb.0:
	s_clause 0x1
	s_load_dwordx16 s[12:27], s[4:5], 0x0
	s_load_dwordx16 s[36:51], s[4:5], 0x40
	s_mov_b32 s10, s7
	s_ashr_i32 s7, s6, 31
	s_ashr_i32 s11, s10, 31
	s_lshl_b64 s[6:7], s[6:7], 5
	s_lshl_b64 s[2:3], s[10:11], 5
	s_waitcnt lgkmcnt(0)
	v_cmp_lt_i64_e64 s0, s[16:17], 1
	s_and_b32 vcc_lo, exec_lo, s0
	s_cbranch_vccnz .LBB305_7
; %bb.1:
	v_lshl_add_u32 v8, v1, 4, v0
	v_and_b32_e32 v18, 7, v0
	v_mov_b32_e32 v3, s7
	s_mul_i32 s9, s39, s8
	s_mul_hi_u32 s28, s38, s8
	v_and_b32_e32 v9, 31, v8
	v_mad_u64_u32 v[4:5], null, s36, v18, 0
	v_lshrrev_b32_e32 v10, 3, v8
	s_lshl_b64 s[10:11], s[10:11], 8
	v_or_b32_e32 v2, s6, v9
	v_lshlrev_b32_e32 v11, 3, v18
	v_lshrrev_b32_e32 v19, 5, v8
	v_add_co_u32 v6, s0, v10, s2
	v_add_co_ci_u32_e64 v7, null, 0, s3, s0
	v_cmp_gt_i64_e64 s0, s[12:13], v[2:3]
	v_mov_b32_e32 v2, v5
	v_lshl_or_b32 v10, v10, 6, v11
	v_cmp_gt_i64_e64 s1, s[14:15], v[6:7]
	v_lshlrev_b32_e32 v12, 3, v9
	v_lshlrev_b32_e32 v22, 3, v0
	v_mad_u64_u32 v[2:3], null, s37, v18, v[2:3]
	v_add_co_u32 v3, s29, s6, v9
	v_add_co_ci_u32_e64 v6, null, s7, 0, s29
	s_add_i32 s29, s28, s9
	v_mul_lo_u32 v7, s23, v3
	v_mov_b32_e32 v5, v2
	v_mul_lo_u32 v6, s22, v6
	v_mad_u64_u32 v[2:3], null, s22, v3, 0
	s_mul_i32 s28, s38, s8
	v_lshlrev_b64 v[4:5], 3, v[4:5]
	s_lshl_b64 s[22:23], s[28:29], 3
	v_add_nc_u32_e32 v21, 0x800, v10
	s_add_u32 s9, s10, s22
	s_addc_u32 s10, s11, s23
	v_add3_u32 v3, v3, v6, v7
	v_add_co_u32 v4, vcc_lo, s9, v4
	v_and_b32_e32 v6, 0x1ff8, v8
	v_add_co_ci_u32_e64 v5, null, s10, v5, vcc_lo
	s_mul_i32 s9, s25, s8
	s_mul_hi_u32 s10, s24, s8
	v_lshlrev_b64 v[2:3], 3, v[2:3]
	s_add_i32 s11, s10, s9
	s_mul_i32 s10, s24, s8
	v_add_co_u32 v4, vcc_lo, v4, v6
	s_lshl_b64 s[10:11], s[10:11], 3
	v_add_co_ci_u32_e64 v5, null, 0, v5, vcc_lo
	v_add_co_u32 v2, vcc_lo, v2, s10
	v_lshlrev_b32_e32 v6, 3, v19
	v_add_co_ci_u32_e64 v3, null, s11, v3, vcc_lo
	v_add_co_u32 v10, vcc_lo, s26, v4
	v_lshl_or_b32 v20, v19, 8, v12
	v_add_co_ci_u32_e64 v11, null, s27, v5, vcc_lo
	v_add_co_u32 v12, vcc_lo, v2, v6
	v_add_co_ci_u32_e64 v13, null, 0, v3, vcc_lo
	v_mov_b32_e32 v2, 0
	v_add_co_u32 v12, vcc_lo, s20, v12
	v_mov_b32_e32 v4, 0
	v_mov_b32_e32 v6, 0
	v_mov_b32_e32 v8, 0
	v_lshl_add_u32 v23, v1, 6, 0x800
	v_mov_b32_e32 v3, 0
	v_mov_b32_e32 v5, 0
	;; [unrolled: 1-line block ×4, first 2 shown]
	v_add_co_ci_u32_e64 v13, null, s21, v13, vcc_lo
	s_lshl_b64 s[10:11], s[36:37], 6
	s_mov_b64 s[20:21], 0
	s_branch .LBB305_3
.LBB305_2:                              ;   in Loop: Header=BB305_3 Depth=1
	s_or_b32 exec_lo, exec_lo, s9
	s_waitcnt vmcnt(0)
	ds_write_b64 v21, v[16:17]
	s_waitcnt lgkmcnt(0)
	s_barrier
	buffer_gl0_inv
	ds_read_b128 v[14:17], v23
	ds_read2_b64 v[24:27], v22 offset1:16
	ds_read_b128 v[28:31], v23 offset:1024
	ds_read_b128 v[32:35], v23 offset:16
	ds_read2_b64 v[36:39], v22 offset0:32 offset1:48
	ds_read_b128 v[40:43], v23 offset:1040
	s_add_u32 s20, s20, 8
	s_addc_u32 s21, s21, 0
	v_add_co_u32 v10, vcc_lo, v10, s10
	v_cmp_lt_i64_e64 s9, s[20:21], s[16:17]
	v_add_co_ci_u32_e64 v11, null, s11, v11, vcc_lo
	v_add_co_u32 v12, vcc_lo, v12, 64
	v_add_co_ci_u32_e64 v13, null, 0, v13, vcc_lo
	s_and_b32 vcc_lo, exec_lo, s9
	s_waitcnt lgkmcnt(4)
	v_fma_f64 v[8:9], v[24:25], v[14:15], v[8:9]
	v_fma_f64 v[6:7], v[26:27], v[14:15], v[6:7]
	s_waitcnt lgkmcnt(3)
	v_fma_f64 v[14:15], v[24:25], v[28:29], v[4:5]
	v_fma_f64 v[24:25], v[26:27], v[28:29], v[2:3]
	ds_read2_b64 v[2:5], v22 offset0:64 offset1:80
	s_waitcnt lgkmcnt(2)
	v_fma_f64 v[26:27], v[36:37], v[16:17], v[8:9]
	v_fma_f64 v[16:17], v[38:39], v[16:17], v[6:7]
	;; [unrolled: 1-line block ×4, first 2 shown]
	ds_read2_b64 v[6:9], v22 offset0:96 offset1:112
	s_waitcnt lgkmcnt(1)
	v_fma_f64 v[26:27], v[2:3], v[32:33], v[26:27]
	v_fma_f64 v[28:29], v[4:5], v[32:33], v[16:17]
	;; [unrolled: 1-line block ×4, first 2 shown]
	ds_read_b128 v[2:5], v23 offset:32
	ds_read2_b64 v[14:17], v22 offset0:128 offset1:144
	s_waitcnt lgkmcnt(2)
	v_fma_f64 v[36:37], v[6:7], v[34:35], v[26:27]
	v_fma_f64 v[38:39], v[8:9], v[34:35], v[28:29]
	;; [unrolled: 1-line block ×4, first 2 shown]
	ds_read_b128 v[6:9], v23 offset:1056
	ds_read_b128 v[24:27], v23 offset:48
	ds_read2_b64 v[28:31], v22 offset0:160 offset1:176
	ds_read_b128 v[32:35], v23 offset:1072
	s_waitcnt lgkmcnt(4)
	v_fma_f64 v[36:37], v[14:15], v[2:3], v[36:37]
	v_fma_f64 v[2:3], v[16:17], v[2:3], v[38:39]
	s_waitcnt lgkmcnt(3)
	v_fma_f64 v[38:39], v[14:15], v[6:7], v[40:41]
	v_fma_f64 v[6:7], v[16:17], v[6:7], v[42:43]
	ds_read2_b64 v[14:17], v22 offset0:192 offset1:208
	s_waitcnt lgkmcnt(2)
	v_fma_f64 v[36:37], v[28:29], v[4:5], v[36:37]
	v_fma_f64 v[2:3], v[30:31], v[4:5], v[2:3]
	;; [unrolled: 1-line block ×4, first 2 shown]
	ds_read2_b64 v[28:31], v22 offset0:224 offset1:240
	s_waitcnt lgkmcnt(0)
	s_barrier
	buffer_gl0_inv
	v_fma_f64 v[8:9], v[14:15], v[24:25], v[36:37]
	v_fma_f64 v[2:3], v[16:17], v[24:25], v[2:3]
	;; [unrolled: 1-line block ×8, first 2 shown]
	s_cbranch_vccz .LBB305_8
.LBB305_3:                              ; =>This Inner Loop Header: Depth=1
	v_add_co_u32 v14, s9, v19, s20
	v_add_co_ci_u32_e64 v15, null, 0, s21, s9
	v_cmp_gt_i64_e32 vcc_lo, s[16:17], v[14:15]
	v_mov_b32_e32 v14, 0
	v_mov_b32_e32 v15, 0
	s_and_b32 s22, s0, vcc_lo
	s_and_saveexec_b32 s9, s22
	s_cbranch_execz .LBB305_5
; %bb.4:                                ;   in Loop: Header=BB305_3 Depth=1
	global_load_dwordx2 v[14:15], v[12:13], off
.LBB305_5:                              ;   in Loop: Header=BB305_3 Depth=1
	s_or_b32 exec_lo, exec_lo, s9
	v_add_co_u32 v16, s9, v18, s20
	v_add_co_ci_u32_e64 v17, null, 0, s21, s9
	s_waitcnt vmcnt(0)
	ds_write_b64 v20, v[14:15]
	v_cmp_gt_i64_e32 vcc_lo, s[16:17], v[16:17]
	v_mov_b32_e32 v16, 0
	v_mov_b32_e32 v17, 0
	s_and_b32 s22, vcc_lo, s1
	s_and_saveexec_b32 s9, s22
	s_cbranch_execz .LBB305_2
; %bb.6:                                ;   in Loop: Header=BB305_3 Depth=1
	global_load_dwordx2 v[16:17], v[10:11], off
	s_branch .LBB305_2
.LBB305_7:
	v_mov_b32_e32 v8, 0
	v_mov_b32_e32 v6, 0
	;; [unrolled: 1-line block ×8, first 2 shown]
.LBB305_8:
	s_load_dwordx2 s[0:1], s[4:5], 0x80
	v_cmp_neq_f64_e64 s9, s[40:41], 0
	v_add_co_u32 v10, s2, s2, v1
	v_add_co_ci_u32_e64 v11, null, s3, 0, s2
	s_waitcnt lgkmcnt(0)
	s_mul_i32 s1, s1, s8
	s_mul_hi_u32 s2, s0, s8
	s_mul_i32 s0, s0, s8
	s_add_i32 s1, s2, s1
	s_lshl_b64 s[4:5], s[0:1], 3
	v_cmp_gt_i64_e64 s0, s[14:15], v[10:11]
	s_add_u32 s3, s48, s4
	s_addc_u32 s4, s49, s5
	s_and_b32 vcc_lo, exec_lo, s9
	s_cbranch_vccnz .LBB305_21
; %bb.9:
	s_and_saveexec_b32 s5, s0
	s_cbranch_execz .LBB305_19
; %bb.10:
	v_mul_lo_u32 v1, v11, s50
	v_mul_lo_u32 v14, v10, s51
	v_mad_u64_u32 v[12:13], null, v10, s50, 0
	v_add3_u32 v13, v13, v14, v1
	v_add_co_u32 v14, s1, s6, v0
	v_add_co_ci_u32_e64 v15, null, s7, 0, s1
	v_lshlrev_b64 v[16:17], 3, v[12:13]
	v_cmp_gt_i64_e32 vcc_lo, s[12:13], v[14:15]
	v_lshlrev_b64 v[12:13], 3, v[14:15]
	v_add_co_u32 v1, s1, s3, v16
	v_add_co_ci_u32_e64 v16, null, s4, v17, s1
	s_and_saveexec_b32 s2, vcc_lo
	s_cbranch_execz .LBB305_12
; %bb.11:
	v_mul_f64 v[17:18], s[18:19], v[8:9]
	v_add_co_u32 v19, s1, v1, v12
	v_add_co_ci_u32_e64 v20, null, v16, v13, s1
	global_store_dwordx2 v[19:20], v[17:18], off
.LBB305_12:
	s_or_b32 exec_lo, exec_lo, s2
	v_add_co_u32 v14, s1, v14, 16
	v_add_co_ci_u32_e64 v15, null, 0, v15, s1
	v_cmp_gt_i64_e64 s1, s[12:13], v[14:15]
	s_and_saveexec_b32 s9, s1
	s_cbranch_execz .LBB305_14
; %bb.13:
	v_mul_f64 v[14:15], s[18:19], v[6:7]
	v_add_co_u32 v17, s2, v1, v12
	v_add_co_ci_u32_e64 v18, null, v16, v13, s2
	global_store_dwordx2 v[17:18], v[14:15], off offset:128
.LBB305_14:
	s_or_b32 exec_lo, exec_lo, s9
	v_add_co_u32 v14, s2, v10, 16
	v_add_co_ci_u32_e64 v15, null, 0, v11, s2
	v_cmp_gt_i64_e64 s2, s[14:15], v[14:15]
	s_and_b32 exec_lo, exec_lo, s2
	s_cbranch_execz .LBB305_19
; %bb.15:
	s_lshl_b64 s[10:11], s[50:51], 7
	v_add_co_u32 v1, s2, v1, s10
	v_add_co_ci_u32_e64 v14, null, s11, v16, s2
	v_add_co_u32 v12, s2, v1, v12
	v_add_co_ci_u32_e64 v13, null, v14, v13, s2
	s_and_saveexec_b32 s2, vcc_lo
	s_cbranch_execz .LBB305_17
; %bb.16:
	v_mul_f64 v[14:15], s[18:19], v[4:5]
	global_store_dwordx2 v[12:13], v[14:15], off
.LBB305_17:
	s_or_b32 exec_lo, exec_lo, s2
	s_and_b32 exec_lo, exec_lo, s1
	s_cbranch_execz .LBB305_19
; %bb.18:
	v_mul_f64 v[14:15], s[18:19], v[2:3]
	global_store_dwordx2 v[12:13], v[14:15], off offset:128
.LBB305_19:
	s_or_b32 exec_lo, exec_lo, s5
	s_cbranch_execz .LBB305_22
.LBB305_20:
	s_endpgm
.LBB305_21:
.LBB305_22:
	s_and_saveexec_b32 s1, s0
	s_cbranch_execz .LBB305_20
; %bb.23:
	v_mul_lo_u32 v1, v11, s44
	v_mul_lo_u32 v12, v10, s45
	v_mad_u64_u32 v[14:15], null, v10, s44, 0
	v_mul_lo_u32 v18, v11, s50
	v_mul_lo_u32 v19, v10, s51
	v_mad_u64_u32 v[16:17], null, v10, s50, 0
	s_mul_i32 s0, s47, s8
	s_mul_hi_u32 s1, s46, s8
	v_add3_u32 v15, v15, v12, v1
	s_add_i32 s1, s1, s0
	s_mul_i32 s0, s46, s8
	v_add_co_u32 v12, s2, s6, v0
	v_add3_u32 v17, v17, v19, v18
	v_lshlrev_b64 v[0:1], 3, v[14:15]
	s_lshl_b64 s[0:1], s[0:1], 3
	v_add_co_ci_u32_e64 v13, null, s7, 0, s2
	v_lshlrev_b64 v[16:17], 3, v[16:17]
	s_add_u32 s0, s42, s0
	s_addc_u32 s1, s43, s1
	v_add_co_u32 v14, s0, s0, v0
	v_add_co_ci_u32_e64 v15, null, s1, v1, s0
	v_add_co_u32 v16, s0, s3, v16
	v_cmp_gt_i64_e32 vcc_lo, s[12:13], v[12:13]
	v_lshlrev_b64 v[0:1], 3, v[12:13]
	v_add_co_ci_u32_e64 v17, null, s4, v17, s0
	s_and_saveexec_b32 s1, vcc_lo
	s_cbranch_execz .LBB305_25
; %bb.24:
	v_add_co_u32 v18, s0, v14, v0
	v_add_co_ci_u32_e64 v19, null, v15, v1, s0
	global_load_dwordx2 v[18:19], v[18:19], off
	s_waitcnt vmcnt(0)
	v_mul_f64 v[18:19], s[40:41], v[18:19]
	v_fma_f64 v[8:9], s[18:19], v[8:9], v[18:19]
	v_add_co_u32 v18, s0, v16, v0
	v_add_co_ci_u32_e64 v19, null, v17, v1, s0
	global_store_dwordx2 v[18:19], v[8:9], off
.LBB305_25:
	s_or_b32 exec_lo, exec_lo, s1
	v_add_co_u32 v8, s0, v12, 16
	v_add_co_ci_u32_e64 v9, null, 0, v13, s0
	v_cmp_gt_i64_e64 s0, s[12:13], v[8:9]
	s_and_saveexec_b32 s2, s0
	s_cbranch_execz .LBB305_27
; %bb.26:
	v_add_co_u32 v8, s1, v14, v0
	v_add_co_ci_u32_e64 v9, null, v15, v1, s1
	global_load_dwordx2 v[8:9], v[8:9], off offset:128
	s_waitcnt vmcnt(0)
	v_mul_f64 v[8:9], s[40:41], v[8:9]
	v_fma_f64 v[6:7], s[18:19], v[6:7], v[8:9]
	v_add_co_u32 v8, s1, v16, v0
	v_add_co_ci_u32_e64 v9, null, v17, v1, s1
	global_store_dwordx2 v[8:9], v[6:7], off offset:128
.LBB305_27:
	s_or_b32 exec_lo, exec_lo, s2
	v_add_co_u32 v6, s1, v10, 16
	v_add_co_ci_u32_e64 v7, null, 0, v11, s1
	v_cmp_gt_i64_e64 s1, s[14:15], v[6:7]
	s_and_b32 exec_lo, exec_lo, s1
	s_cbranch_execz .LBB305_20
; %bb.28:
	s_lshl_b64 s[2:3], s[44:45], 7
	v_add_co_u32 v6, s1, v14, s2
	v_add_co_ci_u32_e64 v7, null, s3, v15, s1
	s_lshl_b64 s[2:3], s[50:51], 7
	v_add_co_u32 v8, s1, v16, s2
	v_add_co_ci_u32_e64 v9, null, s3, v17, s1
	v_add_co_u32 v6, s1, v6, v0
	v_add_co_ci_u32_e64 v7, null, v7, v1, s1
	;; [unrolled: 2-line block ×3, first 2 shown]
	s_and_saveexec_b32 s1, vcc_lo
	s_cbranch_execz .LBB305_30
; %bb.29:
	global_load_dwordx2 v[8:9], v[6:7], off
	s_waitcnt vmcnt(0)
	v_mul_f64 v[8:9], s[40:41], v[8:9]
	v_fma_f64 v[4:5], s[18:19], v[4:5], v[8:9]
	global_store_dwordx2 v[0:1], v[4:5], off
.LBB305_30:
	s_or_b32 exec_lo, exec_lo, s1
	s_and_b32 exec_lo, exec_lo, s0
	s_cbranch_execz .LBB305_20
; %bb.31:
	global_load_dwordx2 v[4:5], v[6:7], off offset:128
	s_waitcnt vmcnt(0)
	v_mul_f64 v[4:5], s[40:41], v[4:5]
	v_fma_f64 v[2:3], s[18:19], v[2:3], v[4:5]
	global_store_dwordx2 v[0:1], v[2:3], off offset:128
	s_endpgm
	.section	.rodata,"a",@progbits
	.p2align	6, 0x0
	.amdhsa_kernel _ZN12_GLOBAL__N_135rocblas_gemm_batched_general_kernelIdLi16ELi16ELi32ELi32ELi8ELi32ELi8ELi8ELi32ELc84ELc67EKdS1_dEEvlllT_PT11_llS4_llS2_PT12_llPT13_lli
		.amdhsa_group_segment_fixed_size 4096
		.amdhsa_private_segment_fixed_size 0
		.amdhsa_kernarg_size 140
		.amdhsa_user_sgpr_count 6
		.amdhsa_user_sgpr_private_segment_buffer 1
		.amdhsa_user_sgpr_dispatch_ptr 0
		.amdhsa_user_sgpr_queue_ptr 0
		.amdhsa_user_sgpr_kernarg_segment_ptr 1
		.amdhsa_user_sgpr_dispatch_id 0
		.amdhsa_user_sgpr_flat_scratch_init 0
		.amdhsa_user_sgpr_private_segment_size 0
		.amdhsa_wavefront_size32 1
		.amdhsa_uses_dynamic_stack 0
		.amdhsa_system_sgpr_private_segment_wavefront_offset 0
		.amdhsa_system_sgpr_workgroup_id_x 1
		.amdhsa_system_sgpr_workgroup_id_y 1
		.amdhsa_system_sgpr_workgroup_id_z 1
		.amdhsa_system_sgpr_workgroup_info 0
		.amdhsa_system_vgpr_workitem_id 1
		.amdhsa_next_free_vgpr 44
		.amdhsa_next_free_sgpr 52
		.amdhsa_reserve_vcc 1
		.amdhsa_reserve_flat_scratch 0
		.amdhsa_float_round_mode_32 0
		.amdhsa_float_round_mode_16_64 0
		.amdhsa_float_denorm_mode_32 3
		.amdhsa_float_denorm_mode_16_64 3
		.amdhsa_dx10_clamp 1
		.amdhsa_ieee_mode 1
		.amdhsa_fp16_overflow 0
		.amdhsa_workgroup_processor_mode 1
		.amdhsa_memory_ordered 1
		.amdhsa_forward_progress 1
		.amdhsa_shared_vgpr_count 0
		.amdhsa_exception_fp_ieee_invalid_op 0
		.amdhsa_exception_fp_denorm_src 0
		.amdhsa_exception_fp_ieee_div_zero 0
		.amdhsa_exception_fp_ieee_overflow 0
		.amdhsa_exception_fp_ieee_underflow 0
		.amdhsa_exception_fp_ieee_inexact 0
		.amdhsa_exception_int_div_zero 0
	.end_amdhsa_kernel
	.section	.text._ZN12_GLOBAL__N_135rocblas_gemm_batched_general_kernelIdLi16ELi16ELi32ELi32ELi8ELi32ELi8ELi8ELi32ELc84ELc67EKdS1_dEEvlllT_PT11_llS4_llS2_PT12_llPT13_lli,"axG",@progbits,_ZN12_GLOBAL__N_135rocblas_gemm_batched_general_kernelIdLi16ELi16ELi32ELi32ELi8ELi32ELi8ELi8ELi32ELc84ELc67EKdS1_dEEvlllT_PT11_llS4_llS2_PT12_llPT13_lli,comdat
.Lfunc_end305:
	.size	_ZN12_GLOBAL__N_135rocblas_gemm_batched_general_kernelIdLi16ELi16ELi32ELi32ELi8ELi32ELi8ELi8ELi32ELc84ELc67EKdS1_dEEvlllT_PT11_llS4_llS2_PT12_llPT13_lli, .Lfunc_end305-_ZN12_GLOBAL__N_135rocblas_gemm_batched_general_kernelIdLi16ELi16ELi32ELi32ELi8ELi32ELi8ELi8ELi32ELc84ELc67EKdS1_dEEvlllT_PT11_llS4_llS2_PT12_llPT13_lli
                                        ; -- End function
	.set _ZN12_GLOBAL__N_135rocblas_gemm_batched_general_kernelIdLi16ELi16ELi32ELi32ELi8ELi32ELi8ELi8ELi32ELc84ELc67EKdS1_dEEvlllT_PT11_llS4_llS2_PT12_llPT13_lli.num_vgpr, 44
	.set _ZN12_GLOBAL__N_135rocblas_gemm_batched_general_kernelIdLi16ELi16ELi32ELi32ELi8ELi32ELi8ELi8ELi32ELc84ELc67EKdS1_dEEvlllT_PT11_llS4_llS2_PT12_llPT13_lli.num_agpr, 0
	.set _ZN12_GLOBAL__N_135rocblas_gemm_batched_general_kernelIdLi16ELi16ELi32ELi32ELi8ELi32ELi8ELi8ELi32ELc84ELc67EKdS1_dEEvlllT_PT11_llS4_llS2_PT12_llPT13_lli.numbered_sgpr, 52
	.set _ZN12_GLOBAL__N_135rocblas_gemm_batched_general_kernelIdLi16ELi16ELi32ELi32ELi8ELi32ELi8ELi8ELi32ELc84ELc67EKdS1_dEEvlllT_PT11_llS4_llS2_PT12_llPT13_lli.num_named_barrier, 0
	.set _ZN12_GLOBAL__N_135rocblas_gemm_batched_general_kernelIdLi16ELi16ELi32ELi32ELi8ELi32ELi8ELi8ELi32ELc84ELc67EKdS1_dEEvlllT_PT11_llS4_llS2_PT12_llPT13_lli.private_seg_size, 0
	.set _ZN12_GLOBAL__N_135rocblas_gemm_batched_general_kernelIdLi16ELi16ELi32ELi32ELi8ELi32ELi8ELi8ELi32ELc84ELc67EKdS1_dEEvlllT_PT11_llS4_llS2_PT12_llPT13_lli.uses_vcc, 1
	.set _ZN12_GLOBAL__N_135rocblas_gemm_batched_general_kernelIdLi16ELi16ELi32ELi32ELi8ELi32ELi8ELi8ELi32ELc84ELc67EKdS1_dEEvlllT_PT11_llS4_llS2_PT12_llPT13_lli.uses_flat_scratch, 0
	.set _ZN12_GLOBAL__N_135rocblas_gemm_batched_general_kernelIdLi16ELi16ELi32ELi32ELi8ELi32ELi8ELi8ELi32ELc84ELc67EKdS1_dEEvlllT_PT11_llS4_llS2_PT12_llPT13_lli.has_dyn_sized_stack, 0
	.set _ZN12_GLOBAL__N_135rocblas_gemm_batched_general_kernelIdLi16ELi16ELi32ELi32ELi8ELi32ELi8ELi8ELi32ELc84ELc67EKdS1_dEEvlllT_PT11_llS4_llS2_PT12_llPT13_lli.has_recursion, 0
	.set _ZN12_GLOBAL__N_135rocblas_gemm_batched_general_kernelIdLi16ELi16ELi32ELi32ELi8ELi32ELi8ELi8ELi32ELc84ELc67EKdS1_dEEvlllT_PT11_llS4_llS2_PT12_llPT13_lli.has_indirect_call, 0
	.section	.AMDGPU.csdata,"",@progbits
; Kernel info:
; codeLenInByte = 2108
; TotalNumSgprs: 54
; NumVgprs: 44
; ScratchSize: 0
; MemoryBound: 0
; FloatMode: 240
; IeeeMode: 1
; LDSByteSize: 4096 bytes/workgroup (compile time only)
; SGPRBlocks: 0
; VGPRBlocks: 5
; NumSGPRsForWavesPerEU: 54
; NumVGPRsForWavesPerEU: 44
; Occupancy: 16
; WaveLimiterHint : 0
; COMPUTE_PGM_RSRC2:SCRATCH_EN: 0
; COMPUTE_PGM_RSRC2:USER_SGPR: 6
; COMPUTE_PGM_RSRC2:TRAP_HANDLER: 0
; COMPUTE_PGM_RSRC2:TGID_X_EN: 1
; COMPUTE_PGM_RSRC2:TGID_Y_EN: 1
; COMPUTE_PGM_RSRC2:TGID_Z_EN: 1
; COMPUTE_PGM_RSRC2:TIDIG_COMP_CNT: 1
	.section	.text._ZN12_GLOBAL__N_120gemm_ex_scale_kernelILi32ELi32EfPKfPfEEviiT1_T2_lllT3_llli,"axG",@progbits,_ZN12_GLOBAL__N_120gemm_ex_scale_kernelILi32ELi32EfPKfPfEEviiT1_T2_lllT3_llli,comdat
	.globl	_ZN12_GLOBAL__N_120gemm_ex_scale_kernelILi32ELi32EfPKfPfEEviiT1_T2_lllT3_llli ; -- Begin function _ZN12_GLOBAL__N_120gemm_ex_scale_kernelILi32ELi32EfPKfPfEEviiT1_T2_lllT3_llli
	.p2align	8
	.type	_ZN12_GLOBAL__N_120gemm_ex_scale_kernelILi32ELi32EfPKfPfEEviiT1_T2_lllT3_llli,@function
_ZN12_GLOBAL__N_120gemm_ex_scale_kernelILi32ELi32EfPKfPfEEviiT1_T2_lllT3_llli: ; @_ZN12_GLOBAL__N_120gemm_ex_scale_kernelILi32ELi32EfPKfPfEEviiT1_T2_lllT3_llli
; %bb.0:
	s_load_dwordx4 s[0:3], s[4:5], 0x0
	v_lshl_add_u32 v0, s6, 5, v0
	v_lshl_add_u32 v4, s7, 5, v1
	s_waitcnt lgkmcnt(0)
	v_cmp_gt_u32_e32 vcc_lo, s0, v0
	v_cmp_gt_u32_e64 s0, s1, v4
	s_and_b32 s0, vcc_lo, s0
	s_and_saveexec_b32 s1, s0
	s_cbranch_execz .LBB306_5
; %bb.1:
	v_cmp_neq_f32_e64 s0, s2, 0
	v_mov_b32_e32 v1, 0
	s_and_b32 vcc_lo, exec_lo, s0
	s_mov_b32 s0, 0
	s_cbranch_vccnz .LBB306_6
; %bb.2:
	v_mov_b32_e32 v3, 0
	v_mov_b32_e32 v2, v0
	s_load_dwordx16 s[12:27], s[4:5], 0x10
	s_andn2_b32 vcc_lo, exec_lo, s0
	s_cbranch_vccnz .LBB306_4
.LBB306_3:
	s_waitcnt lgkmcnt(0)
	v_mad_u64_u32 v[5:6], null, s16, v4, 0
	s_mul_i32 s1, s19, s8
	s_mul_hi_u32 s3, s18, s8
	s_mul_i32 s0, s18, s8
	s_add_i32 s1, s3, s1
	v_lshlrev_b64 v[0:1], 2, v[0:1]
	s_lshl_b64 s[0:1], s[0:1], 2
	v_mad_u64_u32 v[6:7], null, s17, v4, v[6:7]
	s_add_u32 s3, s12, s0
	s_addc_u32 s4, s13, s1
	s_lshl_b64 s[0:1], s[14:15], 2
	s_add_u32 s0, s3, s0
	s_addc_u32 s1, s4, s1
	v_lshlrev_b64 v[5:6], 2, v[5:6]
	v_add_co_u32 v5, vcc_lo, s0, v5
	v_add_co_ci_u32_e64 v6, null, s1, v6, vcc_lo
	v_add_co_u32 v0, vcc_lo, v5, v0
	v_add_co_ci_u32_e64 v1, null, v6, v1, vcc_lo
	global_load_dword v0, v[0:1], off
	s_waitcnt vmcnt(0)
	v_mul_f32_e32 v1, s2, v0
.LBB306_4:
	s_waitcnt lgkmcnt(0)
	v_mad_u64_u32 v[5:6], null, s24, v4, 0
	s_mul_i32 s1, s27, s8
	s_mul_hi_u32 s2, s26, s8
	s_mul_i32 s0, s26, s8
	s_add_i32 s1, s2, s1
	v_lshlrev_b64 v[2:3], 2, v[2:3]
	s_lshl_b64 s[0:1], s[0:1], 2
	v_mov_b32_e32 v0, v6
	s_add_u32 s2, s20, s0
	s_addc_u32 s3, s21, s1
	s_lshl_b64 s[0:1], s[22:23], 2
	s_add_u32 s0, s2, s0
	v_mad_u64_u32 v[6:7], null, s25, v4, v[0:1]
	s_addc_u32 s1, s3, s1
	v_lshlrev_b64 v[4:5], 2, v[5:6]
	v_add_co_u32 v0, vcc_lo, s0, v4
	v_add_co_ci_u32_e64 v4, null, s1, v5, vcc_lo
	v_add_co_u32 v2, vcc_lo, v0, v2
	v_add_co_ci_u32_e64 v3, null, v4, v3, vcc_lo
	global_store_dword v[2:3], v1, off
.LBB306_5:
	s_endpgm
.LBB306_6:
	v_mov_b32_e32 v3, v1
	v_mov_b32_e32 v2, v0
	s_load_dwordx16 s[12:27], s[4:5], 0x10
	s_branch .LBB306_3
	.section	.rodata,"a",@progbits
	.p2align	6, 0x0
	.amdhsa_kernel _ZN12_GLOBAL__N_120gemm_ex_scale_kernelILi32ELi32EfPKfPfEEviiT1_T2_lllT3_llli
		.amdhsa_group_segment_fixed_size 0
		.amdhsa_private_segment_fixed_size 0
		.amdhsa_kernarg_size 84
		.amdhsa_user_sgpr_count 6
		.amdhsa_user_sgpr_private_segment_buffer 1
		.amdhsa_user_sgpr_dispatch_ptr 0
		.amdhsa_user_sgpr_queue_ptr 0
		.amdhsa_user_sgpr_kernarg_segment_ptr 1
		.amdhsa_user_sgpr_dispatch_id 0
		.amdhsa_user_sgpr_flat_scratch_init 0
		.amdhsa_user_sgpr_private_segment_size 0
		.amdhsa_wavefront_size32 1
		.amdhsa_uses_dynamic_stack 0
		.amdhsa_system_sgpr_private_segment_wavefront_offset 0
		.amdhsa_system_sgpr_workgroup_id_x 1
		.amdhsa_system_sgpr_workgroup_id_y 1
		.amdhsa_system_sgpr_workgroup_id_z 1
		.amdhsa_system_sgpr_workgroup_info 0
		.amdhsa_system_vgpr_workitem_id 1
		.amdhsa_next_free_vgpr 8
		.amdhsa_next_free_sgpr 28
		.amdhsa_reserve_vcc 1
		.amdhsa_reserve_flat_scratch 0
		.amdhsa_float_round_mode_32 0
		.amdhsa_float_round_mode_16_64 0
		.amdhsa_float_denorm_mode_32 3
		.amdhsa_float_denorm_mode_16_64 3
		.amdhsa_dx10_clamp 1
		.amdhsa_ieee_mode 1
		.amdhsa_fp16_overflow 0
		.amdhsa_workgroup_processor_mode 1
		.amdhsa_memory_ordered 1
		.amdhsa_forward_progress 1
		.amdhsa_shared_vgpr_count 0
		.amdhsa_exception_fp_ieee_invalid_op 0
		.amdhsa_exception_fp_denorm_src 0
		.amdhsa_exception_fp_ieee_div_zero 0
		.amdhsa_exception_fp_ieee_overflow 0
		.amdhsa_exception_fp_ieee_underflow 0
		.amdhsa_exception_fp_ieee_inexact 0
		.amdhsa_exception_int_div_zero 0
	.end_amdhsa_kernel
	.section	.text._ZN12_GLOBAL__N_120gemm_ex_scale_kernelILi32ELi32EfPKfPfEEviiT1_T2_lllT3_llli,"axG",@progbits,_ZN12_GLOBAL__N_120gemm_ex_scale_kernelILi32ELi32EfPKfPfEEviiT1_T2_lllT3_llli,comdat
.Lfunc_end306:
	.size	_ZN12_GLOBAL__N_120gemm_ex_scale_kernelILi32ELi32EfPKfPfEEviiT1_T2_lllT3_llli, .Lfunc_end306-_ZN12_GLOBAL__N_120gemm_ex_scale_kernelILi32ELi32EfPKfPfEEviiT1_T2_lllT3_llli
                                        ; -- End function
	.set _ZN12_GLOBAL__N_120gemm_ex_scale_kernelILi32ELi32EfPKfPfEEviiT1_T2_lllT3_llli.num_vgpr, 8
	.set _ZN12_GLOBAL__N_120gemm_ex_scale_kernelILi32ELi32EfPKfPfEEviiT1_T2_lllT3_llli.num_agpr, 0
	.set _ZN12_GLOBAL__N_120gemm_ex_scale_kernelILi32ELi32EfPKfPfEEviiT1_T2_lllT3_llli.numbered_sgpr, 28
	.set _ZN12_GLOBAL__N_120gemm_ex_scale_kernelILi32ELi32EfPKfPfEEviiT1_T2_lllT3_llli.num_named_barrier, 0
	.set _ZN12_GLOBAL__N_120gemm_ex_scale_kernelILi32ELi32EfPKfPfEEviiT1_T2_lllT3_llli.private_seg_size, 0
	.set _ZN12_GLOBAL__N_120gemm_ex_scale_kernelILi32ELi32EfPKfPfEEviiT1_T2_lllT3_llli.uses_vcc, 1
	.set _ZN12_GLOBAL__N_120gemm_ex_scale_kernelILi32ELi32EfPKfPfEEviiT1_T2_lllT3_llli.uses_flat_scratch, 0
	.set _ZN12_GLOBAL__N_120gemm_ex_scale_kernelILi32ELi32EfPKfPfEEviiT1_T2_lllT3_llli.has_dyn_sized_stack, 0
	.set _ZN12_GLOBAL__N_120gemm_ex_scale_kernelILi32ELi32EfPKfPfEEviiT1_T2_lllT3_llli.has_recursion, 0
	.set _ZN12_GLOBAL__N_120gemm_ex_scale_kernelILi32ELi32EfPKfPfEEviiT1_T2_lllT3_llli.has_indirect_call, 0
	.section	.AMDGPU.csdata,"",@progbits
; Kernel info:
; codeLenInByte = 368
; TotalNumSgprs: 30
; NumVgprs: 8
; ScratchSize: 0
; MemoryBound: 0
; FloatMode: 240
; IeeeMode: 1
; LDSByteSize: 0 bytes/workgroup (compile time only)
; SGPRBlocks: 0
; VGPRBlocks: 0
; NumSGPRsForWavesPerEU: 30
; NumVGPRsForWavesPerEU: 8
; Occupancy: 16
; WaveLimiterHint : 0
; COMPUTE_PGM_RSRC2:SCRATCH_EN: 0
; COMPUTE_PGM_RSRC2:USER_SGPR: 6
; COMPUTE_PGM_RSRC2:TRAP_HANDLER: 0
; COMPUTE_PGM_RSRC2:TGID_X_EN: 1
; COMPUTE_PGM_RSRC2:TGID_Y_EN: 1
; COMPUTE_PGM_RSRC2:TGID_Z_EN: 1
; COMPUTE_PGM_RSRC2:TIDIG_COMP_CNT: 1
	.section	.text._ZN12_GLOBAL__N_127rocblas_gemm_batched_kernelIfLi16ELi16ELi64ELi64ELi4ELi64ELi4ELi4ELi64ELc78ELc78EKfS1_fEEvlllT_PT11_llS4_llS2_PT12_llPT13_lli,"axG",@progbits,_ZN12_GLOBAL__N_127rocblas_gemm_batched_kernelIfLi16ELi16ELi64ELi64ELi4ELi64ELi4ELi4ELi64ELc78ELc78EKfS1_fEEvlllT_PT11_llS4_llS2_PT12_llPT13_lli,comdat
	.globl	_ZN12_GLOBAL__N_127rocblas_gemm_batched_kernelIfLi16ELi16ELi64ELi64ELi4ELi64ELi4ELi4ELi64ELc78ELc78EKfS1_fEEvlllT_PT11_llS4_llS2_PT12_llPT13_lli ; -- Begin function _ZN12_GLOBAL__N_127rocblas_gemm_batched_kernelIfLi16ELi16ELi64ELi64ELi4ELi64ELi4ELi4ELi64ELc78ELc78EKfS1_fEEvlllT_PT11_llS4_llS2_PT12_llPT13_lli
	.p2align	8
	.type	_ZN12_GLOBAL__N_127rocblas_gemm_batched_kernelIfLi16ELi16ELi64ELi64ELi4ELi64ELi4ELi4ELi64ELc78ELc78EKfS1_fEEvlllT_PT11_llS4_llS2_PT12_llPT13_lli,@function
_ZN12_GLOBAL__N_127rocblas_gemm_batched_kernelIfLi16ELi16ELi64ELi64ELi4ELi64ELi4ELi4ELi64ELc78ELc78EKfS1_fEEvlllT_PT11_llS4_llS2_PT12_llPT13_lli: ; @_ZN12_GLOBAL__N_127rocblas_gemm_batched_kernelIfLi16ELi16ELi64ELi64ELi4ELi64ELi4ELi4ELi64ELc78ELc78EKfS1_fEEvlllT_PT11_llS4_llS2_PT12_llPT13_lli
; %bb.0:
	s_load_dwordx2 s[20:21], s[4:5], 0x10
	s_mov_b32 s0, s7
	v_mov_b32_e32 v19, 0
	v_mov_b32_e32 v21, 0
	;; [unrolled: 1-line block ×16, first 2 shown]
	s_ashr_i32 s7, s6, 31
	s_ashr_i32 s1, s0, 31
	s_waitcnt lgkmcnt(0)
	v_cmp_lt_i64_e64 s2, s[20:21], 1
	s_lshl_b64 s[6:7], s[6:7], 6
	s_lshl_b64 s[10:11], s[0:1], 6
	s_and_b32 vcc_lo, exec_lo, s2
	s_cbranch_vccnz .LBB307_3
; %bb.1:
	v_lshlrev_b32_e32 v4, 4, v1
	s_clause 0x1
	s_load_dwordx4 s[0:3], s[4:5], 0x40
	s_load_dwordx8 s[12:19], s[4:5], 0x20
	v_and_b32_e32 v3, 3, v0
	v_mov_b32_e32 v6, 0
	v_add_nc_u32_e32 v2, v4, v0
	v_add_nc_u32_e32 v23, 0x400, v4
	v_lshlrev_b32_e32 v22, 2, v0
	v_lshlrev_b32_e32 v9, 2, v3
	v_mov_b32_e32 v14, 0
	v_lshrrev_b32_e32 v5, 2, v2
	v_and_b32_e32 v10, 63, v2
	v_lshrrev_b32_e32 v8, 6, v2
	v_mov_b32_e32 v15, 0
	v_mov_b32_e32 v16, 0
	v_add_co_u32 v3, s9, v5, s10
	v_add_co_ci_u32_e64 v7, null, 0, s11, s9
	v_lshl_or_b32 v12, v5, 4, v9
	v_lshlrev_b32_e32 v11, 2, v10
	s_waitcnt lgkmcnt(0)
	v_mul_lo_u32 v13, s1, v3
	v_mul_lo_u32 v7, s0, v7
	v_mad_u64_u32 v[2:3], null, s0, v3, 0
	v_mad_u64_u32 v[4:5], null, s14, v8, s[6:7]
	s_mul_i32 s1, s3, s8
	s_mul_hi_u32 s3, s2, s8
	v_lshl_or_b32 v24, v8, 8, v11
	s_mul_i32 s0, s2, s8
	v_add3_u32 v3, v3, v7, v13
	s_add_i32 s1, s3, s1
	v_mad_u64_u32 v[7:8], null, s15, v8, v[5:6]
	s_lshl_b64 s[0:1], s[0:1], 2
	v_lshlrev_b64 v[2:3], 2, v[2:3]
	s_mul_i32 s2, s17, s8
	s_mul_hi_u32 s3, s16, s8
	v_add_nc_u32_e32 v25, 0x400, v12
	v_mov_b32_e32 v11, 0
	v_mov_b32_e32 v12, 0
	v_add_co_u32 v5, vcc_lo, v2, s0
	v_add_co_ci_u32_e64 v8, null, s1, v3, vcc_lo
	v_add_co_u32 v2, vcc_lo, v4, v10
	v_add_co_ci_u32_e64 v3, null, 0, v7, vcc_lo
	v_add_co_u32 v7, vcc_lo, v5, v9
	s_add_i32 s1, s3, s2
	s_mul_i32 s0, s16, s8
	v_lshlrev_b64 v[4:5], 2, v[2:3]
	v_add_co_ci_u32_e64 v8, null, 0, v8, vcc_lo
	s_lshl_b64 s[0:1], s[0:1], 2
	v_add_co_u32 v2, vcc_lo, s18, v7
	s_add_u32 s0, s12, s0
	v_add_co_ci_u32_e64 v3, null, s19, v8, vcc_lo
	s_addc_u32 s1, s13, s1
	v_add_co_u32 v4, vcc_lo, s0, v4
	v_add_co_ci_u32_e64 v5, null, s1, v5, vcc_lo
	v_mov_b32_e32 v7, 0
	v_mov_b32_e32 v8, 0
	;; [unrolled: 1-line block ×10, first 2 shown]
	s_lshl_b64 s[0:1], s[14:15], 4
	s_mov_b64 s[2:3], 0
.LBB307_2:                              ; =>This Inner Loop Header: Depth=1
	global_load_dword v26, v[4:5], off
	global_load_dword v27, v[2:3], off
	s_add_u32 s2, s2, 4
	s_addc_u32 s3, s3, 0
	v_add_co_u32 v2, vcc_lo, v2, 16
	v_cmp_lt_i64_e64 s9, s[2:3], s[20:21]
	v_add_co_ci_u32_e64 v3, null, 0, v3, vcc_lo
	v_add_co_u32 v4, vcc_lo, v4, s0
	v_add_co_ci_u32_e64 v5, null, s1, v5, vcc_lo
	s_and_b32 vcc_lo, exec_lo, s9
	s_waitcnt vmcnt(1)
	ds_write_b32 v24, v26
	s_waitcnt vmcnt(0)
	ds_write_b32 v25, v27
	s_waitcnt lgkmcnt(0)
	s_barrier
	buffer_gl0_inv
	ds_read_b128 v[26:29], v23
	ds_read2_b32 v[42:43], v22 offset1:16
	ds_read2_b32 v[44:45], v22 offset0:32 offset1:48
	ds_read_b128 v[30:33], v23 offset:256
	ds_read_b128 v[34:37], v23 offset:512
	;; [unrolled: 1-line block ×3, first 2 shown]
	ds_read2_b32 v[46:47], v22 offset0:64 offset1:80
	ds_read2_b32 v[48:49], v22 offset0:96 offset1:112
	;; [unrolled: 1-line block ×6, first 2 shown]
	s_waitcnt lgkmcnt(0)
	s_barrier
	buffer_gl0_inv
	v_fmac_f32_e32 v19, v42, v26
	v_fmac_f32_e32 v21, v43, v26
	;; [unrolled: 1-line block ×64, first 2 shown]
	s_cbranch_vccnz .LBB307_2
.LBB307_3:
	s_clause 0x3
	s_load_dwordx4 s[0:3], s[4:5], 0x78
	s_load_dword s9, s[4:5], 0x50
	s_load_dwordx8 s[12:19], s[4:5], 0x58
	s_load_dword s4, s[4:5], 0x18
	v_add_co_u32 v3, s5, s6, v0
	v_add_co_ci_u32_e64 v4, null, s7, 0, s5
	v_add_co_u32 v2, s5, s10, v1
	v_add_co_ci_u32_e64 v5, null, s11, 0, s5
	v_lshlrev_b64 v[0:1], 2, v[3:4]
	s_waitcnt lgkmcnt(0)
	s_mul_i32 s3, s3, s8
	s_mul_hi_u32 s5, s2, s8
	v_mul_lo_u32 v3, v5, s0
	v_mul_lo_u32 v4, v2, s1
	s_mul_i32 s2, s2, s8
	v_cmp_neq_f32_e64 s6, s9, 0
	s_add_i32 s3, s5, s3
	s_mov_b32 s5, 0
	s_lshl_b64 s[2:3], s[2:3], 2
	s_add_u32 s2, s18, s2
	s_addc_u32 s3, s19, s3
	s_and_b32 vcc_lo, exec_lo, s6
	s_cbranch_vccnz .LBB307_7
; %bb.4:
	v_mad_u64_u32 v[22:23], null, v2, s0, 0
	s_lshl_b64 s[6:7], s[0:1], 6
	v_mul_f32_e32 v26, s4, v19
	v_mul_f32_e32 v27, s4, v21
	v_mul_f32_e32 v28, s4, v20
	v_mul_f32_e32 v29, s4, v18
	v_mul_f32_e32 v30, s4, v17
	v_add3_u32 v23, v23, v4, v3
	v_mul_f32_e32 v31, s4, v16
	v_mul_f32_e32 v32, s4, v15
	v_mul_f32_e32 v33, s4, v14
	v_lshlrev_b64 v[22:23], 2, v[22:23]
	v_add_co_u32 v22, vcc_lo, s2, v22
	v_add_co_ci_u32_e64 v23, null, s3, v23, vcc_lo
	v_add_co_u32 v34, vcc_lo, v22, s6
	v_add_co_ci_u32_e64 v35, null, s7, v23, vcc_lo
	;; [unrolled: 2-line block ×4, first 2 shown]
	global_store_dword v[22:23], v26, off
	global_store_dword v[22:23], v27, off offset:64
	global_store_dword v[22:23], v28, off offset:128
	global_store_dword v[22:23], v29, off offset:192
	global_store_dword v[24:25], v30, off
	global_store_dword v[24:25], v31, off offset:64
	v_add_co_u32 v26, vcc_lo, v34, s6
	v_add_co_ci_u32_e64 v27, null, s7, v35, vcc_lo
	v_mul_f32_e32 v28, s4, v13
	v_add_co_u32 v22, vcc_lo, v26, v0
	v_add_co_ci_u32_e64 v23, null, v27, v1, vcc_lo
	v_mul_f32_e32 v29, s4, v12
	v_mul_f32_e32 v30, s4, v11
	global_store_dword v[24:25], v32, off offset:128
	global_store_dword v[24:25], v33, off offset:192
	global_store_dword v[22:23], v28, off
	global_store_dword v[22:23], v29, off offset:64
	global_store_dword v[22:23], v30, off offset:128
	v_add_co_u32 v24, vcc_lo, v26, s6
	v_add_co_ci_u32_e64 v25, null, s7, v27, vcc_lo
	v_mul_f32_e32 v28, s4, v10
	v_add_co_u32 v24, vcc_lo, v24, v0
	v_mul_f32_e32 v26, s4, v9
	v_add_co_ci_u32_e64 v25, null, v25, v1, vcc_lo
	v_mul_f32_e32 v27, s4, v8
	v_mul_f32_e32 v29, s4, v7
	;; [unrolled: 1-line block ×3, first 2 shown]
	global_store_dword v[22:23], v28, off offset:192
	global_store_dword v[24:25], v26, off
	global_store_dword v[24:25], v27, off offset:64
	global_store_dword v[24:25], v29, off offset:128
	;; [unrolled: 1-line block ×3, first 2 shown]
	s_andn2_b32 vcc_lo, exec_lo, s5
	s_cbranch_vccnz .LBB307_6
.LBB307_5:
	v_mul_lo_u32 v5, v5, s14
	v_mul_lo_u32 v24, v2, s15
	v_mad_u64_u32 v[22:23], null, v2, s14, 0
	s_mul_i32 s5, s17, s8
	s_mul_hi_u32 s7, s16, s8
	s_mul_i32 s6, s16, s8
	s_add_i32 s7, s7, s5
	s_lshl_b64 s[6:7], s[6:7], 2
	v_add3_u32 v23, v23, v24, v5
	s_add_u32 s5, s12, s6
	s_addc_u32 s6, s13, s7
	v_mad_u64_u32 v[24:25], null, v2, s0, 0
	v_lshlrev_b64 v[22:23], 2, v[22:23]
	s_lshl_b64 s[0:1], s[0:1], 6
	v_add3_u32 v25, v25, v4, v3
	v_add_co_u32 v5, vcc_lo, s5, v22
	v_add_co_ci_u32_e64 v26, null, s6, v23, vcc_lo
	v_lshlrev_b64 v[2:3], 2, v[24:25]
	v_add_co_u32 v22, vcc_lo, v5, v0
	v_add_co_ci_u32_e64 v23, null, v26, v1, vcc_lo
	v_add_co_u32 v24, vcc_lo, s2, v2
	global_load_dword v27, v[22:23], off
	v_add_co_ci_u32_e64 v25, null, s3, v3, vcc_lo
	v_add_co_u32 v2, vcc_lo, v24, v0
	s_lshl_b64 s[2:3], s[14:15], 6
	v_add_co_ci_u32_e64 v3, null, v25, v1, vcc_lo
	s_waitcnt vmcnt(0)
	v_mul_f32_e32 v4, s9, v27
	v_fmac_f32_e32 v4, s4, v19
	global_store_dword v[2:3], v4, off
	global_load_dword v4, v[22:23], off offset:64
	s_waitcnt vmcnt(0)
	v_mul_f32_e32 v4, s9, v4
	v_fmac_f32_e32 v4, s4, v21
	global_store_dword v[2:3], v4, off offset:64
	global_load_dword v4, v[22:23], off offset:128
	s_waitcnt vmcnt(0)
	v_mul_f32_e32 v4, s9, v4
	v_fmac_f32_e32 v4, s4, v20
	v_add_co_u32 v20, vcc_lo, v5, s2
	v_add_co_ci_u32_e64 v21, null, s3, v26, vcc_lo
	global_store_dword v[2:3], v4, off offset:128
	global_load_dword v4, v[22:23], off offset:192
	s_waitcnt vmcnt(0)
	v_mul_f32_e32 v19, s9, v4
	v_add_co_u32 v4, vcc_lo, v20, v0
	v_add_co_ci_u32_e64 v5, null, v21, v1, vcc_lo
	v_fmac_f32_e32 v19, s4, v18
	v_add_co_u32 v18, vcc_lo, v24, s0
	global_store_dword v[2:3], v19, off offset:192
	global_load_dword v2, v[4:5], off
	v_add_co_ci_u32_e64 v19, null, s1, v25, vcc_lo
	s_waitcnt vmcnt(0)
	v_mul_f32_e32 v22, s9, v2
	v_add_co_u32 v2, vcc_lo, v18, v0
	v_add_co_ci_u32_e64 v3, null, v19, v1, vcc_lo
	v_fmac_f32_e32 v22, s4, v17
	global_store_dword v[2:3], v22, off
	global_load_dword v17, v[4:5], off offset:64
	s_waitcnt vmcnt(0)
	v_mul_f32_e32 v17, s9, v17
	v_fmac_f32_e32 v17, s4, v16
	global_store_dword v[2:3], v17, off offset:64
	global_load_dword v16, v[4:5], off offset:128
	s_waitcnt vmcnt(0)
	v_mul_f32_e32 v16, s9, v16
	v_fmac_f32_e32 v16, s4, v15
	global_store_dword v[2:3], v16, off offset:128
	global_load_dword v4, v[4:5], off offset:192
	v_add_co_u32 v16, vcc_lo, v20, s2
	v_add_co_ci_u32_e64 v17, null, s3, v21, vcc_lo
	s_waitcnt vmcnt(0)
	v_mul_f32_e32 v15, s9, v4
	v_add_co_u32 v4, vcc_lo, v16, v0
	v_add_co_ci_u32_e64 v5, null, v17, v1, vcc_lo
	v_fmac_f32_e32 v15, s4, v14
	v_add_co_u32 v14, vcc_lo, v18, s0
	global_store_dword v[2:3], v15, off offset:192
	global_load_dword v2, v[4:5], off
	v_add_co_ci_u32_e64 v15, null, s1, v19, vcc_lo
	s_waitcnt vmcnt(0)
	v_mul_f32_e32 v18, s9, v2
	v_add_co_u32 v2, vcc_lo, v14, v0
	v_add_co_ci_u32_e64 v3, null, v15, v1, vcc_lo
	v_fmac_f32_e32 v18, s4, v13
	global_store_dword v[2:3], v18, off
	global_load_dword v13, v[4:5], off offset:64
	s_waitcnt vmcnt(0)
	v_mul_f32_e32 v13, s9, v13
	v_fmac_f32_e32 v13, s4, v12
	global_store_dword v[2:3], v13, off offset:64
	global_load_dword v12, v[4:5], off offset:128
	s_waitcnt vmcnt(0)
	v_mul_f32_e32 v12, s9, v12
	v_fmac_f32_e32 v12, s4, v11
	global_store_dword v[2:3], v12, off offset:128
	global_load_dword v4, v[4:5], off offset:192
	s_waitcnt vmcnt(0)
	v_mul_f32_e32 v11, s9, v4
	v_add_co_u32 v4, vcc_lo, v16, s2
	v_add_co_ci_u32_e64 v5, null, s3, v17, vcc_lo
	v_fmac_f32_e32 v11, s4, v10
	v_add_co_u32 v4, vcc_lo, v4, v0
	v_add_co_ci_u32_e64 v5, null, v5, v1, vcc_lo
	global_store_dword v[2:3], v11, off offset:192
	v_add_co_u32 v3, vcc_lo, v14, s0
	global_load_dword v2, v[4:5], off
	v_add_co_ci_u32_e64 v10, null, s1, v15, vcc_lo
	v_add_co_u32 v0, vcc_lo, v3, v0
	v_add_co_ci_u32_e64 v1, null, v10, v1, vcc_lo
	s_waitcnt vmcnt(0)
	v_mul_f32_e32 v2, s9, v2
	v_fmac_f32_e32 v2, s4, v9
	global_store_dword v[0:1], v2, off
	global_load_dword v2, v[4:5], off offset:64
	s_waitcnt vmcnt(0)
	v_mul_f32_e32 v2, s9, v2
	v_fmac_f32_e32 v2, s4, v8
	global_store_dword v[0:1], v2, off offset:64
	global_load_dword v2, v[4:5], off offset:128
	s_waitcnt vmcnt(0)
	v_mul_f32_e32 v2, s9, v2
	v_fmac_f32_e32 v2, s4, v7
	global_store_dword v[0:1], v2, off offset:128
	;; [unrolled: 5-line block ×3, first 2 shown]
.LBB307_6:
	s_endpgm
.LBB307_7:
	s_branch .LBB307_5
	.section	.rodata,"a",@progbits
	.p2align	6, 0x0
	.amdhsa_kernel _ZN12_GLOBAL__N_127rocblas_gemm_batched_kernelIfLi16ELi16ELi64ELi64ELi4ELi64ELi4ELi4ELi64ELc78ELc78EKfS1_fEEvlllT_PT11_llS4_llS2_PT12_llPT13_lli
		.amdhsa_group_segment_fixed_size 2048
		.amdhsa_private_segment_fixed_size 0
		.amdhsa_kernarg_size 140
		.amdhsa_user_sgpr_count 6
		.amdhsa_user_sgpr_private_segment_buffer 1
		.amdhsa_user_sgpr_dispatch_ptr 0
		.amdhsa_user_sgpr_queue_ptr 0
		.amdhsa_user_sgpr_kernarg_segment_ptr 1
		.amdhsa_user_sgpr_dispatch_id 0
		.amdhsa_user_sgpr_flat_scratch_init 0
		.amdhsa_user_sgpr_private_segment_size 0
		.amdhsa_wavefront_size32 1
		.amdhsa_uses_dynamic_stack 0
		.amdhsa_system_sgpr_private_segment_wavefront_offset 0
		.amdhsa_system_sgpr_workgroup_id_x 1
		.amdhsa_system_sgpr_workgroup_id_y 1
		.amdhsa_system_sgpr_workgroup_id_z 1
		.amdhsa_system_sgpr_workgroup_info 0
		.amdhsa_system_vgpr_workitem_id 1
		.amdhsa_next_free_vgpr 58
		.amdhsa_next_free_sgpr 22
		.amdhsa_reserve_vcc 1
		.amdhsa_reserve_flat_scratch 0
		.amdhsa_float_round_mode_32 0
		.amdhsa_float_round_mode_16_64 0
		.amdhsa_float_denorm_mode_32 3
		.amdhsa_float_denorm_mode_16_64 3
		.amdhsa_dx10_clamp 1
		.amdhsa_ieee_mode 1
		.amdhsa_fp16_overflow 0
		.amdhsa_workgroup_processor_mode 1
		.amdhsa_memory_ordered 1
		.amdhsa_forward_progress 1
		.amdhsa_shared_vgpr_count 0
		.amdhsa_exception_fp_ieee_invalid_op 0
		.amdhsa_exception_fp_denorm_src 0
		.amdhsa_exception_fp_ieee_div_zero 0
		.amdhsa_exception_fp_ieee_overflow 0
		.amdhsa_exception_fp_ieee_underflow 0
		.amdhsa_exception_fp_ieee_inexact 0
		.amdhsa_exception_int_div_zero 0
	.end_amdhsa_kernel
	.section	.text._ZN12_GLOBAL__N_127rocblas_gemm_batched_kernelIfLi16ELi16ELi64ELi64ELi4ELi64ELi4ELi4ELi64ELc78ELc78EKfS1_fEEvlllT_PT11_llS4_llS2_PT12_llPT13_lli,"axG",@progbits,_ZN12_GLOBAL__N_127rocblas_gemm_batched_kernelIfLi16ELi16ELi64ELi64ELi4ELi64ELi4ELi4ELi64ELc78ELc78EKfS1_fEEvlllT_PT11_llS4_llS2_PT12_llPT13_lli,comdat
.Lfunc_end307:
	.size	_ZN12_GLOBAL__N_127rocblas_gemm_batched_kernelIfLi16ELi16ELi64ELi64ELi4ELi64ELi4ELi4ELi64ELc78ELc78EKfS1_fEEvlllT_PT11_llS4_llS2_PT12_llPT13_lli, .Lfunc_end307-_ZN12_GLOBAL__N_127rocblas_gemm_batched_kernelIfLi16ELi16ELi64ELi64ELi4ELi64ELi4ELi4ELi64ELc78ELc78EKfS1_fEEvlllT_PT11_llS4_llS2_PT12_llPT13_lli
                                        ; -- End function
	.set _ZN12_GLOBAL__N_127rocblas_gemm_batched_kernelIfLi16ELi16ELi64ELi64ELi4ELi64ELi4ELi4ELi64ELc78ELc78EKfS1_fEEvlllT_PT11_llS4_llS2_PT12_llPT13_lli.num_vgpr, 58
	.set _ZN12_GLOBAL__N_127rocblas_gemm_batched_kernelIfLi16ELi16ELi64ELi64ELi4ELi64ELi4ELi4ELi64ELc78ELc78EKfS1_fEEvlllT_PT11_llS4_llS2_PT12_llPT13_lli.num_agpr, 0
	.set _ZN12_GLOBAL__N_127rocblas_gemm_batched_kernelIfLi16ELi16ELi64ELi64ELi4ELi64ELi4ELi4ELi64ELc78ELc78EKfS1_fEEvlllT_PT11_llS4_llS2_PT12_llPT13_lli.numbered_sgpr, 22
	.set _ZN12_GLOBAL__N_127rocblas_gemm_batched_kernelIfLi16ELi16ELi64ELi64ELi4ELi64ELi4ELi4ELi64ELc78ELc78EKfS1_fEEvlllT_PT11_llS4_llS2_PT12_llPT13_lli.num_named_barrier, 0
	.set _ZN12_GLOBAL__N_127rocblas_gemm_batched_kernelIfLi16ELi16ELi64ELi64ELi4ELi64ELi4ELi4ELi64ELc78ELc78EKfS1_fEEvlllT_PT11_llS4_llS2_PT12_llPT13_lli.private_seg_size, 0
	.set _ZN12_GLOBAL__N_127rocblas_gemm_batched_kernelIfLi16ELi16ELi64ELi64ELi4ELi64ELi4ELi4ELi64ELc78ELc78EKfS1_fEEvlllT_PT11_llS4_llS2_PT12_llPT13_lli.uses_vcc, 1
	.set _ZN12_GLOBAL__N_127rocblas_gemm_batched_kernelIfLi16ELi16ELi64ELi64ELi4ELi64ELi4ELi4ELi64ELc78ELc78EKfS1_fEEvlllT_PT11_llS4_llS2_PT12_llPT13_lli.uses_flat_scratch, 0
	.set _ZN12_GLOBAL__N_127rocblas_gemm_batched_kernelIfLi16ELi16ELi64ELi64ELi4ELi64ELi4ELi4ELi64ELc78ELc78EKfS1_fEEvlllT_PT11_llS4_llS2_PT12_llPT13_lli.has_dyn_sized_stack, 0
	.set _ZN12_GLOBAL__N_127rocblas_gemm_batched_kernelIfLi16ELi16ELi64ELi64ELi4ELi64ELi4ELi4ELi64ELc78ELc78EKfS1_fEEvlllT_PT11_llS4_llS2_PT12_llPT13_lli.has_recursion, 0
	.set _ZN12_GLOBAL__N_127rocblas_gemm_batched_kernelIfLi16ELi16ELi64ELi64ELi4ELi64ELi4ELi4ELi64ELc78ELc78EKfS1_fEEvlllT_PT11_llS4_llS2_PT12_llPT13_lli.has_indirect_call, 0
	.section	.AMDGPU.csdata,"",@progbits
; Kernel info:
; codeLenInByte = 2276
; TotalNumSgprs: 24
; NumVgprs: 58
; ScratchSize: 0
; MemoryBound: 0
; FloatMode: 240
; IeeeMode: 1
; LDSByteSize: 2048 bytes/workgroup (compile time only)
; SGPRBlocks: 0
; VGPRBlocks: 7
; NumSGPRsForWavesPerEU: 24
; NumVGPRsForWavesPerEU: 58
; Occupancy: 16
; WaveLimiterHint : 0
; COMPUTE_PGM_RSRC2:SCRATCH_EN: 0
; COMPUTE_PGM_RSRC2:USER_SGPR: 6
; COMPUTE_PGM_RSRC2:TRAP_HANDLER: 0
; COMPUTE_PGM_RSRC2:TGID_X_EN: 1
; COMPUTE_PGM_RSRC2:TGID_Y_EN: 1
; COMPUTE_PGM_RSRC2:TGID_Z_EN: 1
; COMPUTE_PGM_RSRC2:TIDIG_COMP_CNT: 1
	.section	.text._ZN12_GLOBAL__N_127rocblas_gemm_batched_kernelIfLi16ELi16ELi64ELi64ELi4ELi64ELi4ELi4ELi64ELc84ELc78EKfS1_fEEvlllT_PT11_llS4_llS2_PT12_llPT13_lli,"axG",@progbits,_ZN12_GLOBAL__N_127rocblas_gemm_batched_kernelIfLi16ELi16ELi64ELi64ELi4ELi64ELi4ELi4ELi64ELc84ELc78EKfS1_fEEvlllT_PT11_llS4_llS2_PT12_llPT13_lli,comdat
	.globl	_ZN12_GLOBAL__N_127rocblas_gemm_batched_kernelIfLi16ELi16ELi64ELi64ELi4ELi64ELi4ELi4ELi64ELc84ELc78EKfS1_fEEvlllT_PT11_llS4_llS2_PT12_llPT13_lli ; -- Begin function _ZN12_GLOBAL__N_127rocblas_gemm_batched_kernelIfLi16ELi16ELi64ELi64ELi4ELi64ELi4ELi4ELi64ELc84ELc78EKfS1_fEEvlllT_PT11_llS4_llS2_PT12_llPT13_lli
	.p2align	8
	.type	_ZN12_GLOBAL__N_127rocblas_gemm_batched_kernelIfLi16ELi16ELi64ELi64ELi4ELi64ELi4ELi4ELi64ELc84ELc78EKfS1_fEEvlllT_PT11_llS4_llS2_PT12_llPT13_lli,@function
_ZN12_GLOBAL__N_127rocblas_gemm_batched_kernelIfLi16ELi16ELi64ELi64ELi4ELi64ELi4ELi4ELi64ELc84ELc78EKfS1_fEEvlllT_PT11_llS4_llS2_PT12_llPT13_lli: ; @_ZN12_GLOBAL__N_127rocblas_gemm_batched_kernelIfLi16ELi16ELi64ELi64ELi4ELi64ELi4ELi4ELi64ELc84ELc78EKfS1_fEEvlllT_PT11_llS4_llS2_PT12_llPT13_lli
; %bb.0:
	s_load_dwordx2 s[20:21], s[4:5], 0x10
	s_mov_b32 s0, s7
	v_mov_b32_e32 v19, 0
	v_mov_b32_e32 v21, 0
	;; [unrolled: 1-line block ×16, first 2 shown]
	s_ashr_i32 s7, s6, 31
	s_ashr_i32 s1, s0, 31
	s_waitcnt lgkmcnt(0)
	v_cmp_lt_i64_e64 s2, s[20:21], 1
	s_lshl_b64 s[6:7], s[6:7], 6
	s_lshl_b64 s[10:11], s[0:1], 6
	s_and_b32 vcc_lo, exec_lo, s2
	s_cbranch_vccnz .LBB308_3
; %bb.1:
	v_lshlrev_b32_e32 v7, 4, v1
	s_clause 0x1
	s_load_dwordx4 s[0:3], s[4:5], 0x40
	s_load_dwordx8 s[12:19], s[4:5], 0x20
	v_and_b32_e32 v3, 3, v0
	v_mov_b32_e32 v6, 0
	v_add_nc_u32_e32 v2, v7, v0
	v_add_nc_u32_e32 v25, 0x400, v7
	v_lshlrev_b32_e32 v24, 2, v0
	v_lshlrev_b32_e32 v8, 2, v3
	v_mov_b32_e32 v15, 0
	v_lshrrev_b32_e32 v4, 2, v2
	v_and_b32_e32 v3, 63, v2
	v_lshrrev_b32_e32 v10, 6, v2
	v_mov_b32_e32 v16, 0
	v_mov_b32_e32 v17, 0
	v_add_co_u32 v5, s9, v4, s10
	v_add_co_ci_u32_e64 v9, null, 0, s11, s9
	v_lshlrev_b32_e32 v11, 2, v3
	v_lshl_or_b32 v4, v4, 4, v8
	s_waitcnt lgkmcnt(0)
	v_mul_lo_u32 v12, s1, v5
	v_add_co_u32 v13, s1, s6, v3
	v_add_co_ci_u32_e64 v14, null, s7, 0, s1
	v_mul_lo_u32 v9, s0, v9
	v_mad_u64_u32 v[2:3], null, s0, v5, 0
	v_lshl_or_b32 v22, v10, 8, v11
	v_add_nc_u32_e32 v23, 0x400, v4
	v_mul_lo_u32 v11, s15, v13
	v_mul_lo_u32 v14, s14, v14
	v_mad_u64_u32 v[4:5], null, s14, v13, 0
	v_add3_u32 v3, v3, v9, v12
	s_mul_i32 s0, s3, s8
	s_mul_hi_u32 s1, s2, s8
	s_mul_hi_u32 s3, s16, s8
	s_add_i32 s1, s1, s0
	v_lshlrev_b64 v[2:3], 2, v[2:3]
	v_add3_u32 v5, v5, v14, v11
	s_mul_i32 s0, s2, s8
	s_mul_i32 s2, s17, s8
	s_lshl_b64 s[0:1], s[0:1], 2
	s_add_i32 s3, s3, s2
	v_lshlrev_b64 v[4:5], 2, v[4:5]
	s_mul_i32 s2, s16, s8
	v_add_co_u32 v2, vcc_lo, v2, s0
	v_add_co_ci_u32_e64 v3, null, s1, v3, vcc_lo
	s_lshl_b64 s[0:1], s[2:3], 2
	v_lshlrev_b32_e32 v7, 2, v10
	v_add_co_u32 v4, vcc_lo, v4, s0
	v_add_co_ci_u32_e64 v5, null, s1, v5, vcc_lo
	v_add_co_u32 v2, vcc_lo, v2, v8
	v_add_co_ci_u32_e64 v3, null, 0, v3, vcc_lo
	;; [unrolled: 2-line block ×5, first 2 shown]
	v_mov_b32_e32 v7, 0
	v_mov_b32_e32 v8, 0
	;; [unrolled: 1-line block ×12, first 2 shown]
	s_mov_b64 s[0:1], 0
.LBB308_2:                              ; =>This Inner Loop Header: Depth=1
	global_load_dword v26, v[4:5], off
	global_load_dword v27, v[2:3], off
	s_add_u32 s0, s0, 4
	s_addc_u32 s1, s1, 0
	v_add_co_u32 v2, vcc_lo, v2, 16
	v_cmp_lt_i64_e64 s2, s[0:1], s[20:21]
	v_add_co_ci_u32_e64 v3, null, 0, v3, vcc_lo
	v_add_co_u32 v4, vcc_lo, v4, 16
	v_add_co_ci_u32_e64 v5, null, 0, v5, vcc_lo
	s_and_b32 vcc_lo, exec_lo, s2
	s_waitcnt vmcnt(1)
	ds_write_b32 v22, v26
	s_waitcnt vmcnt(0)
	ds_write_b32 v23, v27
	s_waitcnt lgkmcnt(0)
	s_barrier
	buffer_gl0_inv
	ds_read_b128 v[26:29], v25
	ds_read2_b32 v[42:43], v24 offset1:16
	ds_read2_b32 v[44:45], v24 offset0:32 offset1:48
	ds_read_b128 v[30:33], v25 offset:256
	ds_read_b128 v[34:37], v25 offset:512
	;; [unrolled: 1-line block ×3, first 2 shown]
	ds_read2_b32 v[46:47], v24 offset0:64 offset1:80
	ds_read2_b32 v[48:49], v24 offset0:96 offset1:112
	;; [unrolled: 1-line block ×6, first 2 shown]
	s_waitcnt lgkmcnt(0)
	s_barrier
	buffer_gl0_inv
	v_fmac_f32_e32 v19, v42, v26
	v_fmac_f32_e32 v21, v43, v26
	;; [unrolled: 1-line block ×64, first 2 shown]
	s_cbranch_vccnz .LBB308_2
.LBB308_3:
	s_clause 0x3
	s_load_dwordx4 s[0:3], s[4:5], 0x78
	s_load_dword s9, s[4:5], 0x50
	s_load_dwordx8 s[12:19], s[4:5], 0x58
	s_load_dword s4, s[4:5], 0x18
	v_add_co_u32 v3, s5, s6, v0
	v_add_co_ci_u32_e64 v4, null, s7, 0, s5
	v_add_co_u32 v2, s5, s10, v1
	v_add_co_ci_u32_e64 v5, null, s11, 0, s5
	v_lshlrev_b64 v[0:1], 2, v[3:4]
	s_waitcnt lgkmcnt(0)
	s_mul_i32 s3, s3, s8
	s_mul_hi_u32 s5, s2, s8
	v_mul_lo_u32 v3, v5, s0
	v_mul_lo_u32 v4, v2, s1
	s_mul_i32 s2, s2, s8
	v_cmp_neq_f32_e64 s6, s9, 0
	s_add_i32 s3, s5, s3
	s_mov_b32 s5, 0
	s_lshl_b64 s[2:3], s[2:3], 2
	s_add_u32 s2, s18, s2
	s_addc_u32 s3, s19, s3
	s_and_b32 vcc_lo, exec_lo, s6
	s_cbranch_vccnz .LBB308_7
; %bb.4:
	v_mad_u64_u32 v[22:23], null, v2, s0, 0
	s_lshl_b64 s[6:7], s[0:1], 6
	v_mul_f32_e32 v26, s4, v19
	v_mul_f32_e32 v27, s4, v21
	;; [unrolled: 1-line block ×5, first 2 shown]
	v_add3_u32 v23, v23, v4, v3
	v_mul_f32_e32 v31, s4, v16
	v_mul_f32_e32 v32, s4, v15
	;; [unrolled: 1-line block ×3, first 2 shown]
	v_lshlrev_b64 v[22:23], 2, v[22:23]
	v_add_co_u32 v22, vcc_lo, s2, v22
	v_add_co_ci_u32_e64 v23, null, s3, v23, vcc_lo
	v_add_co_u32 v34, vcc_lo, v22, s6
	v_add_co_ci_u32_e64 v35, null, s7, v23, vcc_lo
	;; [unrolled: 2-line block ×4, first 2 shown]
	global_store_dword v[22:23], v26, off
	global_store_dword v[22:23], v27, off offset:64
	global_store_dword v[22:23], v28, off offset:128
	;; [unrolled: 1-line block ×3, first 2 shown]
	global_store_dword v[24:25], v30, off
	global_store_dword v[24:25], v31, off offset:64
	v_add_co_u32 v26, vcc_lo, v34, s6
	v_add_co_ci_u32_e64 v27, null, s7, v35, vcc_lo
	v_mul_f32_e32 v28, s4, v13
	v_add_co_u32 v22, vcc_lo, v26, v0
	v_add_co_ci_u32_e64 v23, null, v27, v1, vcc_lo
	v_mul_f32_e32 v29, s4, v12
	v_mul_f32_e32 v30, s4, v11
	global_store_dword v[24:25], v32, off offset:128
	global_store_dword v[24:25], v33, off offset:192
	global_store_dword v[22:23], v28, off
	global_store_dword v[22:23], v29, off offset:64
	global_store_dword v[22:23], v30, off offset:128
	v_add_co_u32 v24, vcc_lo, v26, s6
	v_add_co_ci_u32_e64 v25, null, s7, v27, vcc_lo
	v_mul_f32_e32 v28, s4, v10
	v_add_co_u32 v24, vcc_lo, v24, v0
	v_mul_f32_e32 v26, s4, v9
	v_add_co_ci_u32_e64 v25, null, v25, v1, vcc_lo
	v_mul_f32_e32 v27, s4, v8
	v_mul_f32_e32 v29, s4, v7
	;; [unrolled: 1-line block ×3, first 2 shown]
	global_store_dword v[22:23], v28, off offset:192
	global_store_dword v[24:25], v26, off
	global_store_dword v[24:25], v27, off offset:64
	global_store_dword v[24:25], v29, off offset:128
	;; [unrolled: 1-line block ×3, first 2 shown]
	s_andn2_b32 vcc_lo, exec_lo, s5
	s_cbranch_vccnz .LBB308_6
.LBB308_5:
	v_mul_lo_u32 v5, v5, s14
	v_mul_lo_u32 v24, v2, s15
	v_mad_u64_u32 v[22:23], null, v2, s14, 0
	s_mul_i32 s5, s17, s8
	s_mul_hi_u32 s7, s16, s8
	s_mul_i32 s6, s16, s8
	s_add_i32 s7, s7, s5
	s_lshl_b64 s[6:7], s[6:7], 2
	v_add3_u32 v23, v23, v24, v5
	s_add_u32 s5, s12, s6
	s_addc_u32 s6, s13, s7
	v_mad_u64_u32 v[24:25], null, v2, s0, 0
	v_lshlrev_b64 v[22:23], 2, v[22:23]
	s_lshl_b64 s[0:1], s[0:1], 6
	v_add3_u32 v25, v25, v4, v3
	v_add_co_u32 v5, vcc_lo, s5, v22
	v_add_co_ci_u32_e64 v26, null, s6, v23, vcc_lo
	v_lshlrev_b64 v[2:3], 2, v[24:25]
	v_add_co_u32 v22, vcc_lo, v5, v0
	v_add_co_ci_u32_e64 v23, null, v26, v1, vcc_lo
	v_add_co_u32 v24, vcc_lo, s2, v2
	global_load_dword v27, v[22:23], off
	v_add_co_ci_u32_e64 v25, null, s3, v3, vcc_lo
	v_add_co_u32 v2, vcc_lo, v24, v0
	s_lshl_b64 s[2:3], s[14:15], 6
	v_add_co_ci_u32_e64 v3, null, v25, v1, vcc_lo
	s_waitcnt vmcnt(0)
	v_mul_f32_e32 v4, s9, v27
	v_fmac_f32_e32 v4, s4, v19
	global_store_dword v[2:3], v4, off
	global_load_dword v4, v[22:23], off offset:64
	s_waitcnt vmcnt(0)
	v_mul_f32_e32 v4, s9, v4
	v_fmac_f32_e32 v4, s4, v21
	global_store_dword v[2:3], v4, off offset:64
	global_load_dword v4, v[22:23], off offset:128
	s_waitcnt vmcnt(0)
	v_mul_f32_e32 v4, s9, v4
	v_fmac_f32_e32 v4, s4, v20
	v_add_co_u32 v20, vcc_lo, v5, s2
	v_add_co_ci_u32_e64 v21, null, s3, v26, vcc_lo
	global_store_dword v[2:3], v4, off offset:128
	global_load_dword v4, v[22:23], off offset:192
	s_waitcnt vmcnt(0)
	v_mul_f32_e32 v19, s9, v4
	v_add_co_u32 v4, vcc_lo, v20, v0
	v_add_co_ci_u32_e64 v5, null, v21, v1, vcc_lo
	v_fmac_f32_e32 v19, s4, v18
	v_add_co_u32 v18, vcc_lo, v24, s0
	global_store_dword v[2:3], v19, off offset:192
	global_load_dword v2, v[4:5], off
	v_add_co_ci_u32_e64 v19, null, s1, v25, vcc_lo
	s_waitcnt vmcnt(0)
	v_mul_f32_e32 v22, s9, v2
	v_add_co_u32 v2, vcc_lo, v18, v0
	v_add_co_ci_u32_e64 v3, null, v19, v1, vcc_lo
	v_fmac_f32_e32 v22, s4, v17
	global_store_dword v[2:3], v22, off
	global_load_dword v17, v[4:5], off offset:64
	s_waitcnt vmcnt(0)
	v_mul_f32_e32 v17, s9, v17
	v_fmac_f32_e32 v17, s4, v16
	global_store_dword v[2:3], v17, off offset:64
	global_load_dword v16, v[4:5], off offset:128
	s_waitcnt vmcnt(0)
	v_mul_f32_e32 v16, s9, v16
	v_fmac_f32_e32 v16, s4, v15
	global_store_dword v[2:3], v16, off offset:128
	global_load_dword v4, v[4:5], off offset:192
	v_add_co_u32 v16, vcc_lo, v20, s2
	v_add_co_ci_u32_e64 v17, null, s3, v21, vcc_lo
	s_waitcnt vmcnt(0)
	v_mul_f32_e32 v15, s9, v4
	v_add_co_u32 v4, vcc_lo, v16, v0
	v_add_co_ci_u32_e64 v5, null, v17, v1, vcc_lo
	v_fmac_f32_e32 v15, s4, v14
	v_add_co_u32 v14, vcc_lo, v18, s0
	global_store_dword v[2:3], v15, off offset:192
	global_load_dword v2, v[4:5], off
	v_add_co_ci_u32_e64 v15, null, s1, v19, vcc_lo
	s_waitcnt vmcnt(0)
	v_mul_f32_e32 v18, s9, v2
	v_add_co_u32 v2, vcc_lo, v14, v0
	v_add_co_ci_u32_e64 v3, null, v15, v1, vcc_lo
	v_fmac_f32_e32 v18, s4, v13
	global_store_dword v[2:3], v18, off
	global_load_dword v13, v[4:5], off offset:64
	s_waitcnt vmcnt(0)
	v_mul_f32_e32 v13, s9, v13
	v_fmac_f32_e32 v13, s4, v12
	global_store_dword v[2:3], v13, off offset:64
	global_load_dword v12, v[4:5], off offset:128
	s_waitcnt vmcnt(0)
	v_mul_f32_e32 v12, s9, v12
	v_fmac_f32_e32 v12, s4, v11
	global_store_dword v[2:3], v12, off offset:128
	global_load_dword v4, v[4:5], off offset:192
	s_waitcnt vmcnt(0)
	v_mul_f32_e32 v11, s9, v4
	v_add_co_u32 v4, vcc_lo, v16, s2
	v_add_co_ci_u32_e64 v5, null, s3, v17, vcc_lo
	v_fmac_f32_e32 v11, s4, v10
	v_add_co_u32 v4, vcc_lo, v4, v0
	v_add_co_ci_u32_e64 v5, null, v5, v1, vcc_lo
	global_store_dword v[2:3], v11, off offset:192
	v_add_co_u32 v3, vcc_lo, v14, s0
	global_load_dword v2, v[4:5], off
	v_add_co_ci_u32_e64 v10, null, s1, v15, vcc_lo
	v_add_co_u32 v0, vcc_lo, v3, v0
	v_add_co_ci_u32_e64 v1, null, v10, v1, vcc_lo
	s_waitcnt vmcnt(0)
	v_mul_f32_e32 v2, s9, v2
	v_fmac_f32_e32 v2, s4, v9
	global_store_dword v[0:1], v2, off
	global_load_dword v2, v[4:5], off offset:64
	s_waitcnt vmcnt(0)
	v_mul_f32_e32 v2, s9, v2
	v_fmac_f32_e32 v2, s4, v8
	global_store_dword v[0:1], v2, off offset:64
	global_load_dword v2, v[4:5], off offset:128
	s_waitcnt vmcnt(0)
	v_mul_f32_e32 v2, s9, v2
	v_fmac_f32_e32 v2, s4, v7
	global_store_dword v[0:1], v2, off offset:128
	;; [unrolled: 5-line block ×3, first 2 shown]
.LBB308_6:
	s_endpgm
.LBB308_7:
	s_branch .LBB308_5
	.section	.rodata,"a",@progbits
	.p2align	6, 0x0
	.amdhsa_kernel _ZN12_GLOBAL__N_127rocblas_gemm_batched_kernelIfLi16ELi16ELi64ELi64ELi4ELi64ELi4ELi4ELi64ELc84ELc78EKfS1_fEEvlllT_PT11_llS4_llS2_PT12_llPT13_lli
		.amdhsa_group_segment_fixed_size 2048
		.amdhsa_private_segment_fixed_size 0
		.amdhsa_kernarg_size 140
		.amdhsa_user_sgpr_count 6
		.amdhsa_user_sgpr_private_segment_buffer 1
		.amdhsa_user_sgpr_dispatch_ptr 0
		.amdhsa_user_sgpr_queue_ptr 0
		.amdhsa_user_sgpr_kernarg_segment_ptr 1
		.amdhsa_user_sgpr_dispatch_id 0
		.amdhsa_user_sgpr_flat_scratch_init 0
		.amdhsa_user_sgpr_private_segment_size 0
		.amdhsa_wavefront_size32 1
		.amdhsa_uses_dynamic_stack 0
		.amdhsa_system_sgpr_private_segment_wavefront_offset 0
		.amdhsa_system_sgpr_workgroup_id_x 1
		.amdhsa_system_sgpr_workgroup_id_y 1
		.amdhsa_system_sgpr_workgroup_id_z 1
		.amdhsa_system_sgpr_workgroup_info 0
		.amdhsa_system_vgpr_workitem_id 1
		.amdhsa_next_free_vgpr 58
		.amdhsa_next_free_sgpr 22
		.amdhsa_reserve_vcc 1
		.amdhsa_reserve_flat_scratch 0
		.amdhsa_float_round_mode_32 0
		.amdhsa_float_round_mode_16_64 0
		.amdhsa_float_denorm_mode_32 3
		.amdhsa_float_denorm_mode_16_64 3
		.amdhsa_dx10_clamp 1
		.amdhsa_ieee_mode 1
		.amdhsa_fp16_overflow 0
		.amdhsa_workgroup_processor_mode 1
		.amdhsa_memory_ordered 1
		.amdhsa_forward_progress 1
		.amdhsa_shared_vgpr_count 0
		.amdhsa_exception_fp_ieee_invalid_op 0
		.amdhsa_exception_fp_denorm_src 0
		.amdhsa_exception_fp_ieee_div_zero 0
		.amdhsa_exception_fp_ieee_overflow 0
		.amdhsa_exception_fp_ieee_underflow 0
		.amdhsa_exception_fp_ieee_inexact 0
		.amdhsa_exception_int_div_zero 0
	.end_amdhsa_kernel
	.section	.text._ZN12_GLOBAL__N_127rocblas_gemm_batched_kernelIfLi16ELi16ELi64ELi64ELi4ELi64ELi4ELi4ELi64ELc84ELc78EKfS1_fEEvlllT_PT11_llS4_llS2_PT12_llPT13_lli,"axG",@progbits,_ZN12_GLOBAL__N_127rocblas_gemm_batched_kernelIfLi16ELi16ELi64ELi64ELi4ELi64ELi4ELi4ELi64ELc84ELc78EKfS1_fEEvlllT_PT11_llS4_llS2_PT12_llPT13_lli,comdat
.Lfunc_end308:
	.size	_ZN12_GLOBAL__N_127rocblas_gemm_batched_kernelIfLi16ELi16ELi64ELi64ELi4ELi64ELi4ELi4ELi64ELc84ELc78EKfS1_fEEvlllT_PT11_llS4_llS2_PT12_llPT13_lli, .Lfunc_end308-_ZN12_GLOBAL__N_127rocblas_gemm_batched_kernelIfLi16ELi16ELi64ELi64ELi4ELi64ELi4ELi4ELi64ELc84ELc78EKfS1_fEEvlllT_PT11_llS4_llS2_PT12_llPT13_lli
                                        ; -- End function
	.set _ZN12_GLOBAL__N_127rocblas_gemm_batched_kernelIfLi16ELi16ELi64ELi64ELi4ELi64ELi4ELi4ELi64ELc84ELc78EKfS1_fEEvlllT_PT11_llS4_llS2_PT12_llPT13_lli.num_vgpr, 58
	.set _ZN12_GLOBAL__N_127rocblas_gemm_batched_kernelIfLi16ELi16ELi64ELi64ELi4ELi64ELi4ELi4ELi64ELc84ELc78EKfS1_fEEvlllT_PT11_llS4_llS2_PT12_llPT13_lli.num_agpr, 0
	.set _ZN12_GLOBAL__N_127rocblas_gemm_batched_kernelIfLi16ELi16ELi64ELi64ELi4ELi64ELi4ELi4ELi64ELc84ELc78EKfS1_fEEvlllT_PT11_llS4_llS2_PT12_llPT13_lli.numbered_sgpr, 22
	.set _ZN12_GLOBAL__N_127rocblas_gemm_batched_kernelIfLi16ELi16ELi64ELi64ELi4ELi64ELi4ELi4ELi64ELc84ELc78EKfS1_fEEvlllT_PT11_llS4_llS2_PT12_llPT13_lli.num_named_barrier, 0
	.set _ZN12_GLOBAL__N_127rocblas_gemm_batched_kernelIfLi16ELi16ELi64ELi64ELi4ELi64ELi4ELi4ELi64ELc84ELc78EKfS1_fEEvlllT_PT11_llS4_llS2_PT12_llPT13_lli.private_seg_size, 0
	.set _ZN12_GLOBAL__N_127rocblas_gemm_batched_kernelIfLi16ELi16ELi64ELi64ELi4ELi64ELi4ELi4ELi64ELc84ELc78EKfS1_fEEvlllT_PT11_llS4_llS2_PT12_llPT13_lli.uses_vcc, 1
	.set _ZN12_GLOBAL__N_127rocblas_gemm_batched_kernelIfLi16ELi16ELi64ELi64ELi4ELi64ELi4ELi4ELi64ELc84ELc78EKfS1_fEEvlllT_PT11_llS4_llS2_PT12_llPT13_lli.uses_flat_scratch, 0
	.set _ZN12_GLOBAL__N_127rocblas_gemm_batched_kernelIfLi16ELi16ELi64ELi64ELi4ELi64ELi4ELi4ELi64ELc84ELc78EKfS1_fEEvlllT_PT11_llS4_llS2_PT12_llPT13_lli.has_dyn_sized_stack, 0
	.set _ZN12_GLOBAL__N_127rocblas_gemm_batched_kernelIfLi16ELi16ELi64ELi64ELi4ELi64ELi4ELi4ELi64ELc84ELc78EKfS1_fEEvlllT_PT11_llS4_llS2_PT12_llPT13_lli.has_recursion, 0
	.set _ZN12_GLOBAL__N_127rocblas_gemm_batched_kernelIfLi16ELi16ELi64ELi64ELi4ELi64ELi4ELi4ELi64ELc84ELc78EKfS1_fEEvlllT_PT11_llS4_llS2_PT12_llPT13_lli.has_indirect_call, 0
	.section	.AMDGPU.csdata,"",@progbits
; Kernel info:
; codeLenInByte = 2316
; TotalNumSgprs: 24
; NumVgprs: 58
; ScratchSize: 0
; MemoryBound: 0
; FloatMode: 240
; IeeeMode: 1
; LDSByteSize: 2048 bytes/workgroup (compile time only)
; SGPRBlocks: 0
; VGPRBlocks: 7
; NumSGPRsForWavesPerEU: 24
; NumVGPRsForWavesPerEU: 58
; Occupancy: 16
; WaveLimiterHint : 0
; COMPUTE_PGM_RSRC2:SCRATCH_EN: 0
; COMPUTE_PGM_RSRC2:USER_SGPR: 6
; COMPUTE_PGM_RSRC2:TRAP_HANDLER: 0
; COMPUTE_PGM_RSRC2:TGID_X_EN: 1
; COMPUTE_PGM_RSRC2:TGID_Y_EN: 1
; COMPUTE_PGM_RSRC2:TGID_Z_EN: 1
; COMPUTE_PGM_RSRC2:TIDIG_COMP_CNT: 1
	.section	.text._ZN12_GLOBAL__N_127rocblas_gemm_batched_kernelIfLi16ELi16ELi64ELi64ELi4ELi64ELi4ELi4ELi64ELc78ELc84EKfS1_fEEvlllT_PT11_llS4_llS2_PT12_llPT13_lli,"axG",@progbits,_ZN12_GLOBAL__N_127rocblas_gemm_batched_kernelIfLi16ELi16ELi64ELi64ELi4ELi64ELi4ELi4ELi64ELc78ELc84EKfS1_fEEvlllT_PT11_llS4_llS2_PT12_llPT13_lli,comdat
	.globl	_ZN12_GLOBAL__N_127rocblas_gemm_batched_kernelIfLi16ELi16ELi64ELi64ELi4ELi64ELi4ELi4ELi64ELc78ELc84EKfS1_fEEvlllT_PT11_llS4_llS2_PT12_llPT13_lli ; -- Begin function _ZN12_GLOBAL__N_127rocblas_gemm_batched_kernelIfLi16ELi16ELi64ELi64ELi4ELi64ELi4ELi4ELi64ELc78ELc84EKfS1_fEEvlllT_PT11_llS4_llS2_PT12_llPT13_lli
	.p2align	8
	.type	_ZN12_GLOBAL__N_127rocblas_gemm_batched_kernelIfLi16ELi16ELi64ELi64ELi4ELi64ELi4ELi4ELi64ELc78ELc84EKfS1_fEEvlllT_PT11_llS4_llS2_PT12_llPT13_lli,@function
_ZN12_GLOBAL__N_127rocblas_gemm_batched_kernelIfLi16ELi16ELi64ELi64ELi4ELi64ELi4ELi4ELi64ELc78ELc84EKfS1_fEEvlllT_PT11_llS4_llS2_PT12_llPT13_lli: ; @_ZN12_GLOBAL__N_127rocblas_gemm_batched_kernelIfLi16ELi16ELi64ELi64ELi4ELi64ELi4ELi4ELi64ELc78ELc84EKfS1_fEEvlllT_PT11_llS4_llS2_PT12_llPT13_lli
; %bb.0:
	s_load_dwordx2 s[20:21], s[4:5], 0x10
	s_mov_b32 s0, s7
	v_mov_b32_e32 v19, 0
	v_mov_b32_e32 v21, 0
	;; [unrolled: 1-line block ×16, first 2 shown]
	s_ashr_i32 s7, s6, 31
	s_ashr_i32 s1, s0, 31
	s_waitcnt lgkmcnt(0)
	v_cmp_lt_i64_e64 s2, s[20:21], 1
	s_lshl_b64 s[6:7], s[6:7], 6
	s_lshl_b64 s[10:11], s[0:1], 6
	s_and_b32 vcc_lo, exec_lo, s2
	s_cbranch_vccnz .LBB309_3
; %bb.1:
	v_lshlrev_b32_e32 v4, 4, v1
	s_clause 0x1
	s_load_dwordx4 s[0:3], s[4:5], 0x40
	s_load_dwordx8 s[12:19], s[4:5], 0x20
	v_and_b32_e32 v8, 3, v0
	v_lshlrev_b32_e32 v22, 2, v0
	v_add_nc_u32_e32 v3, v4, v0
	v_add_nc_u32_e32 v23, 0x400, v4
	v_lshlrev_b32_e32 v5, 2, v8
	v_lshrrev_b32_e32 v2, 2, v3
	v_and_b32_e32 v10, 63, v3
	v_lshrrev_b32_e32 v9, 6, v3
	v_mov_b32_e32 v3, 0
	v_lshl_or_b32 v5, v2, 4, v5
	v_lshlrev_b32_e32 v6, 2, v10
	v_mov_b32_e32 v11, v3
	v_mov_b32_e32 v12, v3
	v_add_nc_u32_e32 v25, 0x400, v5
	s_waitcnt lgkmcnt(0)
	v_mad_u64_u32 v[4:5], null, s0, v8, v[2:3]
	v_lshl_or_b32 v24, v9, 8, v6
	v_mad_u64_u32 v[6:7], null, s14, v9, s[6:7]
	s_mul_i32 s3, s3, s8
	s_mul_hi_u32 s9, s2, s8
	s_mul_i32 s2, s2, s8
	v_mov_b32_e32 v2, v5
	v_add_co_u32 v4, vcc_lo, v4, s10
	v_mov_b32_e32 v5, v7
	s_add_i32 s3, s9, s3
	v_mad_u64_u32 v[7:8], null, s1, v8, v[2:3]
	s_lshl_b64 s[2:3], s[2:3], 2
	v_mad_u64_u32 v[8:9], null, s15, v9, v[5:6]
	s_mul_i32 s17, s17, s8
	s_mul_hi_u32 s22, s16, s8
	s_add_u32 s9, s18, s2
	v_add_co_ci_u32_e64 v5, null, s11, v7, vcc_lo
	v_add_co_u32 v6, vcc_lo, v6, v10
	v_add_co_ci_u32_e64 v7, null, 0, v8, vcc_lo
	v_lshlrev_b64 v[4:5], 2, v[4:5]
	s_mul_i32 s16, s16, s8
	s_addc_u32 s18, s19, s3
	s_add_i32 s17, s22, s17
	v_lshlrev_b64 v[6:7], 2, v[6:7]
	s_lshl_b64 s[2:3], s[16:17], 2
	s_lshl_b64 s[0:1], s[0:1], 4
	v_add_co_u32 v4, vcc_lo, s9, v4
	s_add_u32 s2, s12, s2
	v_add_co_ci_u32_e64 v5, null, s18, v5, vcc_lo
	s_addc_u32 s3, s13, s3
	v_add_co_u32 v6, vcc_lo, s2, v6
	v_add_co_ci_u32_e64 v7, null, s3, v7, vcc_lo
	v_mov_b32_e32 v2, v3
	v_mov_b32_e32 v8, v3
	;; [unrolled: 1-line block ×13, first 2 shown]
	s_lshl_b64 s[2:3], s[14:15], 4
	s_mov_b64 s[12:13], 0
.LBB309_2:                              ; =>This Inner Loop Header: Depth=1
	global_load_dword v26, v[6:7], off
	global_load_dword v27, v[4:5], off
	s_add_u32 s12, s12, 4
	s_addc_u32 s13, s13, 0
	v_add_co_u32 v4, vcc_lo, v4, s0
	v_cmp_lt_i64_e64 s9, s[12:13], s[20:21]
	v_add_co_ci_u32_e64 v5, null, s1, v5, vcc_lo
	v_add_co_u32 v6, vcc_lo, v6, s2
	v_add_co_ci_u32_e64 v7, null, s3, v7, vcc_lo
	s_and_b32 vcc_lo, exec_lo, s9
	s_waitcnt vmcnt(1)
	ds_write_b32 v24, v26
	s_waitcnt vmcnt(0)
	ds_write_b32 v25, v27
	s_waitcnt lgkmcnt(0)
	s_barrier
	buffer_gl0_inv
	ds_read_b128 v[26:29], v23
	ds_read2_b32 v[42:43], v22 offset1:16
	ds_read2_b32 v[44:45], v22 offset0:32 offset1:48
	ds_read_b128 v[30:33], v23 offset:256
	ds_read_b128 v[34:37], v23 offset:512
	;; [unrolled: 1-line block ×3, first 2 shown]
	ds_read2_b32 v[46:47], v22 offset0:64 offset1:80
	ds_read2_b32 v[48:49], v22 offset0:96 offset1:112
	;; [unrolled: 1-line block ×6, first 2 shown]
	s_waitcnt lgkmcnt(0)
	s_barrier
	buffer_gl0_inv
	v_fmac_f32_e32 v19, v42, v26
	v_fmac_f32_e32 v21, v43, v26
	;; [unrolled: 1-line block ×64, first 2 shown]
	s_cbranch_vccnz .LBB309_2
.LBB309_3:
	s_clause 0x3
	s_load_dwordx4 s[0:3], s[4:5], 0x78
	s_load_dword s9, s[4:5], 0x50
	s_load_dwordx8 s[12:19], s[4:5], 0x58
	s_load_dword s4, s[4:5], 0x18
	v_add_co_u32 v5, s5, s6, v0
	v_add_co_ci_u32_e64 v6, null, s7, 0, s5
	v_add_co_u32 v4, s5, s10, v1
	v_add_co_ci_u32_e64 v7, null, s11, 0, s5
	v_lshlrev_b64 v[0:1], 2, v[5:6]
	s_waitcnt lgkmcnt(0)
	s_mul_i32 s3, s3, s8
	s_mul_hi_u32 s5, s2, s8
	v_mul_lo_u32 v5, v7, s0
	v_mul_lo_u32 v6, v4, s1
	s_mul_i32 s2, s2, s8
	v_cmp_neq_f32_e64 s6, s9, 0
	s_add_i32 s3, s5, s3
	s_mov_b32 s5, 0
	s_lshl_b64 s[2:3], s[2:3], 2
	s_add_u32 s2, s18, s2
	s_addc_u32 s3, s19, s3
	s_and_b32 vcc_lo, exec_lo, s6
	s_cbranch_vccnz .LBB309_7
; %bb.4:
	v_mad_u64_u32 v[22:23], null, v4, s0, 0
	s_lshl_b64 s[6:7], s[0:1], 6
	v_mul_f32_e32 v26, s4, v19
	v_mul_f32_e32 v27, s4, v21
	;; [unrolled: 1-line block ×5, first 2 shown]
	v_add3_u32 v23, v23, v6, v5
	v_mul_f32_e32 v31, s4, v16
	v_mul_f32_e32 v32, s4, v15
	v_mul_f32_e32 v33, s4, v14
	v_lshlrev_b64 v[22:23], 2, v[22:23]
	v_add_co_u32 v22, vcc_lo, s2, v22
	v_add_co_ci_u32_e64 v23, null, s3, v23, vcc_lo
	v_add_co_u32 v34, vcc_lo, v22, s6
	v_add_co_ci_u32_e64 v35, null, s7, v23, vcc_lo
	;; [unrolled: 2-line block ×4, first 2 shown]
	global_store_dword v[22:23], v26, off
	global_store_dword v[22:23], v27, off offset:64
	global_store_dword v[22:23], v28, off offset:128
	global_store_dword v[22:23], v29, off offset:192
	global_store_dword v[24:25], v30, off
	global_store_dword v[24:25], v31, off offset:64
	v_add_co_u32 v26, vcc_lo, v34, s6
	v_add_co_ci_u32_e64 v27, null, s7, v35, vcc_lo
	v_mul_f32_e32 v28, s4, v13
	v_add_co_u32 v22, vcc_lo, v26, v0
	v_add_co_ci_u32_e64 v23, null, v27, v1, vcc_lo
	v_mul_f32_e32 v29, s4, v12
	v_mul_f32_e32 v30, s4, v11
	global_store_dword v[24:25], v32, off offset:128
	global_store_dword v[24:25], v33, off offset:192
	global_store_dword v[22:23], v28, off
	global_store_dword v[22:23], v29, off offset:64
	global_store_dword v[22:23], v30, off offset:128
	v_add_co_u32 v24, vcc_lo, v26, s6
	v_add_co_ci_u32_e64 v25, null, s7, v27, vcc_lo
	v_mul_f32_e32 v28, s4, v10
	v_add_co_u32 v24, vcc_lo, v24, v0
	v_mul_f32_e32 v26, s4, v9
	v_add_co_ci_u32_e64 v25, null, v25, v1, vcc_lo
	v_mul_f32_e32 v27, s4, v8
	v_mul_f32_e32 v29, s4, v2
	;; [unrolled: 1-line block ×3, first 2 shown]
	global_store_dword v[22:23], v28, off offset:192
	global_store_dword v[24:25], v26, off
	global_store_dword v[24:25], v27, off offset:64
	global_store_dword v[24:25], v29, off offset:128
	;; [unrolled: 1-line block ×3, first 2 shown]
	s_andn2_b32 vcc_lo, exec_lo, s5
	s_cbranch_vccnz .LBB309_6
.LBB309_5:
	v_mul_lo_u32 v7, v7, s14
	v_mul_lo_u32 v24, v4, s15
	v_mad_u64_u32 v[22:23], null, v4, s14, 0
	s_mul_i32 s5, s17, s8
	s_mul_hi_u32 s7, s16, s8
	s_mul_i32 s6, s16, s8
	s_add_i32 s7, s7, s5
	s_lshl_b64 s[6:7], s[6:7], 2
	v_add3_u32 v23, v23, v24, v7
	s_add_u32 s5, s12, s6
	s_addc_u32 s6, s13, s7
	v_mad_u64_u32 v[24:25], null, v4, s0, 0
	v_lshlrev_b64 v[22:23], 2, v[22:23]
	s_lshl_b64 s[0:1], s[0:1], 6
	v_add3_u32 v25, v25, v6, v5
	v_add_co_u32 v7, vcc_lo, s5, v22
	v_add_co_ci_u32_e64 v26, null, s6, v23, vcc_lo
	v_lshlrev_b64 v[4:5], 2, v[24:25]
	v_add_co_u32 v22, vcc_lo, v7, v0
	v_add_co_ci_u32_e64 v23, null, v26, v1, vcc_lo
	v_add_co_u32 v24, vcc_lo, s2, v4
	global_load_dword v27, v[22:23], off
	v_add_co_ci_u32_e64 v25, null, s3, v5, vcc_lo
	v_add_co_u32 v4, vcc_lo, v24, v0
	s_lshl_b64 s[2:3], s[14:15], 6
	v_add_co_ci_u32_e64 v5, null, v25, v1, vcc_lo
	s_waitcnt vmcnt(0)
	v_mul_f32_e32 v6, s9, v27
	v_fmac_f32_e32 v6, s4, v19
	global_store_dword v[4:5], v6, off
	global_load_dword v6, v[22:23], off offset:64
	s_waitcnt vmcnt(0)
	v_mul_f32_e32 v6, s9, v6
	v_fmac_f32_e32 v6, s4, v21
	global_store_dword v[4:5], v6, off offset:64
	global_load_dword v6, v[22:23], off offset:128
	s_waitcnt vmcnt(0)
	v_mul_f32_e32 v6, s9, v6
	v_fmac_f32_e32 v6, s4, v20
	v_add_co_u32 v20, vcc_lo, v7, s2
	v_add_co_ci_u32_e64 v21, null, s3, v26, vcc_lo
	global_store_dword v[4:5], v6, off offset:128
	global_load_dword v6, v[22:23], off offset:192
	s_waitcnt vmcnt(0)
	v_mul_f32_e32 v19, s9, v6
	v_add_co_u32 v6, vcc_lo, v20, v0
	v_add_co_ci_u32_e64 v7, null, v21, v1, vcc_lo
	v_fmac_f32_e32 v19, s4, v18
	v_add_co_u32 v18, vcc_lo, v24, s0
	global_store_dword v[4:5], v19, off offset:192
	global_load_dword v4, v[6:7], off
	v_add_co_ci_u32_e64 v19, null, s1, v25, vcc_lo
	s_waitcnt vmcnt(0)
	v_mul_f32_e32 v22, s9, v4
	v_add_co_u32 v4, vcc_lo, v18, v0
	v_add_co_ci_u32_e64 v5, null, v19, v1, vcc_lo
	v_fmac_f32_e32 v22, s4, v17
	global_store_dword v[4:5], v22, off
	global_load_dword v17, v[6:7], off offset:64
	s_waitcnt vmcnt(0)
	v_mul_f32_e32 v17, s9, v17
	v_fmac_f32_e32 v17, s4, v16
	global_store_dword v[4:5], v17, off offset:64
	global_load_dword v16, v[6:7], off offset:128
	s_waitcnt vmcnt(0)
	v_mul_f32_e32 v16, s9, v16
	v_fmac_f32_e32 v16, s4, v15
	global_store_dword v[4:5], v16, off offset:128
	global_load_dword v6, v[6:7], off offset:192
	v_add_co_u32 v16, vcc_lo, v20, s2
	v_add_co_ci_u32_e64 v17, null, s3, v21, vcc_lo
	s_waitcnt vmcnt(0)
	v_mul_f32_e32 v15, s9, v6
	v_add_co_u32 v6, vcc_lo, v16, v0
	v_add_co_ci_u32_e64 v7, null, v17, v1, vcc_lo
	v_fmac_f32_e32 v15, s4, v14
	v_add_co_u32 v14, vcc_lo, v18, s0
	global_store_dword v[4:5], v15, off offset:192
	global_load_dword v4, v[6:7], off
	v_add_co_ci_u32_e64 v15, null, s1, v19, vcc_lo
	s_waitcnt vmcnt(0)
	v_mul_f32_e32 v18, s9, v4
	v_add_co_u32 v4, vcc_lo, v14, v0
	v_add_co_ci_u32_e64 v5, null, v15, v1, vcc_lo
	v_fmac_f32_e32 v18, s4, v13
	global_store_dword v[4:5], v18, off
	global_load_dword v13, v[6:7], off offset:64
	s_waitcnt vmcnt(0)
	v_mul_f32_e32 v13, s9, v13
	v_fmac_f32_e32 v13, s4, v12
	global_store_dword v[4:5], v13, off offset:64
	global_load_dword v12, v[6:7], off offset:128
	s_waitcnt vmcnt(0)
	v_mul_f32_e32 v12, s9, v12
	v_fmac_f32_e32 v12, s4, v11
	global_store_dword v[4:5], v12, off offset:128
	global_load_dword v6, v[6:7], off offset:192
	s_waitcnt vmcnt(0)
	v_mul_f32_e32 v11, s9, v6
	v_add_co_u32 v6, vcc_lo, v16, s2
	v_add_co_ci_u32_e64 v7, null, s3, v17, vcc_lo
	v_fmac_f32_e32 v11, s4, v10
	v_add_co_u32 v6, vcc_lo, v6, v0
	v_add_co_ci_u32_e64 v7, null, v7, v1, vcc_lo
	global_store_dword v[4:5], v11, off offset:192
	v_add_co_u32 v5, vcc_lo, v14, s0
	global_load_dword v4, v[6:7], off
	v_add_co_ci_u32_e64 v10, null, s1, v15, vcc_lo
	v_add_co_u32 v0, vcc_lo, v5, v0
	v_add_co_ci_u32_e64 v1, null, v10, v1, vcc_lo
	s_waitcnt vmcnt(0)
	v_mul_f32_e32 v4, s9, v4
	v_fmac_f32_e32 v4, s4, v9
	global_store_dword v[0:1], v4, off
	global_load_dword v4, v[6:7], off offset:64
	s_waitcnt vmcnt(0)
	v_mul_f32_e32 v4, s9, v4
	v_fmac_f32_e32 v4, s4, v8
	global_store_dword v[0:1], v4, off offset:64
	global_load_dword v4, v[6:7], off offset:128
	s_waitcnt vmcnt(0)
	v_mul_f32_e32 v4, s9, v4
	v_fmac_f32_e32 v4, s4, v2
	global_store_dword v[0:1], v4, off offset:128
	global_load_dword v2, v[6:7], off offset:192
	s_waitcnt vmcnt(0)
	v_mul_f32_e32 v2, s9, v2
	v_fmac_f32_e32 v2, s4, v3
	global_store_dword v[0:1], v2, off offset:192
.LBB309_6:
	s_endpgm
.LBB309_7:
	s_branch .LBB309_5
	.section	.rodata,"a",@progbits
	.p2align	6, 0x0
	.amdhsa_kernel _ZN12_GLOBAL__N_127rocblas_gemm_batched_kernelIfLi16ELi16ELi64ELi64ELi4ELi64ELi4ELi4ELi64ELc78ELc84EKfS1_fEEvlllT_PT11_llS4_llS2_PT12_llPT13_lli
		.amdhsa_group_segment_fixed_size 2048
		.amdhsa_private_segment_fixed_size 0
		.amdhsa_kernarg_size 140
		.amdhsa_user_sgpr_count 6
		.amdhsa_user_sgpr_private_segment_buffer 1
		.amdhsa_user_sgpr_dispatch_ptr 0
		.amdhsa_user_sgpr_queue_ptr 0
		.amdhsa_user_sgpr_kernarg_segment_ptr 1
		.amdhsa_user_sgpr_dispatch_id 0
		.amdhsa_user_sgpr_flat_scratch_init 0
		.amdhsa_user_sgpr_private_segment_size 0
		.amdhsa_wavefront_size32 1
		.amdhsa_uses_dynamic_stack 0
		.amdhsa_system_sgpr_private_segment_wavefront_offset 0
		.amdhsa_system_sgpr_workgroup_id_x 1
		.amdhsa_system_sgpr_workgroup_id_y 1
		.amdhsa_system_sgpr_workgroup_id_z 1
		.amdhsa_system_sgpr_workgroup_info 0
		.amdhsa_system_vgpr_workitem_id 1
		.amdhsa_next_free_vgpr 58
		.amdhsa_next_free_sgpr 23
		.amdhsa_reserve_vcc 1
		.amdhsa_reserve_flat_scratch 0
		.amdhsa_float_round_mode_32 0
		.amdhsa_float_round_mode_16_64 0
		.amdhsa_float_denorm_mode_32 3
		.amdhsa_float_denorm_mode_16_64 3
		.amdhsa_dx10_clamp 1
		.amdhsa_ieee_mode 1
		.amdhsa_fp16_overflow 0
		.amdhsa_workgroup_processor_mode 1
		.amdhsa_memory_ordered 1
		.amdhsa_forward_progress 1
		.amdhsa_shared_vgpr_count 0
		.amdhsa_exception_fp_ieee_invalid_op 0
		.amdhsa_exception_fp_denorm_src 0
		.amdhsa_exception_fp_ieee_div_zero 0
		.amdhsa_exception_fp_ieee_overflow 0
		.amdhsa_exception_fp_ieee_underflow 0
		.amdhsa_exception_fp_ieee_inexact 0
		.amdhsa_exception_int_div_zero 0
	.end_amdhsa_kernel
	.section	.text._ZN12_GLOBAL__N_127rocblas_gemm_batched_kernelIfLi16ELi16ELi64ELi64ELi4ELi64ELi4ELi4ELi64ELc78ELc84EKfS1_fEEvlllT_PT11_llS4_llS2_PT12_llPT13_lli,"axG",@progbits,_ZN12_GLOBAL__N_127rocblas_gemm_batched_kernelIfLi16ELi16ELi64ELi64ELi4ELi64ELi4ELi4ELi64ELc78ELc84EKfS1_fEEvlllT_PT11_llS4_llS2_PT12_llPT13_lli,comdat
.Lfunc_end309:
	.size	_ZN12_GLOBAL__N_127rocblas_gemm_batched_kernelIfLi16ELi16ELi64ELi64ELi4ELi64ELi4ELi4ELi64ELc78ELc84EKfS1_fEEvlllT_PT11_llS4_llS2_PT12_llPT13_lli, .Lfunc_end309-_ZN12_GLOBAL__N_127rocblas_gemm_batched_kernelIfLi16ELi16ELi64ELi64ELi4ELi64ELi4ELi4ELi64ELc78ELc84EKfS1_fEEvlllT_PT11_llS4_llS2_PT12_llPT13_lli
                                        ; -- End function
	.set _ZN12_GLOBAL__N_127rocblas_gemm_batched_kernelIfLi16ELi16ELi64ELi64ELi4ELi64ELi4ELi4ELi64ELc78ELc84EKfS1_fEEvlllT_PT11_llS4_llS2_PT12_llPT13_lli.num_vgpr, 58
	.set _ZN12_GLOBAL__N_127rocblas_gemm_batched_kernelIfLi16ELi16ELi64ELi64ELi4ELi64ELi4ELi4ELi64ELc78ELc84EKfS1_fEEvlllT_PT11_llS4_llS2_PT12_llPT13_lli.num_agpr, 0
	.set _ZN12_GLOBAL__N_127rocblas_gemm_batched_kernelIfLi16ELi16ELi64ELi64ELi4ELi64ELi4ELi4ELi64ELc78ELc84EKfS1_fEEvlllT_PT11_llS4_llS2_PT12_llPT13_lli.numbered_sgpr, 23
	.set _ZN12_GLOBAL__N_127rocblas_gemm_batched_kernelIfLi16ELi16ELi64ELi64ELi4ELi64ELi4ELi4ELi64ELc78ELc84EKfS1_fEEvlllT_PT11_llS4_llS2_PT12_llPT13_lli.num_named_barrier, 0
	.set _ZN12_GLOBAL__N_127rocblas_gemm_batched_kernelIfLi16ELi16ELi64ELi64ELi4ELi64ELi4ELi4ELi64ELc78ELc84EKfS1_fEEvlllT_PT11_llS4_llS2_PT12_llPT13_lli.private_seg_size, 0
	.set _ZN12_GLOBAL__N_127rocblas_gemm_batched_kernelIfLi16ELi16ELi64ELi64ELi4ELi64ELi4ELi4ELi64ELc78ELc84EKfS1_fEEvlllT_PT11_llS4_llS2_PT12_llPT13_lli.uses_vcc, 1
	.set _ZN12_GLOBAL__N_127rocblas_gemm_batched_kernelIfLi16ELi16ELi64ELi64ELi4ELi64ELi4ELi4ELi64ELc78ELc84EKfS1_fEEvlllT_PT11_llS4_llS2_PT12_llPT13_lli.uses_flat_scratch, 0
	.set _ZN12_GLOBAL__N_127rocblas_gemm_batched_kernelIfLi16ELi16ELi64ELi64ELi4ELi64ELi4ELi4ELi64ELc78ELc84EKfS1_fEEvlllT_PT11_llS4_llS2_PT12_llPT13_lli.has_dyn_sized_stack, 0
	.set _ZN12_GLOBAL__N_127rocblas_gemm_batched_kernelIfLi16ELi16ELi64ELi64ELi4ELi64ELi4ELi4ELi64ELc78ELc84EKfS1_fEEvlllT_PT11_llS4_llS2_PT12_llPT13_lli.has_recursion, 0
	.set _ZN12_GLOBAL__N_127rocblas_gemm_batched_kernelIfLi16ELi16ELi64ELi64ELi4ELi64ELi4ELi4ELi64ELc78ELc84EKfS1_fEEvlllT_PT11_llS4_llS2_PT12_llPT13_lli.has_indirect_call, 0
	.section	.AMDGPU.csdata,"",@progbits
; Kernel info:
; codeLenInByte = 2248
; TotalNumSgprs: 25
; NumVgprs: 58
; ScratchSize: 0
; MemoryBound: 0
; FloatMode: 240
; IeeeMode: 1
; LDSByteSize: 2048 bytes/workgroup (compile time only)
; SGPRBlocks: 0
; VGPRBlocks: 7
; NumSGPRsForWavesPerEU: 25
; NumVGPRsForWavesPerEU: 58
; Occupancy: 16
; WaveLimiterHint : 0
; COMPUTE_PGM_RSRC2:SCRATCH_EN: 0
; COMPUTE_PGM_RSRC2:USER_SGPR: 6
; COMPUTE_PGM_RSRC2:TRAP_HANDLER: 0
; COMPUTE_PGM_RSRC2:TGID_X_EN: 1
; COMPUTE_PGM_RSRC2:TGID_Y_EN: 1
; COMPUTE_PGM_RSRC2:TGID_Z_EN: 1
; COMPUTE_PGM_RSRC2:TIDIG_COMP_CNT: 1
	.section	.text._ZN12_GLOBAL__N_127rocblas_gemm_batched_kernelIfLi16ELi16ELi64ELi64ELi4ELi64ELi4ELi4ELi64ELc84ELc84EKfS1_fEEvlllT_PT11_llS4_llS2_PT12_llPT13_lli,"axG",@progbits,_ZN12_GLOBAL__N_127rocblas_gemm_batched_kernelIfLi16ELi16ELi64ELi64ELi4ELi64ELi4ELi4ELi64ELc84ELc84EKfS1_fEEvlllT_PT11_llS4_llS2_PT12_llPT13_lli,comdat
	.globl	_ZN12_GLOBAL__N_127rocblas_gemm_batched_kernelIfLi16ELi16ELi64ELi64ELi4ELi64ELi4ELi4ELi64ELc84ELc84EKfS1_fEEvlllT_PT11_llS4_llS2_PT12_llPT13_lli ; -- Begin function _ZN12_GLOBAL__N_127rocblas_gemm_batched_kernelIfLi16ELi16ELi64ELi64ELi4ELi64ELi4ELi4ELi64ELc84ELc84EKfS1_fEEvlllT_PT11_llS4_llS2_PT12_llPT13_lli
	.p2align	8
	.type	_ZN12_GLOBAL__N_127rocblas_gemm_batched_kernelIfLi16ELi16ELi64ELi64ELi4ELi64ELi4ELi4ELi64ELc84ELc84EKfS1_fEEvlllT_PT11_llS4_llS2_PT12_llPT13_lli,@function
_ZN12_GLOBAL__N_127rocblas_gemm_batched_kernelIfLi16ELi16ELi64ELi64ELi4ELi64ELi4ELi4ELi64ELc84ELc84EKfS1_fEEvlllT_PT11_llS4_llS2_PT12_llPT13_lli: ; @_ZN12_GLOBAL__N_127rocblas_gemm_batched_kernelIfLi16ELi16ELi64ELi64ELi4ELi64ELi4ELi4ELi64ELc84ELc84EKfS1_fEEvlllT_PT11_llS4_llS2_PT12_llPT13_lli
; %bb.0:
	s_load_dwordx2 s[20:21], s[4:5], 0x10
	s_mov_b32 s0, s7
	v_mov_b32_e32 v19, 0
	v_mov_b32_e32 v21, 0
	v_mov_b32_e32 v20, 0
	v_mov_b32_e32 v18, 0
	v_mov_b32_e32 v17, 0
	v_mov_b32_e32 v16, 0
	v_mov_b32_e32 v15, 0
	v_mov_b32_e32 v14, 0
	v_mov_b32_e32 v13, 0
	v_mov_b32_e32 v12, 0
	v_mov_b32_e32 v11, 0
	v_mov_b32_e32 v10, 0
	v_mov_b32_e32 v9, 0
	v_mov_b32_e32 v8, 0
	v_mov_b32_e32 v2, 0
	v_mov_b32_e32 v3, 0
	s_ashr_i32 s7, s6, 31
	s_ashr_i32 s1, s0, 31
	s_waitcnt lgkmcnt(0)
	v_cmp_lt_i64_e64 s2, s[20:21], 1
	s_lshl_b64 s[6:7], s[6:7], 6
	s_lshl_b64 s[10:11], s[0:1], 6
	s_and_b32 vcc_lo, exec_lo, s2
	s_cbranch_vccnz .LBB310_3
; %bb.1:
	v_lshlrev_b32_e32 v4, 4, v1
	s_clause 0x1
	s_load_dwordx4 s[0:3], s[4:5], 0x40
	s_load_dwordx8 s[12:19], s[4:5], 0x20
	v_and_b32_e32 v8, 3, v0
	v_mov_b32_e32 v3, 0
	v_add_nc_u32_e32 v5, v4, v0
	v_add_nc_u32_e32 v23, 0x400, v4
	v_lshlrev_b32_e32 v22, 2, v0
	v_lshlrev_b32_e32 v6, 2, v8
	v_mov_b32_e32 v13, v3
	v_and_b32_e32 v7, 63, v5
	v_lshrrev_b32_e32 v2, 2, v5
	v_lshrrev_b32_e32 v10, 6, v5
	v_mov_b32_e32 v14, v3
	v_mov_b32_e32 v15, v3
	v_lshlrev_b32_e32 v4, 2, v7
	v_lshl_or_b32 v9, v2, 4, v6
	v_add_co_u32 v6, s9, s6, v7
	v_add_co_ci_u32_e64 v7, null, s7, 0, s9
	v_lshl_or_b32 v24, v10, 8, v4
	s_waitcnt lgkmcnt(0)
	v_mad_u64_u32 v[4:5], null, s0, v8, v[2:3]
	v_mul_lo_u32 v11, s15, v6
	v_mul_lo_u32 v12, s14, v7
	v_mad_u64_u32 v[6:7], null, s14, v6, 0
	s_mul_i32 s3, s3, s8
	s_mul_hi_u32 s9, s2, s8
	v_mov_b32_e32 v2, v5
	s_mul_i32 s2, s2, s8
	s_add_i32 s3, s9, s3
	v_add_nc_u32_e32 v25, 0x400, v9
	v_add3_u32 v7, v7, v12, v11
	v_mad_u64_u32 v[8:9], null, s1, v8, v[2:3]
	s_lshl_b64 s[2:3], s[2:3], 2
	v_lshlrev_b32_e32 v2, 2, v10
	s_add_u32 s9, s18, s2
	s_addc_u32 s14, s19, s3
	s_mul_i32 s2, s17, s8
	s_mul_hi_u32 s3, s16, s8
	v_lshlrev_b64 v[5:6], 2, v[6:7]
	v_add_co_u32 v7, vcc_lo, v4, s10
	s_add_i32 s3, s3, s2
	s_mul_i32 s2, s16, s8
	v_add_co_ci_u32_e64 v8, null, s11, v8, vcc_lo
	s_lshl_b64 s[2:3], s[2:3], 2
	v_mov_b32_e32 v10, v3
	v_add_co_u32 v9, vcc_lo, v5, s2
	v_add_co_ci_u32_e64 v6, null, s3, v6, vcc_lo
	v_lshlrev_b64 v[4:5], 2, v[7:8]
	v_add_co_u32 v2, vcc_lo, v9, v2
	v_add_co_ci_u32_e64 v7, null, 0, v6, vcc_lo
	v_mov_b32_e32 v8, v3
	v_add_co_u32 v4, vcc_lo, s9, v4
	v_add_co_ci_u32_e64 v5, null, s14, v5, vcc_lo
	v_add_co_u32 v6, vcc_lo, s12, v2
	v_add_co_ci_u32_e64 v7, null, s13, v7, vcc_lo
	v_mov_b32_e32 v2, v3
	v_mov_b32_e32 v9, v3
	v_mov_b32_e32 v11, v3
	v_mov_b32_e32 v12, v3
	v_mov_b32_e32 v16, v3
	v_mov_b32_e32 v17, v3
	v_mov_b32_e32 v18, v3
	v_mov_b32_e32 v20, v3
	v_mov_b32_e32 v21, v3
	v_mov_b32_e32 v19, v3
	s_lshl_b64 s[0:1], s[0:1], 4
	s_mov_b64 s[2:3], 0
.LBB310_2:                              ; =>This Inner Loop Header: Depth=1
	global_load_dword v26, v[6:7], off
	global_load_dword v27, v[4:5], off
	s_add_u32 s2, s2, 4
	s_addc_u32 s3, s3, 0
	v_add_co_u32 v4, vcc_lo, v4, s0
	v_cmp_lt_i64_e64 s9, s[2:3], s[20:21]
	v_add_co_ci_u32_e64 v5, null, s1, v5, vcc_lo
	v_add_co_u32 v6, vcc_lo, v6, 16
	v_add_co_ci_u32_e64 v7, null, 0, v7, vcc_lo
	s_and_b32 vcc_lo, exec_lo, s9
	s_waitcnt vmcnt(1)
	ds_write_b32 v24, v26
	s_waitcnt vmcnt(0)
	ds_write_b32 v25, v27
	s_waitcnt lgkmcnt(0)
	s_barrier
	buffer_gl0_inv
	ds_read_b128 v[26:29], v23
	ds_read2_b32 v[42:43], v22 offset1:16
	ds_read2_b32 v[44:45], v22 offset0:32 offset1:48
	ds_read_b128 v[30:33], v23 offset:256
	ds_read_b128 v[34:37], v23 offset:512
	;; [unrolled: 1-line block ×3, first 2 shown]
	ds_read2_b32 v[46:47], v22 offset0:64 offset1:80
	ds_read2_b32 v[48:49], v22 offset0:96 offset1:112
	;; [unrolled: 1-line block ×6, first 2 shown]
	s_waitcnt lgkmcnt(0)
	s_barrier
	buffer_gl0_inv
	v_fmac_f32_e32 v19, v42, v26
	v_fmac_f32_e32 v21, v43, v26
	;; [unrolled: 1-line block ×64, first 2 shown]
	s_cbranch_vccnz .LBB310_2
.LBB310_3:
	s_clause 0x3
	s_load_dwordx4 s[0:3], s[4:5], 0x78
	s_load_dword s9, s[4:5], 0x50
	s_load_dwordx8 s[12:19], s[4:5], 0x58
	s_load_dword s4, s[4:5], 0x18
	v_add_co_u32 v5, s5, s6, v0
	v_add_co_ci_u32_e64 v6, null, s7, 0, s5
	v_add_co_u32 v4, s5, s10, v1
	v_add_co_ci_u32_e64 v7, null, s11, 0, s5
	v_lshlrev_b64 v[0:1], 2, v[5:6]
	s_waitcnt lgkmcnt(0)
	s_mul_i32 s3, s3, s8
	s_mul_hi_u32 s5, s2, s8
	v_mul_lo_u32 v5, v7, s0
	v_mul_lo_u32 v6, v4, s1
	s_mul_i32 s2, s2, s8
	v_cmp_neq_f32_e64 s6, s9, 0
	s_add_i32 s3, s5, s3
	s_mov_b32 s5, 0
	s_lshl_b64 s[2:3], s[2:3], 2
	s_add_u32 s2, s18, s2
	s_addc_u32 s3, s19, s3
	s_and_b32 vcc_lo, exec_lo, s6
	s_cbranch_vccnz .LBB310_7
; %bb.4:
	v_mad_u64_u32 v[22:23], null, v4, s0, 0
	s_lshl_b64 s[6:7], s[0:1], 6
	v_mul_f32_e32 v26, s4, v19
	v_mul_f32_e32 v27, s4, v21
	;; [unrolled: 1-line block ×5, first 2 shown]
	v_add3_u32 v23, v23, v6, v5
	v_mul_f32_e32 v31, s4, v16
	v_mul_f32_e32 v32, s4, v15
	;; [unrolled: 1-line block ×3, first 2 shown]
	v_lshlrev_b64 v[22:23], 2, v[22:23]
	v_add_co_u32 v22, vcc_lo, s2, v22
	v_add_co_ci_u32_e64 v23, null, s3, v23, vcc_lo
	v_add_co_u32 v34, vcc_lo, v22, s6
	v_add_co_ci_u32_e64 v35, null, s7, v23, vcc_lo
	;; [unrolled: 2-line block ×4, first 2 shown]
	global_store_dword v[22:23], v26, off
	global_store_dword v[22:23], v27, off offset:64
	global_store_dword v[22:23], v28, off offset:128
	;; [unrolled: 1-line block ×3, first 2 shown]
	global_store_dword v[24:25], v30, off
	global_store_dword v[24:25], v31, off offset:64
	v_add_co_u32 v26, vcc_lo, v34, s6
	v_add_co_ci_u32_e64 v27, null, s7, v35, vcc_lo
	v_mul_f32_e32 v28, s4, v13
	v_add_co_u32 v22, vcc_lo, v26, v0
	v_add_co_ci_u32_e64 v23, null, v27, v1, vcc_lo
	v_mul_f32_e32 v29, s4, v12
	v_mul_f32_e32 v30, s4, v11
	global_store_dword v[24:25], v32, off offset:128
	global_store_dword v[24:25], v33, off offset:192
	global_store_dword v[22:23], v28, off
	global_store_dword v[22:23], v29, off offset:64
	global_store_dword v[22:23], v30, off offset:128
	v_add_co_u32 v24, vcc_lo, v26, s6
	v_add_co_ci_u32_e64 v25, null, s7, v27, vcc_lo
	v_mul_f32_e32 v28, s4, v10
	v_add_co_u32 v24, vcc_lo, v24, v0
	v_mul_f32_e32 v26, s4, v9
	v_add_co_ci_u32_e64 v25, null, v25, v1, vcc_lo
	v_mul_f32_e32 v27, s4, v8
	v_mul_f32_e32 v29, s4, v2
	;; [unrolled: 1-line block ×3, first 2 shown]
	global_store_dword v[22:23], v28, off offset:192
	global_store_dword v[24:25], v26, off
	global_store_dword v[24:25], v27, off offset:64
	global_store_dword v[24:25], v29, off offset:128
	global_store_dword v[24:25], v30, off offset:192
	s_andn2_b32 vcc_lo, exec_lo, s5
	s_cbranch_vccnz .LBB310_6
.LBB310_5:
	v_mul_lo_u32 v7, v7, s14
	v_mul_lo_u32 v24, v4, s15
	v_mad_u64_u32 v[22:23], null, v4, s14, 0
	s_mul_i32 s5, s17, s8
	s_mul_hi_u32 s7, s16, s8
	s_mul_i32 s6, s16, s8
	s_add_i32 s7, s7, s5
	s_lshl_b64 s[6:7], s[6:7], 2
	v_add3_u32 v23, v23, v24, v7
	s_add_u32 s5, s12, s6
	s_addc_u32 s6, s13, s7
	v_mad_u64_u32 v[24:25], null, v4, s0, 0
	v_lshlrev_b64 v[22:23], 2, v[22:23]
	s_lshl_b64 s[0:1], s[0:1], 6
	v_add3_u32 v25, v25, v6, v5
	v_add_co_u32 v7, vcc_lo, s5, v22
	v_add_co_ci_u32_e64 v26, null, s6, v23, vcc_lo
	v_lshlrev_b64 v[4:5], 2, v[24:25]
	v_add_co_u32 v22, vcc_lo, v7, v0
	v_add_co_ci_u32_e64 v23, null, v26, v1, vcc_lo
	v_add_co_u32 v24, vcc_lo, s2, v4
	global_load_dword v27, v[22:23], off
	v_add_co_ci_u32_e64 v25, null, s3, v5, vcc_lo
	v_add_co_u32 v4, vcc_lo, v24, v0
	s_lshl_b64 s[2:3], s[14:15], 6
	v_add_co_ci_u32_e64 v5, null, v25, v1, vcc_lo
	s_waitcnt vmcnt(0)
	v_mul_f32_e32 v6, s9, v27
	v_fmac_f32_e32 v6, s4, v19
	global_store_dword v[4:5], v6, off
	global_load_dword v6, v[22:23], off offset:64
	s_waitcnt vmcnt(0)
	v_mul_f32_e32 v6, s9, v6
	v_fmac_f32_e32 v6, s4, v21
	global_store_dword v[4:5], v6, off offset:64
	global_load_dword v6, v[22:23], off offset:128
	s_waitcnt vmcnt(0)
	v_mul_f32_e32 v6, s9, v6
	v_fmac_f32_e32 v6, s4, v20
	v_add_co_u32 v20, vcc_lo, v7, s2
	v_add_co_ci_u32_e64 v21, null, s3, v26, vcc_lo
	global_store_dword v[4:5], v6, off offset:128
	global_load_dword v6, v[22:23], off offset:192
	s_waitcnt vmcnt(0)
	v_mul_f32_e32 v19, s9, v6
	v_add_co_u32 v6, vcc_lo, v20, v0
	v_add_co_ci_u32_e64 v7, null, v21, v1, vcc_lo
	v_fmac_f32_e32 v19, s4, v18
	v_add_co_u32 v18, vcc_lo, v24, s0
	global_store_dword v[4:5], v19, off offset:192
	global_load_dword v4, v[6:7], off
	v_add_co_ci_u32_e64 v19, null, s1, v25, vcc_lo
	s_waitcnt vmcnt(0)
	v_mul_f32_e32 v22, s9, v4
	v_add_co_u32 v4, vcc_lo, v18, v0
	v_add_co_ci_u32_e64 v5, null, v19, v1, vcc_lo
	v_fmac_f32_e32 v22, s4, v17
	global_store_dword v[4:5], v22, off
	global_load_dword v17, v[6:7], off offset:64
	s_waitcnt vmcnt(0)
	v_mul_f32_e32 v17, s9, v17
	v_fmac_f32_e32 v17, s4, v16
	global_store_dword v[4:5], v17, off offset:64
	global_load_dword v16, v[6:7], off offset:128
	s_waitcnt vmcnt(0)
	v_mul_f32_e32 v16, s9, v16
	v_fmac_f32_e32 v16, s4, v15
	global_store_dword v[4:5], v16, off offset:128
	global_load_dword v6, v[6:7], off offset:192
	v_add_co_u32 v16, vcc_lo, v20, s2
	v_add_co_ci_u32_e64 v17, null, s3, v21, vcc_lo
	s_waitcnt vmcnt(0)
	v_mul_f32_e32 v15, s9, v6
	v_add_co_u32 v6, vcc_lo, v16, v0
	v_add_co_ci_u32_e64 v7, null, v17, v1, vcc_lo
	v_fmac_f32_e32 v15, s4, v14
	v_add_co_u32 v14, vcc_lo, v18, s0
	global_store_dword v[4:5], v15, off offset:192
	global_load_dword v4, v[6:7], off
	v_add_co_ci_u32_e64 v15, null, s1, v19, vcc_lo
	s_waitcnt vmcnt(0)
	v_mul_f32_e32 v18, s9, v4
	v_add_co_u32 v4, vcc_lo, v14, v0
	v_add_co_ci_u32_e64 v5, null, v15, v1, vcc_lo
	v_fmac_f32_e32 v18, s4, v13
	global_store_dword v[4:5], v18, off
	global_load_dword v13, v[6:7], off offset:64
	s_waitcnt vmcnt(0)
	v_mul_f32_e32 v13, s9, v13
	v_fmac_f32_e32 v13, s4, v12
	global_store_dword v[4:5], v13, off offset:64
	global_load_dword v12, v[6:7], off offset:128
	s_waitcnt vmcnt(0)
	v_mul_f32_e32 v12, s9, v12
	v_fmac_f32_e32 v12, s4, v11
	global_store_dword v[4:5], v12, off offset:128
	global_load_dword v6, v[6:7], off offset:192
	s_waitcnt vmcnt(0)
	v_mul_f32_e32 v11, s9, v6
	v_add_co_u32 v6, vcc_lo, v16, s2
	v_add_co_ci_u32_e64 v7, null, s3, v17, vcc_lo
	v_fmac_f32_e32 v11, s4, v10
	v_add_co_u32 v6, vcc_lo, v6, v0
	v_add_co_ci_u32_e64 v7, null, v7, v1, vcc_lo
	global_store_dword v[4:5], v11, off offset:192
	v_add_co_u32 v5, vcc_lo, v14, s0
	global_load_dword v4, v[6:7], off
	v_add_co_ci_u32_e64 v10, null, s1, v15, vcc_lo
	v_add_co_u32 v0, vcc_lo, v5, v0
	v_add_co_ci_u32_e64 v1, null, v10, v1, vcc_lo
	s_waitcnt vmcnt(0)
	v_mul_f32_e32 v4, s9, v4
	v_fmac_f32_e32 v4, s4, v9
	global_store_dword v[0:1], v4, off
	global_load_dword v4, v[6:7], off offset:64
	s_waitcnt vmcnt(0)
	v_mul_f32_e32 v4, s9, v4
	v_fmac_f32_e32 v4, s4, v8
	global_store_dword v[0:1], v4, off offset:64
	global_load_dword v4, v[6:7], off offset:128
	s_waitcnt vmcnt(0)
	v_mul_f32_e32 v4, s9, v4
	v_fmac_f32_e32 v4, s4, v2
	global_store_dword v[0:1], v4, off offset:128
	;; [unrolled: 5-line block ×3, first 2 shown]
.LBB310_6:
	s_endpgm
.LBB310_7:
	s_branch .LBB310_5
	.section	.rodata,"a",@progbits
	.p2align	6, 0x0
	.amdhsa_kernel _ZN12_GLOBAL__N_127rocblas_gemm_batched_kernelIfLi16ELi16ELi64ELi64ELi4ELi64ELi4ELi4ELi64ELc84ELc84EKfS1_fEEvlllT_PT11_llS4_llS2_PT12_llPT13_lli
		.amdhsa_group_segment_fixed_size 2048
		.amdhsa_private_segment_fixed_size 0
		.amdhsa_kernarg_size 140
		.amdhsa_user_sgpr_count 6
		.amdhsa_user_sgpr_private_segment_buffer 1
		.amdhsa_user_sgpr_dispatch_ptr 0
		.amdhsa_user_sgpr_queue_ptr 0
		.amdhsa_user_sgpr_kernarg_segment_ptr 1
		.amdhsa_user_sgpr_dispatch_id 0
		.amdhsa_user_sgpr_flat_scratch_init 0
		.amdhsa_user_sgpr_private_segment_size 0
		.amdhsa_wavefront_size32 1
		.amdhsa_uses_dynamic_stack 0
		.amdhsa_system_sgpr_private_segment_wavefront_offset 0
		.amdhsa_system_sgpr_workgroup_id_x 1
		.amdhsa_system_sgpr_workgroup_id_y 1
		.amdhsa_system_sgpr_workgroup_id_z 1
		.amdhsa_system_sgpr_workgroup_info 0
		.amdhsa_system_vgpr_workitem_id 1
		.amdhsa_next_free_vgpr 58
		.amdhsa_next_free_sgpr 22
		.amdhsa_reserve_vcc 1
		.amdhsa_reserve_flat_scratch 0
		.amdhsa_float_round_mode_32 0
		.amdhsa_float_round_mode_16_64 0
		.amdhsa_float_denorm_mode_32 3
		.amdhsa_float_denorm_mode_16_64 3
		.amdhsa_dx10_clamp 1
		.amdhsa_ieee_mode 1
		.amdhsa_fp16_overflow 0
		.amdhsa_workgroup_processor_mode 1
		.amdhsa_memory_ordered 1
		.amdhsa_forward_progress 1
		.amdhsa_shared_vgpr_count 0
		.amdhsa_exception_fp_ieee_invalid_op 0
		.amdhsa_exception_fp_denorm_src 0
		.amdhsa_exception_fp_ieee_div_zero 0
		.amdhsa_exception_fp_ieee_overflow 0
		.amdhsa_exception_fp_ieee_underflow 0
		.amdhsa_exception_fp_ieee_inexact 0
		.amdhsa_exception_int_div_zero 0
	.end_amdhsa_kernel
	.section	.text._ZN12_GLOBAL__N_127rocblas_gemm_batched_kernelIfLi16ELi16ELi64ELi64ELi4ELi64ELi4ELi4ELi64ELc84ELc84EKfS1_fEEvlllT_PT11_llS4_llS2_PT12_llPT13_lli,"axG",@progbits,_ZN12_GLOBAL__N_127rocblas_gemm_batched_kernelIfLi16ELi16ELi64ELi64ELi4ELi64ELi4ELi4ELi64ELc84ELc84EKfS1_fEEvlllT_PT11_llS4_llS2_PT12_llPT13_lli,comdat
.Lfunc_end310:
	.size	_ZN12_GLOBAL__N_127rocblas_gemm_batched_kernelIfLi16ELi16ELi64ELi64ELi4ELi64ELi4ELi4ELi64ELc84ELc84EKfS1_fEEvlllT_PT11_llS4_llS2_PT12_llPT13_lli, .Lfunc_end310-_ZN12_GLOBAL__N_127rocblas_gemm_batched_kernelIfLi16ELi16ELi64ELi64ELi4ELi64ELi4ELi4ELi64ELc84ELc84EKfS1_fEEvlllT_PT11_llS4_llS2_PT12_llPT13_lli
                                        ; -- End function
	.set _ZN12_GLOBAL__N_127rocblas_gemm_batched_kernelIfLi16ELi16ELi64ELi64ELi4ELi64ELi4ELi4ELi64ELc84ELc84EKfS1_fEEvlllT_PT11_llS4_llS2_PT12_llPT13_lli.num_vgpr, 58
	.set _ZN12_GLOBAL__N_127rocblas_gemm_batched_kernelIfLi16ELi16ELi64ELi64ELi4ELi64ELi4ELi4ELi64ELc84ELc84EKfS1_fEEvlllT_PT11_llS4_llS2_PT12_llPT13_lli.num_agpr, 0
	.set _ZN12_GLOBAL__N_127rocblas_gemm_batched_kernelIfLi16ELi16ELi64ELi64ELi4ELi64ELi4ELi4ELi64ELc84ELc84EKfS1_fEEvlllT_PT11_llS4_llS2_PT12_llPT13_lli.numbered_sgpr, 22
	.set _ZN12_GLOBAL__N_127rocblas_gemm_batched_kernelIfLi16ELi16ELi64ELi64ELi4ELi64ELi4ELi4ELi64ELc84ELc84EKfS1_fEEvlllT_PT11_llS4_llS2_PT12_llPT13_lli.num_named_barrier, 0
	.set _ZN12_GLOBAL__N_127rocblas_gemm_batched_kernelIfLi16ELi16ELi64ELi64ELi4ELi64ELi4ELi4ELi64ELc84ELc84EKfS1_fEEvlllT_PT11_llS4_llS2_PT12_llPT13_lli.private_seg_size, 0
	.set _ZN12_GLOBAL__N_127rocblas_gemm_batched_kernelIfLi16ELi16ELi64ELi64ELi4ELi64ELi4ELi4ELi64ELc84ELc84EKfS1_fEEvlllT_PT11_llS4_llS2_PT12_llPT13_lli.uses_vcc, 1
	.set _ZN12_GLOBAL__N_127rocblas_gemm_batched_kernelIfLi16ELi16ELi64ELi64ELi4ELi64ELi4ELi4ELi64ELc84ELc84EKfS1_fEEvlllT_PT11_llS4_llS2_PT12_llPT13_lli.uses_flat_scratch, 0
	.set _ZN12_GLOBAL__N_127rocblas_gemm_batched_kernelIfLi16ELi16ELi64ELi64ELi4ELi64ELi4ELi4ELi64ELc84ELc84EKfS1_fEEvlllT_PT11_llS4_llS2_PT12_llPT13_lli.has_dyn_sized_stack, 0
	.set _ZN12_GLOBAL__N_127rocblas_gemm_batched_kernelIfLi16ELi16ELi64ELi64ELi4ELi64ELi4ELi4ELi64ELc84ELc84EKfS1_fEEvlllT_PT11_llS4_llS2_PT12_llPT13_lli.has_recursion, 0
	.set _ZN12_GLOBAL__N_127rocblas_gemm_batched_kernelIfLi16ELi16ELi64ELi64ELi4ELi64ELi4ELi4ELi64ELc84ELc84EKfS1_fEEvlllT_PT11_llS4_llS2_PT12_llPT13_lli.has_indirect_call, 0
	.section	.AMDGPU.csdata,"",@progbits
; Kernel info:
; codeLenInByte = 2284
; TotalNumSgprs: 24
; NumVgprs: 58
; ScratchSize: 0
; MemoryBound: 0
; FloatMode: 240
; IeeeMode: 1
; LDSByteSize: 2048 bytes/workgroup (compile time only)
; SGPRBlocks: 0
; VGPRBlocks: 7
; NumSGPRsForWavesPerEU: 24
; NumVGPRsForWavesPerEU: 58
; Occupancy: 16
; WaveLimiterHint : 0
; COMPUTE_PGM_RSRC2:SCRATCH_EN: 0
; COMPUTE_PGM_RSRC2:USER_SGPR: 6
; COMPUTE_PGM_RSRC2:TRAP_HANDLER: 0
; COMPUTE_PGM_RSRC2:TGID_X_EN: 1
; COMPUTE_PGM_RSRC2:TGID_Y_EN: 1
; COMPUTE_PGM_RSRC2:TGID_Z_EN: 1
; COMPUTE_PGM_RSRC2:TIDIG_COMP_CNT: 1
	.section	.text._ZN12_GLOBAL__N_127rocblas_gemm_batched_kernelIfLi16ELi16ELi64ELi64ELi4ELi64ELi4ELi4ELi64ELc67ELc67EKfS1_fEEvlllT_PT11_llS4_llS2_PT12_llPT13_lli,"axG",@progbits,_ZN12_GLOBAL__N_127rocblas_gemm_batched_kernelIfLi16ELi16ELi64ELi64ELi4ELi64ELi4ELi4ELi64ELc67ELc67EKfS1_fEEvlllT_PT11_llS4_llS2_PT12_llPT13_lli,comdat
	.globl	_ZN12_GLOBAL__N_127rocblas_gemm_batched_kernelIfLi16ELi16ELi64ELi64ELi4ELi64ELi4ELi4ELi64ELc67ELc67EKfS1_fEEvlllT_PT11_llS4_llS2_PT12_llPT13_lli ; -- Begin function _ZN12_GLOBAL__N_127rocblas_gemm_batched_kernelIfLi16ELi16ELi64ELi64ELi4ELi64ELi4ELi4ELi64ELc67ELc67EKfS1_fEEvlllT_PT11_llS4_llS2_PT12_llPT13_lli
	.p2align	8
	.type	_ZN12_GLOBAL__N_127rocblas_gemm_batched_kernelIfLi16ELi16ELi64ELi64ELi4ELi64ELi4ELi4ELi64ELc67ELc67EKfS1_fEEvlllT_PT11_llS4_llS2_PT12_llPT13_lli,@function
_ZN12_GLOBAL__N_127rocblas_gemm_batched_kernelIfLi16ELi16ELi64ELi64ELi4ELi64ELi4ELi4ELi64ELc67ELc67EKfS1_fEEvlllT_PT11_llS4_llS2_PT12_llPT13_lli: ; @_ZN12_GLOBAL__N_127rocblas_gemm_batched_kernelIfLi16ELi16ELi64ELi64ELi4ELi64ELi4ELi4ELi64ELc67ELc67EKfS1_fEEvlllT_PT11_llS4_llS2_PT12_llPT13_lli
; %bb.0:
	s_load_dwordx2 s[20:21], s[4:5], 0x10
	s_mov_b32 s0, s7
	v_mov_b32_e32 v19, 0
	v_mov_b32_e32 v21, 0
	;; [unrolled: 1-line block ×16, first 2 shown]
	s_ashr_i32 s7, s6, 31
	s_ashr_i32 s1, s0, 31
	s_waitcnt lgkmcnt(0)
	v_cmp_lt_i64_e64 s2, s[20:21], 1
	s_lshl_b64 s[6:7], s[6:7], 6
	s_lshl_b64 s[10:11], s[0:1], 6
	s_and_b32 vcc_lo, exec_lo, s2
	s_cbranch_vccnz .LBB311_3
; %bb.1:
	v_lshlrev_b32_e32 v4, 4, v1
	s_clause 0x1
	s_load_dwordx4 s[0:3], s[4:5], 0x40
	s_load_dwordx8 s[12:19], s[4:5], 0x20
	v_and_b32_e32 v8, 3, v0
	v_mov_b32_e32 v3, 0
	v_add_nc_u32_e32 v5, v4, v0
	v_add_nc_u32_e32 v23, 0x400, v4
	v_lshlrev_b32_e32 v22, 2, v0
	v_lshlrev_b32_e32 v6, 2, v8
	v_mov_b32_e32 v13, v3
	v_and_b32_e32 v7, 63, v5
	v_lshrrev_b32_e32 v2, 2, v5
	v_lshrrev_b32_e32 v10, 6, v5
	v_mov_b32_e32 v14, v3
	v_mov_b32_e32 v15, v3
	v_lshlrev_b32_e32 v4, 2, v7
	v_lshl_or_b32 v9, v2, 4, v6
	v_add_co_u32 v6, s9, s6, v7
	v_add_co_ci_u32_e64 v7, null, s7, 0, s9
	v_lshl_or_b32 v24, v10, 8, v4
	s_waitcnt lgkmcnt(0)
	v_mad_u64_u32 v[4:5], null, s0, v8, v[2:3]
	v_mul_lo_u32 v11, s15, v6
	v_mul_lo_u32 v12, s14, v7
	v_mad_u64_u32 v[6:7], null, s14, v6, 0
	s_mul_i32 s3, s3, s8
	s_mul_hi_u32 s9, s2, s8
	v_mov_b32_e32 v2, v5
	s_mul_i32 s2, s2, s8
	s_add_i32 s3, s9, s3
	v_add_nc_u32_e32 v25, 0x400, v9
	v_add3_u32 v7, v7, v12, v11
	v_mad_u64_u32 v[8:9], null, s1, v8, v[2:3]
	s_lshl_b64 s[2:3], s[2:3], 2
	v_lshlrev_b32_e32 v2, 2, v10
	s_add_u32 s9, s18, s2
	s_addc_u32 s14, s19, s3
	s_mul_i32 s2, s17, s8
	s_mul_hi_u32 s3, s16, s8
	v_lshlrev_b64 v[5:6], 2, v[6:7]
	v_add_co_u32 v7, vcc_lo, v4, s10
	s_add_i32 s3, s3, s2
	s_mul_i32 s2, s16, s8
	v_add_co_ci_u32_e64 v8, null, s11, v8, vcc_lo
	s_lshl_b64 s[2:3], s[2:3], 2
	v_mov_b32_e32 v10, v3
	v_add_co_u32 v9, vcc_lo, v5, s2
	v_add_co_ci_u32_e64 v6, null, s3, v6, vcc_lo
	v_lshlrev_b64 v[4:5], 2, v[7:8]
	v_add_co_u32 v2, vcc_lo, v9, v2
	v_add_co_ci_u32_e64 v7, null, 0, v6, vcc_lo
	v_mov_b32_e32 v8, v3
	v_add_co_u32 v4, vcc_lo, s9, v4
	v_add_co_ci_u32_e64 v5, null, s14, v5, vcc_lo
	v_add_co_u32 v6, vcc_lo, s12, v2
	v_add_co_ci_u32_e64 v7, null, s13, v7, vcc_lo
	v_mov_b32_e32 v2, v3
	v_mov_b32_e32 v9, v3
	;; [unrolled: 1-line block ×10, first 2 shown]
	s_lshl_b64 s[0:1], s[0:1], 4
	s_mov_b64 s[2:3], 0
.LBB311_2:                              ; =>This Inner Loop Header: Depth=1
	global_load_dword v26, v[6:7], off
	global_load_dword v27, v[4:5], off
	s_add_u32 s2, s2, 4
	s_addc_u32 s3, s3, 0
	v_add_co_u32 v4, vcc_lo, v4, s0
	v_cmp_lt_i64_e64 s9, s[2:3], s[20:21]
	v_add_co_ci_u32_e64 v5, null, s1, v5, vcc_lo
	v_add_co_u32 v6, vcc_lo, v6, 16
	v_add_co_ci_u32_e64 v7, null, 0, v7, vcc_lo
	s_and_b32 vcc_lo, exec_lo, s9
	s_waitcnt vmcnt(1)
	ds_write_b32 v24, v26
	s_waitcnt vmcnt(0)
	ds_write_b32 v25, v27
	s_waitcnt lgkmcnt(0)
	s_barrier
	buffer_gl0_inv
	ds_read_b128 v[26:29], v23
	ds_read2_b32 v[42:43], v22 offset1:16
	ds_read2_b32 v[44:45], v22 offset0:32 offset1:48
	ds_read_b128 v[30:33], v23 offset:256
	ds_read_b128 v[34:37], v23 offset:512
	;; [unrolled: 1-line block ×3, first 2 shown]
	ds_read2_b32 v[46:47], v22 offset0:64 offset1:80
	ds_read2_b32 v[48:49], v22 offset0:96 offset1:112
	;; [unrolled: 1-line block ×6, first 2 shown]
	s_waitcnt lgkmcnt(0)
	s_barrier
	buffer_gl0_inv
	v_fmac_f32_e32 v19, v42, v26
	v_fmac_f32_e32 v21, v43, v26
	;; [unrolled: 1-line block ×64, first 2 shown]
	s_cbranch_vccnz .LBB311_2
.LBB311_3:
	s_clause 0x3
	s_load_dwordx4 s[0:3], s[4:5], 0x78
	s_load_dword s9, s[4:5], 0x50
	s_load_dwordx8 s[12:19], s[4:5], 0x58
	s_load_dword s4, s[4:5], 0x18
	v_add_co_u32 v5, s5, s6, v0
	v_add_co_ci_u32_e64 v6, null, s7, 0, s5
	v_add_co_u32 v4, s5, s10, v1
	v_add_co_ci_u32_e64 v7, null, s11, 0, s5
	v_lshlrev_b64 v[0:1], 2, v[5:6]
	s_waitcnt lgkmcnt(0)
	s_mul_i32 s3, s3, s8
	s_mul_hi_u32 s5, s2, s8
	v_mul_lo_u32 v5, v7, s0
	v_mul_lo_u32 v6, v4, s1
	s_mul_i32 s2, s2, s8
	v_cmp_neq_f32_e64 s6, s9, 0
	s_add_i32 s3, s5, s3
	s_mov_b32 s5, 0
	s_lshl_b64 s[2:3], s[2:3], 2
	s_add_u32 s2, s18, s2
	s_addc_u32 s3, s19, s3
	s_and_b32 vcc_lo, exec_lo, s6
	s_cbranch_vccnz .LBB311_7
; %bb.4:
	v_mad_u64_u32 v[22:23], null, v4, s0, 0
	s_lshl_b64 s[6:7], s[0:1], 6
	v_mul_f32_e32 v26, s4, v19
	v_mul_f32_e32 v27, s4, v21
	v_mul_f32_e32 v28, s4, v20
	v_mul_f32_e32 v29, s4, v18
	v_mul_f32_e32 v30, s4, v17
	v_add3_u32 v23, v23, v6, v5
	v_mul_f32_e32 v31, s4, v16
	v_mul_f32_e32 v32, s4, v15
	;; [unrolled: 1-line block ×3, first 2 shown]
	v_lshlrev_b64 v[22:23], 2, v[22:23]
	v_add_co_u32 v22, vcc_lo, s2, v22
	v_add_co_ci_u32_e64 v23, null, s3, v23, vcc_lo
	v_add_co_u32 v34, vcc_lo, v22, s6
	v_add_co_ci_u32_e64 v35, null, s7, v23, vcc_lo
	;; [unrolled: 2-line block ×4, first 2 shown]
	global_store_dword v[22:23], v26, off
	global_store_dword v[22:23], v27, off offset:64
	global_store_dword v[22:23], v28, off offset:128
	;; [unrolled: 1-line block ×3, first 2 shown]
	global_store_dword v[24:25], v30, off
	global_store_dword v[24:25], v31, off offset:64
	v_add_co_u32 v26, vcc_lo, v34, s6
	v_add_co_ci_u32_e64 v27, null, s7, v35, vcc_lo
	v_mul_f32_e32 v28, s4, v13
	v_add_co_u32 v22, vcc_lo, v26, v0
	v_add_co_ci_u32_e64 v23, null, v27, v1, vcc_lo
	v_mul_f32_e32 v29, s4, v12
	v_mul_f32_e32 v30, s4, v11
	global_store_dword v[24:25], v32, off offset:128
	global_store_dword v[24:25], v33, off offset:192
	global_store_dword v[22:23], v28, off
	global_store_dword v[22:23], v29, off offset:64
	global_store_dword v[22:23], v30, off offset:128
	v_add_co_u32 v24, vcc_lo, v26, s6
	v_add_co_ci_u32_e64 v25, null, s7, v27, vcc_lo
	v_mul_f32_e32 v28, s4, v10
	v_add_co_u32 v24, vcc_lo, v24, v0
	v_mul_f32_e32 v26, s4, v9
	v_add_co_ci_u32_e64 v25, null, v25, v1, vcc_lo
	v_mul_f32_e32 v27, s4, v8
	v_mul_f32_e32 v29, s4, v2
	;; [unrolled: 1-line block ×3, first 2 shown]
	global_store_dword v[22:23], v28, off offset:192
	global_store_dword v[24:25], v26, off
	global_store_dword v[24:25], v27, off offset:64
	global_store_dword v[24:25], v29, off offset:128
	;; [unrolled: 1-line block ×3, first 2 shown]
	s_andn2_b32 vcc_lo, exec_lo, s5
	s_cbranch_vccnz .LBB311_6
.LBB311_5:
	v_mul_lo_u32 v7, v7, s14
	v_mul_lo_u32 v24, v4, s15
	v_mad_u64_u32 v[22:23], null, v4, s14, 0
	s_mul_i32 s5, s17, s8
	s_mul_hi_u32 s7, s16, s8
	s_mul_i32 s6, s16, s8
	s_add_i32 s7, s7, s5
	s_lshl_b64 s[6:7], s[6:7], 2
	v_add3_u32 v23, v23, v24, v7
	s_add_u32 s5, s12, s6
	s_addc_u32 s6, s13, s7
	v_mad_u64_u32 v[24:25], null, v4, s0, 0
	v_lshlrev_b64 v[22:23], 2, v[22:23]
	s_lshl_b64 s[0:1], s[0:1], 6
	v_add3_u32 v25, v25, v6, v5
	v_add_co_u32 v7, vcc_lo, s5, v22
	v_add_co_ci_u32_e64 v26, null, s6, v23, vcc_lo
	v_lshlrev_b64 v[4:5], 2, v[24:25]
	v_add_co_u32 v22, vcc_lo, v7, v0
	v_add_co_ci_u32_e64 v23, null, v26, v1, vcc_lo
	v_add_co_u32 v24, vcc_lo, s2, v4
	global_load_dword v27, v[22:23], off
	v_add_co_ci_u32_e64 v25, null, s3, v5, vcc_lo
	v_add_co_u32 v4, vcc_lo, v24, v0
	s_lshl_b64 s[2:3], s[14:15], 6
	v_add_co_ci_u32_e64 v5, null, v25, v1, vcc_lo
	s_waitcnt vmcnt(0)
	v_mul_f32_e32 v6, s9, v27
	v_fmac_f32_e32 v6, s4, v19
	global_store_dword v[4:5], v6, off
	global_load_dword v6, v[22:23], off offset:64
	s_waitcnt vmcnt(0)
	v_mul_f32_e32 v6, s9, v6
	v_fmac_f32_e32 v6, s4, v21
	global_store_dword v[4:5], v6, off offset:64
	global_load_dword v6, v[22:23], off offset:128
	s_waitcnt vmcnt(0)
	v_mul_f32_e32 v6, s9, v6
	v_fmac_f32_e32 v6, s4, v20
	v_add_co_u32 v20, vcc_lo, v7, s2
	v_add_co_ci_u32_e64 v21, null, s3, v26, vcc_lo
	global_store_dword v[4:5], v6, off offset:128
	global_load_dword v6, v[22:23], off offset:192
	s_waitcnt vmcnt(0)
	v_mul_f32_e32 v19, s9, v6
	v_add_co_u32 v6, vcc_lo, v20, v0
	v_add_co_ci_u32_e64 v7, null, v21, v1, vcc_lo
	v_fmac_f32_e32 v19, s4, v18
	v_add_co_u32 v18, vcc_lo, v24, s0
	global_store_dword v[4:5], v19, off offset:192
	global_load_dword v4, v[6:7], off
	v_add_co_ci_u32_e64 v19, null, s1, v25, vcc_lo
	s_waitcnt vmcnt(0)
	v_mul_f32_e32 v22, s9, v4
	v_add_co_u32 v4, vcc_lo, v18, v0
	v_add_co_ci_u32_e64 v5, null, v19, v1, vcc_lo
	v_fmac_f32_e32 v22, s4, v17
	global_store_dword v[4:5], v22, off
	global_load_dword v17, v[6:7], off offset:64
	s_waitcnt vmcnt(0)
	v_mul_f32_e32 v17, s9, v17
	v_fmac_f32_e32 v17, s4, v16
	global_store_dword v[4:5], v17, off offset:64
	global_load_dword v16, v[6:7], off offset:128
	s_waitcnt vmcnt(0)
	v_mul_f32_e32 v16, s9, v16
	v_fmac_f32_e32 v16, s4, v15
	global_store_dword v[4:5], v16, off offset:128
	global_load_dword v6, v[6:7], off offset:192
	v_add_co_u32 v16, vcc_lo, v20, s2
	v_add_co_ci_u32_e64 v17, null, s3, v21, vcc_lo
	s_waitcnt vmcnt(0)
	v_mul_f32_e32 v15, s9, v6
	v_add_co_u32 v6, vcc_lo, v16, v0
	v_add_co_ci_u32_e64 v7, null, v17, v1, vcc_lo
	v_fmac_f32_e32 v15, s4, v14
	v_add_co_u32 v14, vcc_lo, v18, s0
	global_store_dword v[4:5], v15, off offset:192
	global_load_dword v4, v[6:7], off
	v_add_co_ci_u32_e64 v15, null, s1, v19, vcc_lo
	s_waitcnt vmcnt(0)
	v_mul_f32_e32 v18, s9, v4
	v_add_co_u32 v4, vcc_lo, v14, v0
	v_add_co_ci_u32_e64 v5, null, v15, v1, vcc_lo
	v_fmac_f32_e32 v18, s4, v13
	global_store_dword v[4:5], v18, off
	global_load_dword v13, v[6:7], off offset:64
	s_waitcnt vmcnt(0)
	v_mul_f32_e32 v13, s9, v13
	v_fmac_f32_e32 v13, s4, v12
	global_store_dword v[4:5], v13, off offset:64
	global_load_dword v12, v[6:7], off offset:128
	s_waitcnt vmcnt(0)
	v_mul_f32_e32 v12, s9, v12
	v_fmac_f32_e32 v12, s4, v11
	global_store_dword v[4:5], v12, off offset:128
	global_load_dword v6, v[6:7], off offset:192
	s_waitcnt vmcnt(0)
	v_mul_f32_e32 v11, s9, v6
	v_add_co_u32 v6, vcc_lo, v16, s2
	v_add_co_ci_u32_e64 v7, null, s3, v17, vcc_lo
	v_fmac_f32_e32 v11, s4, v10
	v_add_co_u32 v6, vcc_lo, v6, v0
	v_add_co_ci_u32_e64 v7, null, v7, v1, vcc_lo
	global_store_dword v[4:5], v11, off offset:192
	v_add_co_u32 v5, vcc_lo, v14, s0
	global_load_dword v4, v[6:7], off
	v_add_co_ci_u32_e64 v10, null, s1, v15, vcc_lo
	v_add_co_u32 v0, vcc_lo, v5, v0
	v_add_co_ci_u32_e64 v1, null, v10, v1, vcc_lo
	s_waitcnt vmcnt(0)
	v_mul_f32_e32 v4, s9, v4
	v_fmac_f32_e32 v4, s4, v9
	global_store_dword v[0:1], v4, off
	global_load_dword v4, v[6:7], off offset:64
	s_waitcnt vmcnt(0)
	v_mul_f32_e32 v4, s9, v4
	v_fmac_f32_e32 v4, s4, v8
	global_store_dword v[0:1], v4, off offset:64
	global_load_dword v4, v[6:7], off offset:128
	s_waitcnt vmcnt(0)
	v_mul_f32_e32 v4, s9, v4
	v_fmac_f32_e32 v4, s4, v2
	global_store_dword v[0:1], v4, off offset:128
	;; [unrolled: 5-line block ×3, first 2 shown]
.LBB311_6:
	s_endpgm
.LBB311_7:
	s_branch .LBB311_5
	.section	.rodata,"a",@progbits
	.p2align	6, 0x0
	.amdhsa_kernel _ZN12_GLOBAL__N_127rocblas_gemm_batched_kernelIfLi16ELi16ELi64ELi64ELi4ELi64ELi4ELi4ELi64ELc67ELc67EKfS1_fEEvlllT_PT11_llS4_llS2_PT12_llPT13_lli
		.amdhsa_group_segment_fixed_size 2048
		.amdhsa_private_segment_fixed_size 0
		.amdhsa_kernarg_size 140
		.amdhsa_user_sgpr_count 6
		.amdhsa_user_sgpr_private_segment_buffer 1
		.amdhsa_user_sgpr_dispatch_ptr 0
		.amdhsa_user_sgpr_queue_ptr 0
		.amdhsa_user_sgpr_kernarg_segment_ptr 1
		.amdhsa_user_sgpr_dispatch_id 0
		.amdhsa_user_sgpr_flat_scratch_init 0
		.amdhsa_user_sgpr_private_segment_size 0
		.amdhsa_wavefront_size32 1
		.amdhsa_uses_dynamic_stack 0
		.amdhsa_system_sgpr_private_segment_wavefront_offset 0
		.amdhsa_system_sgpr_workgroup_id_x 1
		.amdhsa_system_sgpr_workgroup_id_y 1
		.amdhsa_system_sgpr_workgroup_id_z 1
		.amdhsa_system_sgpr_workgroup_info 0
		.amdhsa_system_vgpr_workitem_id 1
		.amdhsa_next_free_vgpr 58
		.amdhsa_next_free_sgpr 22
		.amdhsa_reserve_vcc 1
		.amdhsa_reserve_flat_scratch 0
		.amdhsa_float_round_mode_32 0
		.amdhsa_float_round_mode_16_64 0
		.amdhsa_float_denorm_mode_32 3
		.amdhsa_float_denorm_mode_16_64 3
		.amdhsa_dx10_clamp 1
		.amdhsa_ieee_mode 1
		.amdhsa_fp16_overflow 0
		.amdhsa_workgroup_processor_mode 1
		.amdhsa_memory_ordered 1
		.amdhsa_forward_progress 1
		.amdhsa_shared_vgpr_count 0
		.amdhsa_exception_fp_ieee_invalid_op 0
		.amdhsa_exception_fp_denorm_src 0
		.amdhsa_exception_fp_ieee_div_zero 0
		.amdhsa_exception_fp_ieee_overflow 0
		.amdhsa_exception_fp_ieee_underflow 0
		.amdhsa_exception_fp_ieee_inexact 0
		.amdhsa_exception_int_div_zero 0
	.end_amdhsa_kernel
	.section	.text._ZN12_GLOBAL__N_127rocblas_gemm_batched_kernelIfLi16ELi16ELi64ELi64ELi4ELi64ELi4ELi4ELi64ELc67ELc67EKfS1_fEEvlllT_PT11_llS4_llS2_PT12_llPT13_lli,"axG",@progbits,_ZN12_GLOBAL__N_127rocblas_gemm_batched_kernelIfLi16ELi16ELi64ELi64ELi4ELi64ELi4ELi4ELi64ELc67ELc67EKfS1_fEEvlllT_PT11_llS4_llS2_PT12_llPT13_lli,comdat
.Lfunc_end311:
	.size	_ZN12_GLOBAL__N_127rocblas_gemm_batched_kernelIfLi16ELi16ELi64ELi64ELi4ELi64ELi4ELi4ELi64ELc67ELc67EKfS1_fEEvlllT_PT11_llS4_llS2_PT12_llPT13_lli, .Lfunc_end311-_ZN12_GLOBAL__N_127rocblas_gemm_batched_kernelIfLi16ELi16ELi64ELi64ELi4ELi64ELi4ELi4ELi64ELc67ELc67EKfS1_fEEvlllT_PT11_llS4_llS2_PT12_llPT13_lli
                                        ; -- End function
	.set _ZN12_GLOBAL__N_127rocblas_gemm_batched_kernelIfLi16ELi16ELi64ELi64ELi4ELi64ELi4ELi4ELi64ELc67ELc67EKfS1_fEEvlllT_PT11_llS4_llS2_PT12_llPT13_lli.num_vgpr, 58
	.set _ZN12_GLOBAL__N_127rocblas_gemm_batched_kernelIfLi16ELi16ELi64ELi64ELi4ELi64ELi4ELi4ELi64ELc67ELc67EKfS1_fEEvlllT_PT11_llS4_llS2_PT12_llPT13_lli.num_agpr, 0
	.set _ZN12_GLOBAL__N_127rocblas_gemm_batched_kernelIfLi16ELi16ELi64ELi64ELi4ELi64ELi4ELi4ELi64ELc67ELc67EKfS1_fEEvlllT_PT11_llS4_llS2_PT12_llPT13_lli.numbered_sgpr, 22
	.set _ZN12_GLOBAL__N_127rocblas_gemm_batched_kernelIfLi16ELi16ELi64ELi64ELi4ELi64ELi4ELi4ELi64ELc67ELc67EKfS1_fEEvlllT_PT11_llS4_llS2_PT12_llPT13_lli.num_named_barrier, 0
	.set _ZN12_GLOBAL__N_127rocblas_gemm_batched_kernelIfLi16ELi16ELi64ELi64ELi4ELi64ELi4ELi4ELi64ELc67ELc67EKfS1_fEEvlllT_PT11_llS4_llS2_PT12_llPT13_lli.private_seg_size, 0
	.set _ZN12_GLOBAL__N_127rocblas_gemm_batched_kernelIfLi16ELi16ELi64ELi64ELi4ELi64ELi4ELi4ELi64ELc67ELc67EKfS1_fEEvlllT_PT11_llS4_llS2_PT12_llPT13_lli.uses_vcc, 1
	.set _ZN12_GLOBAL__N_127rocblas_gemm_batched_kernelIfLi16ELi16ELi64ELi64ELi4ELi64ELi4ELi4ELi64ELc67ELc67EKfS1_fEEvlllT_PT11_llS4_llS2_PT12_llPT13_lli.uses_flat_scratch, 0
	.set _ZN12_GLOBAL__N_127rocblas_gemm_batched_kernelIfLi16ELi16ELi64ELi64ELi4ELi64ELi4ELi4ELi64ELc67ELc67EKfS1_fEEvlllT_PT11_llS4_llS2_PT12_llPT13_lli.has_dyn_sized_stack, 0
	.set _ZN12_GLOBAL__N_127rocblas_gemm_batched_kernelIfLi16ELi16ELi64ELi64ELi4ELi64ELi4ELi4ELi64ELc67ELc67EKfS1_fEEvlllT_PT11_llS4_llS2_PT12_llPT13_lli.has_recursion, 0
	.set _ZN12_GLOBAL__N_127rocblas_gemm_batched_kernelIfLi16ELi16ELi64ELi64ELi4ELi64ELi4ELi4ELi64ELc67ELc67EKfS1_fEEvlllT_PT11_llS4_llS2_PT12_llPT13_lli.has_indirect_call, 0
	.section	.AMDGPU.csdata,"",@progbits
; Kernel info:
; codeLenInByte = 2284
; TotalNumSgprs: 24
; NumVgprs: 58
; ScratchSize: 0
; MemoryBound: 0
; FloatMode: 240
; IeeeMode: 1
; LDSByteSize: 2048 bytes/workgroup (compile time only)
; SGPRBlocks: 0
; VGPRBlocks: 7
; NumSGPRsForWavesPerEU: 24
; NumVGPRsForWavesPerEU: 58
; Occupancy: 16
; WaveLimiterHint : 0
; COMPUTE_PGM_RSRC2:SCRATCH_EN: 0
; COMPUTE_PGM_RSRC2:USER_SGPR: 6
; COMPUTE_PGM_RSRC2:TRAP_HANDLER: 0
; COMPUTE_PGM_RSRC2:TGID_X_EN: 1
; COMPUTE_PGM_RSRC2:TGID_Y_EN: 1
; COMPUTE_PGM_RSRC2:TGID_Z_EN: 1
; COMPUTE_PGM_RSRC2:TIDIG_COMP_CNT: 1
	.section	.text._ZN12_GLOBAL__N_127rocblas_gemm_batched_kernelIfLi16ELi16ELi64ELi64ELi4ELi64ELi4ELi4ELi64ELc67ELc78EKfS1_fEEvlllT_PT11_llS4_llS2_PT12_llPT13_lli,"axG",@progbits,_ZN12_GLOBAL__N_127rocblas_gemm_batched_kernelIfLi16ELi16ELi64ELi64ELi4ELi64ELi4ELi4ELi64ELc67ELc78EKfS1_fEEvlllT_PT11_llS4_llS2_PT12_llPT13_lli,comdat
	.globl	_ZN12_GLOBAL__N_127rocblas_gemm_batched_kernelIfLi16ELi16ELi64ELi64ELi4ELi64ELi4ELi4ELi64ELc67ELc78EKfS1_fEEvlllT_PT11_llS4_llS2_PT12_llPT13_lli ; -- Begin function _ZN12_GLOBAL__N_127rocblas_gemm_batched_kernelIfLi16ELi16ELi64ELi64ELi4ELi64ELi4ELi4ELi64ELc67ELc78EKfS1_fEEvlllT_PT11_llS4_llS2_PT12_llPT13_lli
	.p2align	8
	.type	_ZN12_GLOBAL__N_127rocblas_gemm_batched_kernelIfLi16ELi16ELi64ELi64ELi4ELi64ELi4ELi4ELi64ELc67ELc78EKfS1_fEEvlllT_PT11_llS4_llS2_PT12_llPT13_lli,@function
_ZN12_GLOBAL__N_127rocblas_gemm_batched_kernelIfLi16ELi16ELi64ELi64ELi4ELi64ELi4ELi4ELi64ELc67ELc78EKfS1_fEEvlllT_PT11_llS4_llS2_PT12_llPT13_lli: ; @_ZN12_GLOBAL__N_127rocblas_gemm_batched_kernelIfLi16ELi16ELi64ELi64ELi4ELi64ELi4ELi4ELi64ELc67ELc78EKfS1_fEEvlllT_PT11_llS4_llS2_PT12_llPT13_lli
; %bb.0:
	s_load_dwordx2 s[20:21], s[4:5], 0x10
	s_mov_b32 s0, s7
	v_mov_b32_e32 v19, 0
	v_mov_b32_e32 v21, 0
	v_mov_b32_e32 v20, 0
	v_mov_b32_e32 v18, 0
	v_mov_b32_e32 v17, 0
	v_mov_b32_e32 v16, 0
	v_mov_b32_e32 v15, 0
	v_mov_b32_e32 v14, 0
	v_mov_b32_e32 v13, 0
	v_mov_b32_e32 v12, 0
	v_mov_b32_e32 v11, 0
	v_mov_b32_e32 v10, 0
	v_mov_b32_e32 v9, 0
	v_mov_b32_e32 v8, 0
	v_mov_b32_e32 v7, 0
	v_mov_b32_e32 v6, 0
	s_ashr_i32 s7, s6, 31
	s_ashr_i32 s1, s0, 31
	s_waitcnt lgkmcnt(0)
	v_cmp_lt_i64_e64 s2, s[20:21], 1
	s_lshl_b64 s[6:7], s[6:7], 6
	s_lshl_b64 s[10:11], s[0:1], 6
	s_and_b32 vcc_lo, exec_lo, s2
	s_cbranch_vccnz .LBB312_3
; %bb.1:
	v_lshlrev_b32_e32 v7, 4, v1
	s_clause 0x1
	s_load_dwordx4 s[0:3], s[4:5], 0x40
	s_load_dwordx8 s[12:19], s[4:5], 0x20
	v_and_b32_e32 v3, 3, v0
	v_mov_b32_e32 v6, 0
	v_add_nc_u32_e32 v2, v7, v0
	v_add_nc_u32_e32 v25, 0x400, v7
	v_lshlrev_b32_e32 v24, 2, v0
	v_lshlrev_b32_e32 v8, 2, v3
	v_mov_b32_e32 v15, 0
	v_lshrrev_b32_e32 v4, 2, v2
	v_and_b32_e32 v3, 63, v2
	v_lshrrev_b32_e32 v10, 6, v2
	v_mov_b32_e32 v16, 0
	v_mov_b32_e32 v17, 0
	v_add_co_u32 v5, s9, v4, s10
	v_add_co_ci_u32_e64 v9, null, 0, s11, s9
	v_lshlrev_b32_e32 v11, 2, v3
	v_lshl_or_b32 v4, v4, 4, v8
	s_waitcnt lgkmcnt(0)
	v_mul_lo_u32 v12, s1, v5
	v_add_co_u32 v13, s1, s6, v3
	v_add_co_ci_u32_e64 v14, null, s7, 0, s1
	v_mul_lo_u32 v9, s0, v9
	v_mad_u64_u32 v[2:3], null, s0, v5, 0
	v_lshl_or_b32 v22, v10, 8, v11
	v_add_nc_u32_e32 v23, 0x400, v4
	v_mul_lo_u32 v11, s15, v13
	v_mul_lo_u32 v14, s14, v14
	v_mad_u64_u32 v[4:5], null, s14, v13, 0
	v_add3_u32 v3, v3, v9, v12
	s_mul_i32 s0, s3, s8
	s_mul_hi_u32 s1, s2, s8
	s_mul_hi_u32 s3, s16, s8
	s_add_i32 s1, s1, s0
	v_lshlrev_b64 v[2:3], 2, v[2:3]
	v_add3_u32 v5, v5, v14, v11
	s_mul_i32 s0, s2, s8
	s_mul_i32 s2, s17, s8
	s_lshl_b64 s[0:1], s[0:1], 2
	s_add_i32 s3, s3, s2
	v_lshlrev_b64 v[4:5], 2, v[4:5]
	s_mul_i32 s2, s16, s8
	v_add_co_u32 v2, vcc_lo, v2, s0
	v_add_co_ci_u32_e64 v3, null, s1, v3, vcc_lo
	s_lshl_b64 s[0:1], s[2:3], 2
	v_lshlrev_b32_e32 v7, 2, v10
	v_add_co_u32 v4, vcc_lo, v4, s0
	v_add_co_ci_u32_e64 v5, null, s1, v5, vcc_lo
	v_add_co_u32 v2, vcc_lo, v2, v8
	v_add_co_ci_u32_e64 v3, null, 0, v3, vcc_lo
	;; [unrolled: 2-line block ×5, first 2 shown]
	v_mov_b32_e32 v7, 0
	v_mov_b32_e32 v8, 0
	;; [unrolled: 1-line block ×12, first 2 shown]
	s_mov_b64 s[0:1], 0
.LBB312_2:                              ; =>This Inner Loop Header: Depth=1
	global_load_dword v26, v[4:5], off
	global_load_dword v27, v[2:3], off
	s_add_u32 s0, s0, 4
	s_addc_u32 s1, s1, 0
	v_add_co_u32 v2, vcc_lo, v2, 16
	v_cmp_lt_i64_e64 s2, s[0:1], s[20:21]
	v_add_co_ci_u32_e64 v3, null, 0, v3, vcc_lo
	v_add_co_u32 v4, vcc_lo, v4, 16
	v_add_co_ci_u32_e64 v5, null, 0, v5, vcc_lo
	s_and_b32 vcc_lo, exec_lo, s2
	s_waitcnt vmcnt(1)
	ds_write_b32 v22, v26
	s_waitcnt vmcnt(0)
	ds_write_b32 v23, v27
	s_waitcnt lgkmcnt(0)
	s_barrier
	buffer_gl0_inv
	ds_read_b128 v[26:29], v25
	ds_read2_b32 v[42:43], v24 offset1:16
	ds_read2_b32 v[44:45], v24 offset0:32 offset1:48
	ds_read_b128 v[30:33], v25 offset:256
	ds_read_b128 v[34:37], v25 offset:512
	;; [unrolled: 1-line block ×3, first 2 shown]
	ds_read2_b32 v[46:47], v24 offset0:64 offset1:80
	ds_read2_b32 v[48:49], v24 offset0:96 offset1:112
	;; [unrolled: 1-line block ×6, first 2 shown]
	s_waitcnt lgkmcnt(0)
	s_barrier
	buffer_gl0_inv
	v_fmac_f32_e32 v19, v42, v26
	v_fmac_f32_e32 v21, v43, v26
	;; [unrolled: 1-line block ×64, first 2 shown]
	s_cbranch_vccnz .LBB312_2
.LBB312_3:
	s_clause 0x3
	s_load_dwordx4 s[0:3], s[4:5], 0x78
	s_load_dword s9, s[4:5], 0x50
	s_load_dwordx8 s[12:19], s[4:5], 0x58
	s_load_dword s4, s[4:5], 0x18
	v_add_co_u32 v3, s5, s6, v0
	v_add_co_ci_u32_e64 v4, null, s7, 0, s5
	v_add_co_u32 v2, s5, s10, v1
	v_add_co_ci_u32_e64 v5, null, s11, 0, s5
	v_lshlrev_b64 v[0:1], 2, v[3:4]
	s_waitcnt lgkmcnt(0)
	s_mul_i32 s3, s3, s8
	s_mul_hi_u32 s5, s2, s8
	v_mul_lo_u32 v3, v5, s0
	v_mul_lo_u32 v4, v2, s1
	s_mul_i32 s2, s2, s8
	v_cmp_neq_f32_e64 s6, s9, 0
	s_add_i32 s3, s5, s3
	s_mov_b32 s5, 0
	s_lshl_b64 s[2:3], s[2:3], 2
	s_add_u32 s2, s18, s2
	s_addc_u32 s3, s19, s3
	s_and_b32 vcc_lo, exec_lo, s6
	s_cbranch_vccnz .LBB312_7
; %bb.4:
	v_mad_u64_u32 v[22:23], null, v2, s0, 0
	s_lshl_b64 s[6:7], s[0:1], 6
	v_mul_f32_e32 v26, s4, v19
	v_mul_f32_e32 v27, s4, v21
	;; [unrolled: 1-line block ×5, first 2 shown]
	v_add3_u32 v23, v23, v4, v3
	v_mul_f32_e32 v31, s4, v16
	v_mul_f32_e32 v32, s4, v15
	;; [unrolled: 1-line block ×3, first 2 shown]
	v_lshlrev_b64 v[22:23], 2, v[22:23]
	v_add_co_u32 v22, vcc_lo, s2, v22
	v_add_co_ci_u32_e64 v23, null, s3, v23, vcc_lo
	v_add_co_u32 v34, vcc_lo, v22, s6
	v_add_co_ci_u32_e64 v35, null, s7, v23, vcc_lo
	;; [unrolled: 2-line block ×4, first 2 shown]
	global_store_dword v[22:23], v26, off
	global_store_dword v[22:23], v27, off offset:64
	global_store_dword v[22:23], v28, off offset:128
	;; [unrolled: 1-line block ×3, first 2 shown]
	global_store_dword v[24:25], v30, off
	global_store_dword v[24:25], v31, off offset:64
	v_add_co_u32 v26, vcc_lo, v34, s6
	v_add_co_ci_u32_e64 v27, null, s7, v35, vcc_lo
	v_mul_f32_e32 v28, s4, v13
	v_add_co_u32 v22, vcc_lo, v26, v0
	v_add_co_ci_u32_e64 v23, null, v27, v1, vcc_lo
	v_mul_f32_e32 v29, s4, v12
	v_mul_f32_e32 v30, s4, v11
	global_store_dword v[24:25], v32, off offset:128
	global_store_dword v[24:25], v33, off offset:192
	global_store_dword v[22:23], v28, off
	global_store_dword v[22:23], v29, off offset:64
	global_store_dword v[22:23], v30, off offset:128
	v_add_co_u32 v24, vcc_lo, v26, s6
	v_add_co_ci_u32_e64 v25, null, s7, v27, vcc_lo
	v_mul_f32_e32 v28, s4, v10
	v_add_co_u32 v24, vcc_lo, v24, v0
	v_mul_f32_e32 v26, s4, v9
	v_add_co_ci_u32_e64 v25, null, v25, v1, vcc_lo
	v_mul_f32_e32 v27, s4, v8
	v_mul_f32_e32 v29, s4, v7
	;; [unrolled: 1-line block ×3, first 2 shown]
	global_store_dword v[22:23], v28, off offset:192
	global_store_dword v[24:25], v26, off
	global_store_dword v[24:25], v27, off offset:64
	global_store_dword v[24:25], v29, off offset:128
	;; [unrolled: 1-line block ×3, first 2 shown]
	s_andn2_b32 vcc_lo, exec_lo, s5
	s_cbranch_vccnz .LBB312_6
.LBB312_5:
	v_mul_lo_u32 v5, v5, s14
	v_mul_lo_u32 v24, v2, s15
	v_mad_u64_u32 v[22:23], null, v2, s14, 0
	s_mul_i32 s5, s17, s8
	s_mul_hi_u32 s7, s16, s8
	s_mul_i32 s6, s16, s8
	s_add_i32 s7, s7, s5
	s_lshl_b64 s[6:7], s[6:7], 2
	v_add3_u32 v23, v23, v24, v5
	s_add_u32 s5, s12, s6
	s_addc_u32 s6, s13, s7
	v_mad_u64_u32 v[24:25], null, v2, s0, 0
	v_lshlrev_b64 v[22:23], 2, v[22:23]
	s_lshl_b64 s[0:1], s[0:1], 6
	v_add3_u32 v25, v25, v4, v3
	v_add_co_u32 v5, vcc_lo, s5, v22
	v_add_co_ci_u32_e64 v26, null, s6, v23, vcc_lo
	v_lshlrev_b64 v[2:3], 2, v[24:25]
	v_add_co_u32 v22, vcc_lo, v5, v0
	v_add_co_ci_u32_e64 v23, null, v26, v1, vcc_lo
	v_add_co_u32 v24, vcc_lo, s2, v2
	global_load_dword v27, v[22:23], off
	v_add_co_ci_u32_e64 v25, null, s3, v3, vcc_lo
	v_add_co_u32 v2, vcc_lo, v24, v0
	s_lshl_b64 s[2:3], s[14:15], 6
	v_add_co_ci_u32_e64 v3, null, v25, v1, vcc_lo
	s_waitcnt vmcnt(0)
	v_mul_f32_e32 v4, s9, v27
	v_fmac_f32_e32 v4, s4, v19
	global_store_dword v[2:3], v4, off
	global_load_dword v4, v[22:23], off offset:64
	s_waitcnt vmcnt(0)
	v_mul_f32_e32 v4, s9, v4
	v_fmac_f32_e32 v4, s4, v21
	global_store_dword v[2:3], v4, off offset:64
	global_load_dword v4, v[22:23], off offset:128
	s_waitcnt vmcnt(0)
	v_mul_f32_e32 v4, s9, v4
	v_fmac_f32_e32 v4, s4, v20
	v_add_co_u32 v20, vcc_lo, v5, s2
	v_add_co_ci_u32_e64 v21, null, s3, v26, vcc_lo
	global_store_dword v[2:3], v4, off offset:128
	global_load_dword v4, v[22:23], off offset:192
	s_waitcnt vmcnt(0)
	v_mul_f32_e32 v19, s9, v4
	v_add_co_u32 v4, vcc_lo, v20, v0
	v_add_co_ci_u32_e64 v5, null, v21, v1, vcc_lo
	v_fmac_f32_e32 v19, s4, v18
	v_add_co_u32 v18, vcc_lo, v24, s0
	global_store_dword v[2:3], v19, off offset:192
	global_load_dword v2, v[4:5], off
	v_add_co_ci_u32_e64 v19, null, s1, v25, vcc_lo
	s_waitcnt vmcnt(0)
	v_mul_f32_e32 v22, s9, v2
	v_add_co_u32 v2, vcc_lo, v18, v0
	v_add_co_ci_u32_e64 v3, null, v19, v1, vcc_lo
	v_fmac_f32_e32 v22, s4, v17
	global_store_dword v[2:3], v22, off
	global_load_dword v17, v[4:5], off offset:64
	s_waitcnt vmcnt(0)
	v_mul_f32_e32 v17, s9, v17
	v_fmac_f32_e32 v17, s4, v16
	global_store_dword v[2:3], v17, off offset:64
	global_load_dword v16, v[4:5], off offset:128
	s_waitcnt vmcnt(0)
	v_mul_f32_e32 v16, s9, v16
	v_fmac_f32_e32 v16, s4, v15
	global_store_dword v[2:3], v16, off offset:128
	global_load_dword v4, v[4:5], off offset:192
	v_add_co_u32 v16, vcc_lo, v20, s2
	v_add_co_ci_u32_e64 v17, null, s3, v21, vcc_lo
	s_waitcnt vmcnt(0)
	v_mul_f32_e32 v15, s9, v4
	v_add_co_u32 v4, vcc_lo, v16, v0
	v_add_co_ci_u32_e64 v5, null, v17, v1, vcc_lo
	v_fmac_f32_e32 v15, s4, v14
	v_add_co_u32 v14, vcc_lo, v18, s0
	global_store_dword v[2:3], v15, off offset:192
	global_load_dword v2, v[4:5], off
	v_add_co_ci_u32_e64 v15, null, s1, v19, vcc_lo
	s_waitcnt vmcnt(0)
	v_mul_f32_e32 v18, s9, v2
	v_add_co_u32 v2, vcc_lo, v14, v0
	v_add_co_ci_u32_e64 v3, null, v15, v1, vcc_lo
	v_fmac_f32_e32 v18, s4, v13
	global_store_dword v[2:3], v18, off
	global_load_dword v13, v[4:5], off offset:64
	s_waitcnt vmcnt(0)
	v_mul_f32_e32 v13, s9, v13
	v_fmac_f32_e32 v13, s4, v12
	global_store_dword v[2:3], v13, off offset:64
	global_load_dword v12, v[4:5], off offset:128
	s_waitcnt vmcnt(0)
	v_mul_f32_e32 v12, s9, v12
	v_fmac_f32_e32 v12, s4, v11
	global_store_dword v[2:3], v12, off offset:128
	global_load_dword v4, v[4:5], off offset:192
	s_waitcnt vmcnt(0)
	v_mul_f32_e32 v11, s9, v4
	v_add_co_u32 v4, vcc_lo, v16, s2
	v_add_co_ci_u32_e64 v5, null, s3, v17, vcc_lo
	v_fmac_f32_e32 v11, s4, v10
	v_add_co_u32 v4, vcc_lo, v4, v0
	v_add_co_ci_u32_e64 v5, null, v5, v1, vcc_lo
	global_store_dword v[2:3], v11, off offset:192
	v_add_co_u32 v3, vcc_lo, v14, s0
	global_load_dword v2, v[4:5], off
	v_add_co_ci_u32_e64 v10, null, s1, v15, vcc_lo
	v_add_co_u32 v0, vcc_lo, v3, v0
	v_add_co_ci_u32_e64 v1, null, v10, v1, vcc_lo
	s_waitcnt vmcnt(0)
	v_mul_f32_e32 v2, s9, v2
	v_fmac_f32_e32 v2, s4, v9
	global_store_dword v[0:1], v2, off
	global_load_dword v2, v[4:5], off offset:64
	s_waitcnt vmcnt(0)
	v_mul_f32_e32 v2, s9, v2
	v_fmac_f32_e32 v2, s4, v8
	global_store_dword v[0:1], v2, off offset:64
	global_load_dword v2, v[4:5], off offset:128
	s_waitcnt vmcnt(0)
	v_mul_f32_e32 v2, s9, v2
	v_fmac_f32_e32 v2, s4, v7
	global_store_dword v[0:1], v2, off offset:128
	global_load_dword v2, v[4:5], off offset:192
	s_waitcnt vmcnt(0)
	v_mul_f32_e32 v2, s9, v2
	v_fmac_f32_e32 v2, s4, v6
	global_store_dword v[0:1], v2, off offset:192
.LBB312_6:
	s_endpgm
.LBB312_7:
	s_branch .LBB312_5
	.section	.rodata,"a",@progbits
	.p2align	6, 0x0
	.amdhsa_kernel _ZN12_GLOBAL__N_127rocblas_gemm_batched_kernelIfLi16ELi16ELi64ELi64ELi4ELi64ELi4ELi4ELi64ELc67ELc78EKfS1_fEEvlllT_PT11_llS4_llS2_PT12_llPT13_lli
		.amdhsa_group_segment_fixed_size 2048
		.amdhsa_private_segment_fixed_size 0
		.amdhsa_kernarg_size 140
		.amdhsa_user_sgpr_count 6
		.amdhsa_user_sgpr_private_segment_buffer 1
		.amdhsa_user_sgpr_dispatch_ptr 0
		.amdhsa_user_sgpr_queue_ptr 0
		.amdhsa_user_sgpr_kernarg_segment_ptr 1
		.amdhsa_user_sgpr_dispatch_id 0
		.amdhsa_user_sgpr_flat_scratch_init 0
		.amdhsa_user_sgpr_private_segment_size 0
		.amdhsa_wavefront_size32 1
		.amdhsa_uses_dynamic_stack 0
		.amdhsa_system_sgpr_private_segment_wavefront_offset 0
		.amdhsa_system_sgpr_workgroup_id_x 1
		.amdhsa_system_sgpr_workgroup_id_y 1
		.amdhsa_system_sgpr_workgroup_id_z 1
		.amdhsa_system_sgpr_workgroup_info 0
		.amdhsa_system_vgpr_workitem_id 1
		.amdhsa_next_free_vgpr 58
		.amdhsa_next_free_sgpr 22
		.amdhsa_reserve_vcc 1
		.amdhsa_reserve_flat_scratch 0
		.amdhsa_float_round_mode_32 0
		.amdhsa_float_round_mode_16_64 0
		.amdhsa_float_denorm_mode_32 3
		.amdhsa_float_denorm_mode_16_64 3
		.amdhsa_dx10_clamp 1
		.amdhsa_ieee_mode 1
		.amdhsa_fp16_overflow 0
		.amdhsa_workgroup_processor_mode 1
		.amdhsa_memory_ordered 1
		.amdhsa_forward_progress 1
		.amdhsa_shared_vgpr_count 0
		.amdhsa_exception_fp_ieee_invalid_op 0
		.amdhsa_exception_fp_denorm_src 0
		.amdhsa_exception_fp_ieee_div_zero 0
		.amdhsa_exception_fp_ieee_overflow 0
		.amdhsa_exception_fp_ieee_underflow 0
		.amdhsa_exception_fp_ieee_inexact 0
		.amdhsa_exception_int_div_zero 0
	.end_amdhsa_kernel
	.section	.text._ZN12_GLOBAL__N_127rocblas_gemm_batched_kernelIfLi16ELi16ELi64ELi64ELi4ELi64ELi4ELi4ELi64ELc67ELc78EKfS1_fEEvlllT_PT11_llS4_llS2_PT12_llPT13_lli,"axG",@progbits,_ZN12_GLOBAL__N_127rocblas_gemm_batched_kernelIfLi16ELi16ELi64ELi64ELi4ELi64ELi4ELi4ELi64ELc67ELc78EKfS1_fEEvlllT_PT11_llS4_llS2_PT12_llPT13_lli,comdat
.Lfunc_end312:
	.size	_ZN12_GLOBAL__N_127rocblas_gemm_batched_kernelIfLi16ELi16ELi64ELi64ELi4ELi64ELi4ELi4ELi64ELc67ELc78EKfS1_fEEvlllT_PT11_llS4_llS2_PT12_llPT13_lli, .Lfunc_end312-_ZN12_GLOBAL__N_127rocblas_gemm_batched_kernelIfLi16ELi16ELi64ELi64ELi4ELi64ELi4ELi4ELi64ELc67ELc78EKfS1_fEEvlllT_PT11_llS4_llS2_PT12_llPT13_lli
                                        ; -- End function
	.set _ZN12_GLOBAL__N_127rocblas_gemm_batched_kernelIfLi16ELi16ELi64ELi64ELi4ELi64ELi4ELi4ELi64ELc67ELc78EKfS1_fEEvlllT_PT11_llS4_llS2_PT12_llPT13_lli.num_vgpr, 58
	.set _ZN12_GLOBAL__N_127rocblas_gemm_batched_kernelIfLi16ELi16ELi64ELi64ELi4ELi64ELi4ELi4ELi64ELc67ELc78EKfS1_fEEvlllT_PT11_llS4_llS2_PT12_llPT13_lli.num_agpr, 0
	.set _ZN12_GLOBAL__N_127rocblas_gemm_batched_kernelIfLi16ELi16ELi64ELi64ELi4ELi64ELi4ELi4ELi64ELc67ELc78EKfS1_fEEvlllT_PT11_llS4_llS2_PT12_llPT13_lli.numbered_sgpr, 22
	.set _ZN12_GLOBAL__N_127rocblas_gemm_batched_kernelIfLi16ELi16ELi64ELi64ELi4ELi64ELi4ELi4ELi64ELc67ELc78EKfS1_fEEvlllT_PT11_llS4_llS2_PT12_llPT13_lli.num_named_barrier, 0
	.set _ZN12_GLOBAL__N_127rocblas_gemm_batched_kernelIfLi16ELi16ELi64ELi64ELi4ELi64ELi4ELi4ELi64ELc67ELc78EKfS1_fEEvlllT_PT11_llS4_llS2_PT12_llPT13_lli.private_seg_size, 0
	.set _ZN12_GLOBAL__N_127rocblas_gemm_batched_kernelIfLi16ELi16ELi64ELi64ELi4ELi64ELi4ELi4ELi64ELc67ELc78EKfS1_fEEvlllT_PT11_llS4_llS2_PT12_llPT13_lli.uses_vcc, 1
	.set _ZN12_GLOBAL__N_127rocblas_gemm_batched_kernelIfLi16ELi16ELi64ELi64ELi4ELi64ELi4ELi4ELi64ELc67ELc78EKfS1_fEEvlllT_PT11_llS4_llS2_PT12_llPT13_lli.uses_flat_scratch, 0
	.set _ZN12_GLOBAL__N_127rocblas_gemm_batched_kernelIfLi16ELi16ELi64ELi64ELi4ELi64ELi4ELi4ELi64ELc67ELc78EKfS1_fEEvlllT_PT11_llS4_llS2_PT12_llPT13_lli.has_dyn_sized_stack, 0
	.set _ZN12_GLOBAL__N_127rocblas_gemm_batched_kernelIfLi16ELi16ELi64ELi64ELi4ELi64ELi4ELi4ELi64ELc67ELc78EKfS1_fEEvlllT_PT11_llS4_llS2_PT12_llPT13_lli.has_recursion, 0
	.set _ZN12_GLOBAL__N_127rocblas_gemm_batched_kernelIfLi16ELi16ELi64ELi64ELi4ELi64ELi4ELi4ELi64ELc67ELc78EKfS1_fEEvlllT_PT11_llS4_llS2_PT12_llPT13_lli.has_indirect_call, 0
	.section	.AMDGPU.csdata,"",@progbits
; Kernel info:
; codeLenInByte = 2316
; TotalNumSgprs: 24
; NumVgprs: 58
; ScratchSize: 0
; MemoryBound: 0
; FloatMode: 240
; IeeeMode: 1
; LDSByteSize: 2048 bytes/workgroup (compile time only)
; SGPRBlocks: 0
; VGPRBlocks: 7
; NumSGPRsForWavesPerEU: 24
; NumVGPRsForWavesPerEU: 58
; Occupancy: 16
; WaveLimiterHint : 0
; COMPUTE_PGM_RSRC2:SCRATCH_EN: 0
; COMPUTE_PGM_RSRC2:USER_SGPR: 6
; COMPUTE_PGM_RSRC2:TRAP_HANDLER: 0
; COMPUTE_PGM_RSRC2:TGID_X_EN: 1
; COMPUTE_PGM_RSRC2:TGID_Y_EN: 1
; COMPUTE_PGM_RSRC2:TGID_Z_EN: 1
; COMPUTE_PGM_RSRC2:TIDIG_COMP_CNT: 1
	.section	.text._ZN12_GLOBAL__N_127rocblas_gemm_batched_kernelIfLi16ELi16ELi64ELi64ELi4ELi64ELi4ELi4ELi64ELc67ELc84EKfS1_fEEvlllT_PT11_llS4_llS2_PT12_llPT13_lli,"axG",@progbits,_ZN12_GLOBAL__N_127rocblas_gemm_batched_kernelIfLi16ELi16ELi64ELi64ELi4ELi64ELi4ELi4ELi64ELc67ELc84EKfS1_fEEvlllT_PT11_llS4_llS2_PT12_llPT13_lli,comdat
	.globl	_ZN12_GLOBAL__N_127rocblas_gemm_batched_kernelIfLi16ELi16ELi64ELi64ELi4ELi64ELi4ELi4ELi64ELc67ELc84EKfS1_fEEvlllT_PT11_llS4_llS2_PT12_llPT13_lli ; -- Begin function _ZN12_GLOBAL__N_127rocblas_gemm_batched_kernelIfLi16ELi16ELi64ELi64ELi4ELi64ELi4ELi4ELi64ELc67ELc84EKfS1_fEEvlllT_PT11_llS4_llS2_PT12_llPT13_lli
	.p2align	8
	.type	_ZN12_GLOBAL__N_127rocblas_gemm_batched_kernelIfLi16ELi16ELi64ELi64ELi4ELi64ELi4ELi4ELi64ELc67ELc84EKfS1_fEEvlllT_PT11_llS4_llS2_PT12_llPT13_lli,@function
_ZN12_GLOBAL__N_127rocblas_gemm_batched_kernelIfLi16ELi16ELi64ELi64ELi4ELi64ELi4ELi4ELi64ELc67ELc84EKfS1_fEEvlllT_PT11_llS4_llS2_PT12_llPT13_lli: ; @_ZN12_GLOBAL__N_127rocblas_gemm_batched_kernelIfLi16ELi16ELi64ELi64ELi4ELi64ELi4ELi4ELi64ELc67ELc84EKfS1_fEEvlllT_PT11_llS4_llS2_PT12_llPT13_lli
; %bb.0:
	s_load_dwordx2 s[20:21], s[4:5], 0x10
	s_mov_b32 s0, s7
	v_mov_b32_e32 v19, 0
	v_mov_b32_e32 v21, 0
	;; [unrolled: 1-line block ×16, first 2 shown]
	s_ashr_i32 s7, s6, 31
	s_ashr_i32 s1, s0, 31
	s_waitcnt lgkmcnt(0)
	v_cmp_lt_i64_e64 s2, s[20:21], 1
	s_lshl_b64 s[6:7], s[6:7], 6
	s_lshl_b64 s[10:11], s[0:1], 6
	s_and_b32 vcc_lo, exec_lo, s2
	s_cbranch_vccnz .LBB313_3
; %bb.1:
	v_lshlrev_b32_e32 v4, 4, v1
	s_clause 0x1
	s_load_dwordx4 s[0:3], s[4:5], 0x40
	s_load_dwordx8 s[12:19], s[4:5], 0x20
	v_and_b32_e32 v8, 3, v0
	v_mov_b32_e32 v3, 0
	v_add_nc_u32_e32 v5, v4, v0
	v_add_nc_u32_e32 v23, 0x400, v4
	v_lshlrev_b32_e32 v22, 2, v0
	v_lshlrev_b32_e32 v6, 2, v8
	v_mov_b32_e32 v13, v3
	v_and_b32_e32 v7, 63, v5
	v_lshrrev_b32_e32 v2, 2, v5
	v_lshrrev_b32_e32 v10, 6, v5
	v_mov_b32_e32 v14, v3
	v_mov_b32_e32 v15, v3
	v_lshlrev_b32_e32 v4, 2, v7
	v_lshl_or_b32 v9, v2, 4, v6
	v_add_co_u32 v6, s9, s6, v7
	v_add_co_ci_u32_e64 v7, null, s7, 0, s9
	v_lshl_or_b32 v24, v10, 8, v4
	s_waitcnt lgkmcnt(0)
	v_mad_u64_u32 v[4:5], null, s0, v8, v[2:3]
	v_mul_lo_u32 v11, s15, v6
	v_mul_lo_u32 v12, s14, v7
	v_mad_u64_u32 v[6:7], null, s14, v6, 0
	s_mul_i32 s3, s3, s8
	s_mul_hi_u32 s9, s2, s8
	v_mov_b32_e32 v2, v5
	s_mul_i32 s2, s2, s8
	s_add_i32 s3, s9, s3
	v_add_nc_u32_e32 v25, 0x400, v9
	v_add3_u32 v7, v7, v12, v11
	v_mad_u64_u32 v[8:9], null, s1, v8, v[2:3]
	s_lshl_b64 s[2:3], s[2:3], 2
	v_lshlrev_b32_e32 v2, 2, v10
	s_add_u32 s9, s18, s2
	s_addc_u32 s14, s19, s3
	s_mul_i32 s2, s17, s8
	s_mul_hi_u32 s3, s16, s8
	v_lshlrev_b64 v[5:6], 2, v[6:7]
	v_add_co_u32 v7, vcc_lo, v4, s10
	s_add_i32 s3, s3, s2
	s_mul_i32 s2, s16, s8
	v_add_co_ci_u32_e64 v8, null, s11, v8, vcc_lo
	s_lshl_b64 s[2:3], s[2:3], 2
	v_mov_b32_e32 v10, v3
	v_add_co_u32 v9, vcc_lo, v5, s2
	v_add_co_ci_u32_e64 v6, null, s3, v6, vcc_lo
	v_lshlrev_b64 v[4:5], 2, v[7:8]
	v_add_co_u32 v2, vcc_lo, v9, v2
	v_add_co_ci_u32_e64 v7, null, 0, v6, vcc_lo
	v_mov_b32_e32 v8, v3
	v_add_co_u32 v4, vcc_lo, s9, v4
	v_add_co_ci_u32_e64 v5, null, s14, v5, vcc_lo
	v_add_co_u32 v6, vcc_lo, s12, v2
	v_add_co_ci_u32_e64 v7, null, s13, v7, vcc_lo
	v_mov_b32_e32 v2, v3
	v_mov_b32_e32 v9, v3
	;; [unrolled: 1-line block ×10, first 2 shown]
	s_lshl_b64 s[0:1], s[0:1], 4
	s_mov_b64 s[2:3], 0
.LBB313_2:                              ; =>This Inner Loop Header: Depth=1
	global_load_dword v26, v[6:7], off
	global_load_dword v27, v[4:5], off
	s_add_u32 s2, s2, 4
	s_addc_u32 s3, s3, 0
	v_add_co_u32 v4, vcc_lo, v4, s0
	v_cmp_lt_i64_e64 s9, s[2:3], s[20:21]
	v_add_co_ci_u32_e64 v5, null, s1, v5, vcc_lo
	v_add_co_u32 v6, vcc_lo, v6, 16
	v_add_co_ci_u32_e64 v7, null, 0, v7, vcc_lo
	s_and_b32 vcc_lo, exec_lo, s9
	s_waitcnt vmcnt(1)
	ds_write_b32 v24, v26
	s_waitcnt vmcnt(0)
	ds_write_b32 v25, v27
	s_waitcnt lgkmcnt(0)
	s_barrier
	buffer_gl0_inv
	ds_read_b128 v[26:29], v23
	ds_read2_b32 v[42:43], v22 offset1:16
	ds_read2_b32 v[44:45], v22 offset0:32 offset1:48
	ds_read_b128 v[30:33], v23 offset:256
	ds_read_b128 v[34:37], v23 offset:512
	;; [unrolled: 1-line block ×3, first 2 shown]
	ds_read2_b32 v[46:47], v22 offset0:64 offset1:80
	ds_read2_b32 v[48:49], v22 offset0:96 offset1:112
	;; [unrolled: 1-line block ×6, first 2 shown]
	s_waitcnt lgkmcnt(0)
	s_barrier
	buffer_gl0_inv
	v_fmac_f32_e32 v19, v42, v26
	v_fmac_f32_e32 v21, v43, v26
	;; [unrolled: 1-line block ×64, first 2 shown]
	s_cbranch_vccnz .LBB313_2
.LBB313_3:
	s_clause 0x3
	s_load_dwordx4 s[0:3], s[4:5], 0x78
	s_load_dword s9, s[4:5], 0x50
	s_load_dwordx8 s[12:19], s[4:5], 0x58
	s_load_dword s4, s[4:5], 0x18
	v_add_co_u32 v5, s5, s6, v0
	v_add_co_ci_u32_e64 v6, null, s7, 0, s5
	v_add_co_u32 v4, s5, s10, v1
	v_add_co_ci_u32_e64 v7, null, s11, 0, s5
	v_lshlrev_b64 v[0:1], 2, v[5:6]
	s_waitcnt lgkmcnt(0)
	s_mul_i32 s3, s3, s8
	s_mul_hi_u32 s5, s2, s8
	v_mul_lo_u32 v5, v7, s0
	v_mul_lo_u32 v6, v4, s1
	s_mul_i32 s2, s2, s8
	v_cmp_neq_f32_e64 s6, s9, 0
	s_add_i32 s3, s5, s3
	s_mov_b32 s5, 0
	s_lshl_b64 s[2:3], s[2:3], 2
	s_add_u32 s2, s18, s2
	s_addc_u32 s3, s19, s3
	s_and_b32 vcc_lo, exec_lo, s6
	s_cbranch_vccnz .LBB313_7
; %bb.4:
	v_mad_u64_u32 v[22:23], null, v4, s0, 0
	s_lshl_b64 s[6:7], s[0:1], 6
	v_mul_f32_e32 v26, s4, v19
	v_mul_f32_e32 v27, s4, v21
	;; [unrolled: 1-line block ×5, first 2 shown]
	v_add3_u32 v23, v23, v6, v5
	v_mul_f32_e32 v31, s4, v16
	v_mul_f32_e32 v32, s4, v15
	;; [unrolled: 1-line block ×3, first 2 shown]
	v_lshlrev_b64 v[22:23], 2, v[22:23]
	v_add_co_u32 v22, vcc_lo, s2, v22
	v_add_co_ci_u32_e64 v23, null, s3, v23, vcc_lo
	v_add_co_u32 v34, vcc_lo, v22, s6
	v_add_co_ci_u32_e64 v35, null, s7, v23, vcc_lo
	v_add_co_u32 v22, vcc_lo, v22, v0
	v_add_co_ci_u32_e64 v23, null, v23, v1, vcc_lo
	v_add_co_u32 v24, vcc_lo, v34, v0
	v_add_co_ci_u32_e64 v25, null, v35, v1, vcc_lo
	global_store_dword v[22:23], v26, off
	global_store_dword v[22:23], v27, off offset:64
	global_store_dword v[22:23], v28, off offset:128
	global_store_dword v[22:23], v29, off offset:192
	global_store_dword v[24:25], v30, off
	global_store_dword v[24:25], v31, off offset:64
	v_add_co_u32 v26, vcc_lo, v34, s6
	v_add_co_ci_u32_e64 v27, null, s7, v35, vcc_lo
	v_mul_f32_e32 v28, s4, v13
	v_add_co_u32 v22, vcc_lo, v26, v0
	v_add_co_ci_u32_e64 v23, null, v27, v1, vcc_lo
	v_mul_f32_e32 v29, s4, v12
	v_mul_f32_e32 v30, s4, v11
	global_store_dword v[24:25], v32, off offset:128
	global_store_dword v[24:25], v33, off offset:192
	global_store_dword v[22:23], v28, off
	global_store_dword v[22:23], v29, off offset:64
	global_store_dword v[22:23], v30, off offset:128
	v_add_co_u32 v24, vcc_lo, v26, s6
	v_add_co_ci_u32_e64 v25, null, s7, v27, vcc_lo
	v_mul_f32_e32 v28, s4, v10
	v_add_co_u32 v24, vcc_lo, v24, v0
	v_mul_f32_e32 v26, s4, v9
	v_add_co_ci_u32_e64 v25, null, v25, v1, vcc_lo
	v_mul_f32_e32 v27, s4, v8
	v_mul_f32_e32 v29, s4, v2
	;; [unrolled: 1-line block ×3, first 2 shown]
	global_store_dword v[22:23], v28, off offset:192
	global_store_dword v[24:25], v26, off
	global_store_dword v[24:25], v27, off offset:64
	global_store_dword v[24:25], v29, off offset:128
	;; [unrolled: 1-line block ×3, first 2 shown]
	s_andn2_b32 vcc_lo, exec_lo, s5
	s_cbranch_vccnz .LBB313_6
.LBB313_5:
	v_mul_lo_u32 v7, v7, s14
	v_mul_lo_u32 v24, v4, s15
	v_mad_u64_u32 v[22:23], null, v4, s14, 0
	s_mul_i32 s5, s17, s8
	s_mul_hi_u32 s7, s16, s8
	s_mul_i32 s6, s16, s8
	s_add_i32 s7, s7, s5
	s_lshl_b64 s[6:7], s[6:7], 2
	v_add3_u32 v23, v23, v24, v7
	s_add_u32 s5, s12, s6
	s_addc_u32 s6, s13, s7
	v_mad_u64_u32 v[24:25], null, v4, s0, 0
	v_lshlrev_b64 v[22:23], 2, v[22:23]
	s_lshl_b64 s[0:1], s[0:1], 6
	v_add3_u32 v25, v25, v6, v5
	v_add_co_u32 v7, vcc_lo, s5, v22
	v_add_co_ci_u32_e64 v26, null, s6, v23, vcc_lo
	v_lshlrev_b64 v[4:5], 2, v[24:25]
	v_add_co_u32 v22, vcc_lo, v7, v0
	v_add_co_ci_u32_e64 v23, null, v26, v1, vcc_lo
	v_add_co_u32 v24, vcc_lo, s2, v4
	global_load_dword v27, v[22:23], off
	v_add_co_ci_u32_e64 v25, null, s3, v5, vcc_lo
	v_add_co_u32 v4, vcc_lo, v24, v0
	s_lshl_b64 s[2:3], s[14:15], 6
	v_add_co_ci_u32_e64 v5, null, v25, v1, vcc_lo
	s_waitcnt vmcnt(0)
	v_mul_f32_e32 v6, s9, v27
	v_fmac_f32_e32 v6, s4, v19
	global_store_dword v[4:5], v6, off
	global_load_dword v6, v[22:23], off offset:64
	s_waitcnt vmcnt(0)
	v_mul_f32_e32 v6, s9, v6
	v_fmac_f32_e32 v6, s4, v21
	global_store_dword v[4:5], v6, off offset:64
	global_load_dword v6, v[22:23], off offset:128
	s_waitcnt vmcnt(0)
	v_mul_f32_e32 v6, s9, v6
	v_fmac_f32_e32 v6, s4, v20
	v_add_co_u32 v20, vcc_lo, v7, s2
	v_add_co_ci_u32_e64 v21, null, s3, v26, vcc_lo
	global_store_dword v[4:5], v6, off offset:128
	global_load_dword v6, v[22:23], off offset:192
	s_waitcnt vmcnt(0)
	v_mul_f32_e32 v19, s9, v6
	v_add_co_u32 v6, vcc_lo, v20, v0
	v_add_co_ci_u32_e64 v7, null, v21, v1, vcc_lo
	v_fmac_f32_e32 v19, s4, v18
	v_add_co_u32 v18, vcc_lo, v24, s0
	global_store_dword v[4:5], v19, off offset:192
	global_load_dword v4, v[6:7], off
	v_add_co_ci_u32_e64 v19, null, s1, v25, vcc_lo
	s_waitcnt vmcnt(0)
	v_mul_f32_e32 v22, s9, v4
	v_add_co_u32 v4, vcc_lo, v18, v0
	v_add_co_ci_u32_e64 v5, null, v19, v1, vcc_lo
	v_fmac_f32_e32 v22, s4, v17
	global_store_dword v[4:5], v22, off
	global_load_dword v17, v[6:7], off offset:64
	s_waitcnt vmcnt(0)
	v_mul_f32_e32 v17, s9, v17
	v_fmac_f32_e32 v17, s4, v16
	global_store_dword v[4:5], v17, off offset:64
	global_load_dword v16, v[6:7], off offset:128
	s_waitcnt vmcnt(0)
	v_mul_f32_e32 v16, s9, v16
	v_fmac_f32_e32 v16, s4, v15
	global_store_dword v[4:5], v16, off offset:128
	global_load_dword v6, v[6:7], off offset:192
	v_add_co_u32 v16, vcc_lo, v20, s2
	v_add_co_ci_u32_e64 v17, null, s3, v21, vcc_lo
	s_waitcnt vmcnt(0)
	v_mul_f32_e32 v15, s9, v6
	v_add_co_u32 v6, vcc_lo, v16, v0
	v_add_co_ci_u32_e64 v7, null, v17, v1, vcc_lo
	v_fmac_f32_e32 v15, s4, v14
	v_add_co_u32 v14, vcc_lo, v18, s0
	global_store_dword v[4:5], v15, off offset:192
	global_load_dword v4, v[6:7], off
	v_add_co_ci_u32_e64 v15, null, s1, v19, vcc_lo
	s_waitcnt vmcnt(0)
	v_mul_f32_e32 v18, s9, v4
	v_add_co_u32 v4, vcc_lo, v14, v0
	v_add_co_ci_u32_e64 v5, null, v15, v1, vcc_lo
	v_fmac_f32_e32 v18, s4, v13
	global_store_dword v[4:5], v18, off
	global_load_dword v13, v[6:7], off offset:64
	s_waitcnt vmcnt(0)
	v_mul_f32_e32 v13, s9, v13
	v_fmac_f32_e32 v13, s4, v12
	global_store_dword v[4:5], v13, off offset:64
	global_load_dword v12, v[6:7], off offset:128
	s_waitcnt vmcnt(0)
	v_mul_f32_e32 v12, s9, v12
	v_fmac_f32_e32 v12, s4, v11
	global_store_dword v[4:5], v12, off offset:128
	global_load_dword v6, v[6:7], off offset:192
	s_waitcnt vmcnt(0)
	v_mul_f32_e32 v11, s9, v6
	v_add_co_u32 v6, vcc_lo, v16, s2
	v_add_co_ci_u32_e64 v7, null, s3, v17, vcc_lo
	v_fmac_f32_e32 v11, s4, v10
	v_add_co_u32 v6, vcc_lo, v6, v0
	v_add_co_ci_u32_e64 v7, null, v7, v1, vcc_lo
	global_store_dword v[4:5], v11, off offset:192
	v_add_co_u32 v5, vcc_lo, v14, s0
	global_load_dword v4, v[6:7], off
	v_add_co_ci_u32_e64 v10, null, s1, v15, vcc_lo
	v_add_co_u32 v0, vcc_lo, v5, v0
	v_add_co_ci_u32_e64 v1, null, v10, v1, vcc_lo
	s_waitcnt vmcnt(0)
	v_mul_f32_e32 v4, s9, v4
	v_fmac_f32_e32 v4, s4, v9
	global_store_dword v[0:1], v4, off
	global_load_dword v4, v[6:7], off offset:64
	s_waitcnt vmcnt(0)
	v_mul_f32_e32 v4, s9, v4
	v_fmac_f32_e32 v4, s4, v8
	global_store_dword v[0:1], v4, off offset:64
	global_load_dword v4, v[6:7], off offset:128
	s_waitcnt vmcnt(0)
	v_mul_f32_e32 v4, s9, v4
	v_fmac_f32_e32 v4, s4, v2
	global_store_dword v[0:1], v4, off offset:128
	;; [unrolled: 5-line block ×3, first 2 shown]
.LBB313_6:
	s_endpgm
.LBB313_7:
	s_branch .LBB313_5
	.section	.rodata,"a",@progbits
	.p2align	6, 0x0
	.amdhsa_kernel _ZN12_GLOBAL__N_127rocblas_gemm_batched_kernelIfLi16ELi16ELi64ELi64ELi4ELi64ELi4ELi4ELi64ELc67ELc84EKfS1_fEEvlllT_PT11_llS4_llS2_PT12_llPT13_lli
		.amdhsa_group_segment_fixed_size 2048
		.amdhsa_private_segment_fixed_size 0
		.amdhsa_kernarg_size 140
		.amdhsa_user_sgpr_count 6
		.amdhsa_user_sgpr_private_segment_buffer 1
		.amdhsa_user_sgpr_dispatch_ptr 0
		.amdhsa_user_sgpr_queue_ptr 0
		.amdhsa_user_sgpr_kernarg_segment_ptr 1
		.amdhsa_user_sgpr_dispatch_id 0
		.amdhsa_user_sgpr_flat_scratch_init 0
		.amdhsa_user_sgpr_private_segment_size 0
		.amdhsa_wavefront_size32 1
		.amdhsa_uses_dynamic_stack 0
		.amdhsa_system_sgpr_private_segment_wavefront_offset 0
		.amdhsa_system_sgpr_workgroup_id_x 1
		.amdhsa_system_sgpr_workgroup_id_y 1
		.amdhsa_system_sgpr_workgroup_id_z 1
		.amdhsa_system_sgpr_workgroup_info 0
		.amdhsa_system_vgpr_workitem_id 1
		.amdhsa_next_free_vgpr 58
		.amdhsa_next_free_sgpr 22
		.amdhsa_reserve_vcc 1
		.amdhsa_reserve_flat_scratch 0
		.amdhsa_float_round_mode_32 0
		.amdhsa_float_round_mode_16_64 0
		.amdhsa_float_denorm_mode_32 3
		.amdhsa_float_denorm_mode_16_64 3
		.amdhsa_dx10_clamp 1
		.amdhsa_ieee_mode 1
		.amdhsa_fp16_overflow 0
		.amdhsa_workgroup_processor_mode 1
		.amdhsa_memory_ordered 1
		.amdhsa_forward_progress 1
		.amdhsa_shared_vgpr_count 0
		.amdhsa_exception_fp_ieee_invalid_op 0
		.amdhsa_exception_fp_denorm_src 0
		.amdhsa_exception_fp_ieee_div_zero 0
		.amdhsa_exception_fp_ieee_overflow 0
		.amdhsa_exception_fp_ieee_underflow 0
		.amdhsa_exception_fp_ieee_inexact 0
		.amdhsa_exception_int_div_zero 0
	.end_amdhsa_kernel
	.section	.text._ZN12_GLOBAL__N_127rocblas_gemm_batched_kernelIfLi16ELi16ELi64ELi64ELi4ELi64ELi4ELi4ELi64ELc67ELc84EKfS1_fEEvlllT_PT11_llS4_llS2_PT12_llPT13_lli,"axG",@progbits,_ZN12_GLOBAL__N_127rocblas_gemm_batched_kernelIfLi16ELi16ELi64ELi64ELi4ELi64ELi4ELi4ELi64ELc67ELc84EKfS1_fEEvlllT_PT11_llS4_llS2_PT12_llPT13_lli,comdat
.Lfunc_end313:
	.size	_ZN12_GLOBAL__N_127rocblas_gemm_batched_kernelIfLi16ELi16ELi64ELi64ELi4ELi64ELi4ELi4ELi64ELc67ELc84EKfS1_fEEvlllT_PT11_llS4_llS2_PT12_llPT13_lli, .Lfunc_end313-_ZN12_GLOBAL__N_127rocblas_gemm_batched_kernelIfLi16ELi16ELi64ELi64ELi4ELi64ELi4ELi4ELi64ELc67ELc84EKfS1_fEEvlllT_PT11_llS4_llS2_PT12_llPT13_lli
                                        ; -- End function
	.set _ZN12_GLOBAL__N_127rocblas_gemm_batched_kernelIfLi16ELi16ELi64ELi64ELi4ELi64ELi4ELi4ELi64ELc67ELc84EKfS1_fEEvlllT_PT11_llS4_llS2_PT12_llPT13_lli.num_vgpr, 58
	.set _ZN12_GLOBAL__N_127rocblas_gemm_batched_kernelIfLi16ELi16ELi64ELi64ELi4ELi64ELi4ELi4ELi64ELc67ELc84EKfS1_fEEvlllT_PT11_llS4_llS2_PT12_llPT13_lli.num_agpr, 0
	.set _ZN12_GLOBAL__N_127rocblas_gemm_batched_kernelIfLi16ELi16ELi64ELi64ELi4ELi64ELi4ELi4ELi64ELc67ELc84EKfS1_fEEvlllT_PT11_llS4_llS2_PT12_llPT13_lli.numbered_sgpr, 22
	.set _ZN12_GLOBAL__N_127rocblas_gemm_batched_kernelIfLi16ELi16ELi64ELi64ELi4ELi64ELi4ELi4ELi64ELc67ELc84EKfS1_fEEvlllT_PT11_llS4_llS2_PT12_llPT13_lli.num_named_barrier, 0
	.set _ZN12_GLOBAL__N_127rocblas_gemm_batched_kernelIfLi16ELi16ELi64ELi64ELi4ELi64ELi4ELi4ELi64ELc67ELc84EKfS1_fEEvlllT_PT11_llS4_llS2_PT12_llPT13_lli.private_seg_size, 0
	.set _ZN12_GLOBAL__N_127rocblas_gemm_batched_kernelIfLi16ELi16ELi64ELi64ELi4ELi64ELi4ELi4ELi64ELc67ELc84EKfS1_fEEvlllT_PT11_llS4_llS2_PT12_llPT13_lli.uses_vcc, 1
	.set _ZN12_GLOBAL__N_127rocblas_gemm_batched_kernelIfLi16ELi16ELi64ELi64ELi4ELi64ELi4ELi4ELi64ELc67ELc84EKfS1_fEEvlllT_PT11_llS4_llS2_PT12_llPT13_lli.uses_flat_scratch, 0
	.set _ZN12_GLOBAL__N_127rocblas_gemm_batched_kernelIfLi16ELi16ELi64ELi64ELi4ELi64ELi4ELi4ELi64ELc67ELc84EKfS1_fEEvlllT_PT11_llS4_llS2_PT12_llPT13_lli.has_dyn_sized_stack, 0
	.set _ZN12_GLOBAL__N_127rocblas_gemm_batched_kernelIfLi16ELi16ELi64ELi64ELi4ELi64ELi4ELi4ELi64ELc67ELc84EKfS1_fEEvlllT_PT11_llS4_llS2_PT12_llPT13_lli.has_recursion, 0
	.set _ZN12_GLOBAL__N_127rocblas_gemm_batched_kernelIfLi16ELi16ELi64ELi64ELi4ELi64ELi4ELi4ELi64ELc67ELc84EKfS1_fEEvlllT_PT11_llS4_llS2_PT12_llPT13_lli.has_indirect_call, 0
	.section	.AMDGPU.csdata,"",@progbits
; Kernel info:
; codeLenInByte = 2284
; TotalNumSgprs: 24
; NumVgprs: 58
; ScratchSize: 0
; MemoryBound: 0
; FloatMode: 240
; IeeeMode: 1
; LDSByteSize: 2048 bytes/workgroup (compile time only)
; SGPRBlocks: 0
; VGPRBlocks: 7
; NumSGPRsForWavesPerEU: 24
; NumVGPRsForWavesPerEU: 58
; Occupancy: 16
; WaveLimiterHint : 0
; COMPUTE_PGM_RSRC2:SCRATCH_EN: 0
; COMPUTE_PGM_RSRC2:USER_SGPR: 6
; COMPUTE_PGM_RSRC2:TRAP_HANDLER: 0
; COMPUTE_PGM_RSRC2:TGID_X_EN: 1
; COMPUTE_PGM_RSRC2:TGID_Y_EN: 1
; COMPUTE_PGM_RSRC2:TGID_Z_EN: 1
; COMPUTE_PGM_RSRC2:TIDIG_COMP_CNT: 1
	.section	.text._ZN12_GLOBAL__N_127rocblas_gemm_batched_kernelIfLi16ELi16ELi64ELi64ELi4ELi64ELi4ELi4ELi64ELc78ELc67EKfS1_fEEvlllT_PT11_llS4_llS2_PT12_llPT13_lli,"axG",@progbits,_ZN12_GLOBAL__N_127rocblas_gemm_batched_kernelIfLi16ELi16ELi64ELi64ELi4ELi64ELi4ELi4ELi64ELc78ELc67EKfS1_fEEvlllT_PT11_llS4_llS2_PT12_llPT13_lli,comdat
	.globl	_ZN12_GLOBAL__N_127rocblas_gemm_batched_kernelIfLi16ELi16ELi64ELi64ELi4ELi64ELi4ELi4ELi64ELc78ELc67EKfS1_fEEvlllT_PT11_llS4_llS2_PT12_llPT13_lli ; -- Begin function _ZN12_GLOBAL__N_127rocblas_gemm_batched_kernelIfLi16ELi16ELi64ELi64ELi4ELi64ELi4ELi4ELi64ELc78ELc67EKfS1_fEEvlllT_PT11_llS4_llS2_PT12_llPT13_lli
	.p2align	8
	.type	_ZN12_GLOBAL__N_127rocblas_gemm_batched_kernelIfLi16ELi16ELi64ELi64ELi4ELi64ELi4ELi4ELi64ELc78ELc67EKfS1_fEEvlllT_PT11_llS4_llS2_PT12_llPT13_lli,@function
_ZN12_GLOBAL__N_127rocblas_gemm_batched_kernelIfLi16ELi16ELi64ELi64ELi4ELi64ELi4ELi4ELi64ELc78ELc67EKfS1_fEEvlllT_PT11_llS4_llS2_PT12_llPT13_lli: ; @_ZN12_GLOBAL__N_127rocblas_gemm_batched_kernelIfLi16ELi16ELi64ELi64ELi4ELi64ELi4ELi4ELi64ELc78ELc67EKfS1_fEEvlllT_PT11_llS4_llS2_PT12_llPT13_lli
; %bb.0:
	s_load_dwordx2 s[20:21], s[4:5], 0x10
	s_mov_b32 s0, s7
	v_mov_b32_e32 v19, 0
	v_mov_b32_e32 v21, 0
	;; [unrolled: 1-line block ×16, first 2 shown]
	s_ashr_i32 s7, s6, 31
	s_ashr_i32 s1, s0, 31
	s_waitcnt lgkmcnt(0)
	v_cmp_lt_i64_e64 s2, s[20:21], 1
	s_lshl_b64 s[6:7], s[6:7], 6
	s_lshl_b64 s[10:11], s[0:1], 6
	s_and_b32 vcc_lo, exec_lo, s2
	s_cbranch_vccnz .LBB314_3
; %bb.1:
	v_lshlrev_b32_e32 v4, 4, v1
	s_clause 0x1
	s_load_dwordx4 s[0:3], s[4:5], 0x40
	s_load_dwordx8 s[12:19], s[4:5], 0x20
	v_and_b32_e32 v8, 3, v0
	v_lshlrev_b32_e32 v22, 2, v0
	v_add_nc_u32_e32 v3, v4, v0
	v_add_nc_u32_e32 v23, 0x400, v4
	v_lshlrev_b32_e32 v5, 2, v8
	v_lshrrev_b32_e32 v2, 2, v3
	v_and_b32_e32 v10, 63, v3
	v_lshrrev_b32_e32 v9, 6, v3
	v_mov_b32_e32 v3, 0
	v_lshl_or_b32 v5, v2, 4, v5
	v_lshlrev_b32_e32 v6, 2, v10
	v_mov_b32_e32 v11, v3
	v_mov_b32_e32 v12, v3
	v_add_nc_u32_e32 v25, 0x400, v5
	s_waitcnt lgkmcnt(0)
	v_mad_u64_u32 v[4:5], null, s0, v8, v[2:3]
	v_lshl_or_b32 v24, v9, 8, v6
	v_mad_u64_u32 v[6:7], null, s14, v9, s[6:7]
	s_mul_i32 s3, s3, s8
	s_mul_hi_u32 s9, s2, s8
	s_mul_i32 s2, s2, s8
	v_mov_b32_e32 v2, v5
	v_add_co_u32 v4, vcc_lo, v4, s10
	v_mov_b32_e32 v5, v7
	s_add_i32 s3, s9, s3
	v_mad_u64_u32 v[7:8], null, s1, v8, v[2:3]
	s_lshl_b64 s[2:3], s[2:3], 2
	v_mad_u64_u32 v[8:9], null, s15, v9, v[5:6]
	s_mul_i32 s17, s17, s8
	s_mul_hi_u32 s22, s16, s8
	s_add_u32 s9, s18, s2
	v_add_co_ci_u32_e64 v5, null, s11, v7, vcc_lo
	v_add_co_u32 v6, vcc_lo, v6, v10
	v_add_co_ci_u32_e64 v7, null, 0, v8, vcc_lo
	v_lshlrev_b64 v[4:5], 2, v[4:5]
	s_mul_i32 s16, s16, s8
	s_addc_u32 s18, s19, s3
	s_add_i32 s17, s22, s17
	v_lshlrev_b64 v[6:7], 2, v[6:7]
	s_lshl_b64 s[2:3], s[16:17], 2
	s_lshl_b64 s[0:1], s[0:1], 4
	v_add_co_u32 v4, vcc_lo, s9, v4
	s_add_u32 s2, s12, s2
	v_add_co_ci_u32_e64 v5, null, s18, v5, vcc_lo
	s_addc_u32 s3, s13, s3
	v_add_co_u32 v6, vcc_lo, s2, v6
	v_add_co_ci_u32_e64 v7, null, s3, v7, vcc_lo
	v_mov_b32_e32 v2, v3
	v_mov_b32_e32 v8, v3
	;; [unrolled: 1-line block ×13, first 2 shown]
	s_lshl_b64 s[2:3], s[14:15], 4
	s_mov_b64 s[12:13], 0
.LBB314_2:                              ; =>This Inner Loop Header: Depth=1
	global_load_dword v26, v[6:7], off
	global_load_dword v27, v[4:5], off
	s_add_u32 s12, s12, 4
	s_addc_u32 s13, s13, 0
	v_add_co_u32 v4, vcc_lo, v4, s0
	v_cmp_lt_i64_e64 s9, s[12:13], s[20:21]
	v_add_co_ci_u32_e64 v5, null, s1, v5, vcc_lo
	v_add_co_u32 v6, vcc_lo, v6, s2
	v_add_co_ci_u32_e64 v7, null, s3, v7, vcc_lo
	s_and_b32 vcc_lo, exec_lo, s9
	s_waitcnt vmcnt(1)
	ds_write_b32 v24, v26
	s_waitcnt vmcnt(0)
	ds_write_b32 v25, v27
	s_waitcnt lgkmcnt(0)
	s_barrier
	buffer_gl0_inv
	ds_read_b128 v[26:29], v23
	ds_read2_b32 v[42:43], v22 offset1:16
	ds_read2_b32 v[44:45], v22 offset0:32 offset1:48
	ds_read_b128 v[30:33], v23 offset:256
	ds_read_b128 v[34:37], v23 offset:512
	;; [unrolled: 1-line block ×3, first 2 shown]
	ds_read2_b32 v[46:47], v22 offset0:64 offset1:80
	ds_read2_b32 v[48:49], v22 offset0:96 offset1:112
	;; [unrolled: 1-line block ×6, first 2 shown]
	s_waitcnt lgkmcnt(0)
	s_barrier
	buffer_gl0_inv
	v_fmac_f32_e32 v19, v42, v26
	v_fmac_f32_e32 v21, v43, v26
	;; [unrolled: 1-line block ×64, first 2 shown]
	s_cbranch_vccnz .LBB314_2
.LBB314_3:
	s_clause 0x3
	s_load_dwordx4 s[0:3], s[4:5], 0x78
	s_load_dword s9, s[4:5], 0x50
	s_load_dwordx8 s[12:19], s[4:5], 0x58
	s_load_dword s4, s[4:5], 0x18
	v_add_co_u32 v5, s5, s6, v0
	v_add_co_ci_u32_e64 v6, null, s7, 0, s5
	v_add_co_u32 v4, s5, s10, v1
	v_add_co_ci_u32_e64 v7, null, s11, 0, s5
	v_lshlrev_b64 v[0:1], 2, v[5:6]
	s_waitcnt lgkmcnt(0)
	s_mul_i32 s3, s3, s8
	s_mul_hi_u32 s5, s2, s8
	v_mul_lo_u32 v5, v7, s0
	v_mul_lo_u32 v6, v4, s1
	s_mul_i32 s2, s2, s8
	v_cmp_neq_f32_e64 s6, s9, 0
	s_add_i32 s3, s5, s3
	s_mov_b32 s5, 0
	s_lshl_b64 s[2:3], s[2:3], 2
	s_add_u32 s2, s18, s2
	s_addc_u32 s3, s19, s3
	s_and_b32 vcc_lo, exec_lo, s6
	s_cbranch_vccnz .LBB314_7
; %bb.4:
	v_mad_u64_u32 v[22:23], null, v4, s0, 0
	s_lshl_b64 s[6:7], s[0:1], 6
	v_mul_f32_e32 v26, s4, v19
	v_mul_f32_e32 v27, s4, v21
	;; [unrolled: 1-line block ×5, first 2 shown]
	v_add3_u32 v23, v23, v6, v5
	v_mul_f32_e32 v31, s4, v16
	v_mul_f32_e32 v32, s4, v15
	;; [unrolled: 1-line block ×3, first 2 shown]
	v_lshlrev_b64 v[22:23], 2, v[22:23]
	v_add_co_u32 v22, vcc_lo, s2, v22
	v_add_co_ci_u32_e64 v23, null, s3, v23, vcc_lo
	v_add_co_u32 v34, vcc_lo, v22, s6
	v_add_co_ci_u32_e64 v35, null, s7, v23, vcc_lo
	;; [unrolled: 2-line block ×4, first 2 shown]
	global_store_dword v[22:23], v26, off
	global_store_dword v[22:23], v27, off offset:64
	global_store_dword v[22:23], v28, off offset:128
	;; [unrolled: 1-line block ×3, first 2 shown]
	global_store_dword v[24:25], v30, off
	global_store_dword v[24:25], v31, off offset:64
	v_add_co_u32 v26, vcc_lo, v34, s6
	v_add_co_ci_u32_e64 v27, null, s7, v35, vcc_lo
	v_mul_f32_e32 v28, s4, v13
	v_add_co_u32 v22, vcc_lo, v26, v0
	v_add_co_ci_u32_e64 v23, null, v27, v1, vcc_lo
	v_mul_f32_e32 v29, s4, v12
	v_mul_f32_e32 v30, s4, v11
	global_store_dword v[24:25], v32, off offset:128
	global_store_dword v[24:25], v33, off offset:192
	global_store_dword v[22:23], v28, off
	global_store_dword v[22:23], v29, off offset:64
	global_store_dword v[22:23], v30, off offset:128
	v_add_co_u32 v24, vcc_lo, v26, s6
	v_add_co_ci_u32_e64 v25, null, s7, v27, vcc_lo
	v_mul_f32_e32 v28, s4, v10
	v_add_co_u32 v24, vcc_lo, v24, v0
	v_mul_f32_e32 v26, s4, v9
	v_add_co_ci_u32_e64 v25, null, v25, v1, vcc_lo
	v_mul_f32_e32 v27, s4, v8
	v_mul_f32_e32 v29, s4, v2
	;; [unrolled: 1-line block ×3, first 2 shown]
	global_store_dword v[22:23], v28, off offset:192
	global_store_dword v[24:25], v26, off
	global_store_dword v[24:25], v27, off offset:64
	global_store_dword v[24:25], v29, off offset:128
	;; [unrolled: 1-line block ×3, first 2 shown]
	s_andn2_b32 vcc_lo, exec_lo, s5
	s_cbranch_vccnz .LBB314_6
.LBB314_5:
	v_mul_lo_u32 v7, v7, s14
	v_mul_lo_u32 v24, v4, s15
	v_mad_u64_u32 v[22:23], null, v4, s14, 0
	s_mul_i32 s5, s17, s8
	s_mul_hi_u32 s7, s16, s8
	s_mul_i32 s6, s16, s8
	s_add_i32 s7, s7, s5
	s_lshl_b64 s[6:7], s[6:7], 2
	v_add3_u32 v23, v23, v24, v7
	s_add_u32 s5, s12, s6
	s_addc_u32 s6, s13, s7
	v_mad_u64_u32 v[24:25], null, v4, s0, 0
	v_lshlrev_b64 v[22:23], 2, v[22:23]
	s_lshl_b64 s[0:1], s[0:1], 6
	v_add3_u32 v25, v25, v6, v5
	v_add_co_u32 v7, vcc_lo, s5, v22
	v_add_co_ci_u32_e64 v26, null, s6, v23, vcc_lo
	v_lshlrev_b64 v[4:5], 2, v[24:25]
	v_add_co_u32 v22, vcc_lo, v7, v0
	v_add_co_ci_u32_e64 v23, null, v26, v1, vcc_lo
	v_add_co_u32 v24, vcc_lo, s2, v4
	global_load_dword v27, v[22:23], off
	v_add_co_ci_u32_e64 v25, null, s3, v5, vcc_lo
	v_add_co_u32 v4, vcc_lo, v24, v0
	s_lshl_b64 s[2:3], s[14:15], 6
	v_add_co_ci_u32_e64 v5, null, v25, v1, vcc_lo
	s_waitcnt vmcnt(0)
	v_mul_f32_e32 v6, s9, v27
	v_fmac_f32_e32 v6, s4, v19
	global_store_dword v[4:5], v6, off
	global_load_dword v6, v[22:23], off offset:64
	s_waitcnt vmcnt(0)
	v_mul_f32_e32 v6, s9, v6
	v_fmac_f32_e32 v6, s4, v21
	global_store_dword v[4:5], v6, off offset:64
	global_load_dword v6, v[22:23], off offset:128
	s_waitcnt vmcnt(0)
	v_mul_f32_e32 v6, s9, v6
	v_fmac_f32_e32 v6, s4, v20
	v_add_co_u32 v20, vcc_lo, v7, s2
	v_add_co_ci_u32_e64 v21, null, s3, v26, vcc_lo
	global_store_dword v[4:5], v6, off offset:128
	global_load_dword v6, v[22:23], off offset:192
	s_waitcnt vmcnt(0)
	v_mul_f32_e32 v19, s9, v6
	v_add_co_u32 v6, vcc_lo, v20, v0
	v_add_co_ci_u32_e64 v7, null, v21, v1, vcc_lo
	v_fmac_f32_e32 v19, s4, v18
	v_add_co_u32 v18, vcc_lo, v24, s0
	global_store_dword v[4:5], v19, off offset:192
	global_load_dword v4, v[6:7], off
	v_add_co_ci_u32_e64 v19, null, s1, v25, vcc_lo
	s_waitcnt vmcnt(0)
	v_mul_f32_e32 v22, s9, v4
	v_add_co_u32 v4, vcc_lo, v18, v0
	v_add_co_ci_u32_e64 v5, null, v19, v1, vcc_lo
	v_fmac_f32_e32 v22, s4, v17
	global_store_dword v[4:5], v22, off
	global_load_dword v17, v[6:7], off offset:64
	s_waitcnt vmcnt(0)
	v_mul_f32_e32 v17, s9, v17
	v_fmac_f32_e32 v17, s4, v16
	global_store_dword v[4:5], v17, off offset:64
	global_load_dword v16, v[6:7], off offset:128
	s_waitcnt vmcnt(0)
	v_mul_f32_e32 v16, s9, v16
	v_fmac_f32_e32 v16, s4, v15
	global_store_dword v[4:5], v16, off offset:128
	global_load_dword v6, v[6:7], off offset:192
	v_add_co_u32 v16, vcc_lo, v20, s2
	v_add_co_ci_u32_e64 v17, null, s3, v21, vcc_lo
	s_waitcnt vmcnt(0)
	v_mul_f32_e32 v15, s9, v6
	v_add_co_u32 v6, vcc_lo, v16, v0
	v_add_co_ci_u32_e64 v7, null, v17, v1, vcc_lo
	v_fmac_f32_e32 v15, s4, v14
	v_add_co_u32 v14, vcc_lo, v18, s0
	global_store_dword v[4:5], v15, off offset:192
	global_load_dword v4, v[6:7], off
	v_add_co_ci_u32_e64 v15, null, s1, v19, vcc_lo
	s_waitcnt vmcnt(0)
	v_mul_f32_e32 v18, s9, v4
	v_add_co_u32 v4, vcc_lo, v14, v0
	v_add_co_ci_u32_e64 v5, null, v15, v1, vcc_lo
	v_fmac_f32_e32 v18, s4, v13
	global_store_dword v[4:5], v18, off
	global_load_dword v13, v[6:7], off offset:64
	s_waitcnt vmcnt(0)
	v_mul_f32_e32 v13, s9, v13
	v_fmac_f32_e32 v13, s4, v12
	global_store_dword v[4:5], v13, off offset:64
	global_load_dword v12, v[6:7], off offset:128
	s_waitcnt vmcnt(0)
	v_mul_f32_e32 v12, s9, v12
	v_fmac_f32_e32 v12, s4, v11
	global_store_dword v[4:5], v12, off offset:128
	global_load_dword v6, v[6:7], off offset:192
	s_waitcnt vmcnt(0)
	v_mul_f32_e32 v11, s9, v6
	v_add_co_u32 v6, vcc_lo, v16, s2
	v_add_co_ci_u32_e64 v7, null, s3, v17, vcc_lo
	v_fmac_f32_e32 v11, s4, v10
	v_add_co_u32 v6, vcc_lo, v6, v0
	v_add_co_ci_u32_e64 v7, null, v7, v1, vcc_lo
	global_store_dword v[4:5], v11, off offset:192
	v_add_co_u32 v5, vcc_lo, v14, s0
	global_load_dword v4, v[6:7], off
	v_add_co_ci_u32_e64 v10, null, s1, v15, vcc_lo
	v_add_co_u32 v0, vcc_lo, v5, v0
	v_add_co_ci_u32_e64 v1, null, v10, v1, vcc_lo
	s_waitcnt vmcnt(0)
	v_mul_f32_e32 v4, s9, v4
	v_fmac_f32_e32 v4, s4, v9
	global_store_dword v[0:1], v4, off
	global_load_dword v4, v[6:7], off offset:64
	s_waitcnt vmcnt(0)
	v_mul_f32_e32 v4, s9, v4
	v_fmac_f32_e32 v4, s4, v8
	global_store_dword v[0:1], v4, off offset:64
	global_load_dword v4, v[6:7], off offset:128
	s_waitcnt vmcnt(0)
	v_mul_f32_e32 v4, s9, v4
	v_fmac_f32_e32 v4, s4, v2
	global_store_dword v[0:1], v4, off offset:128
	global_load_dword v2, v[6:7], off offset:192
	s_waitcnt vmcnt(0)
	v_mul_f32_e32 v2, s9, v2
	v_fmac_f32_e32 v2, s4, v3
	global_store_dword v[0:1], v2, off offset:192
.LBB314_6:
	s_endpgm
.LBB314_7:
	s_branch .LBB314_5
	.section	.rodata,"a",@progbits
	.p2align	6, 0x0
	.amdhsa_kernel _ZN12_GLOBAL__N_127rocblas_gemm_batched_kernelIfLi16ELi16ELi64ELi64ELi4ELi64ELi4ELi4ELi64ELc78ELc67EKfS1_fEEvlllT_PT11_llS4_llS2_PT12_llPT13_lli
		.amdhsa_group_segment_fixed_size 2048
		.amdhsa_private_segment_fixed_size 0
		.amdhsa_kernarg_size 140
		.amdhsa_user_sgpr_count 6
		.amdhsa_user_sgpr_private_segment_buffer 1
		.amdhsa_user_sgpr_dispatch_ptr 0
		.amdhsa_user_sgpr_queue_ptr 0
		.amdhsa_user_sgpr_kernarg_segment_ptr 1
		.amdhsa_user_sgpr_dispatch_id 0
		.amdhsa_user_sgpr_flat_scratch_init 0
		.amdhsa_user_sgpr_private_segment_size 0
		.amdhsa_wavefront_size32 1
		.amdhsa_uses_dynamic_stack 0
		.amdhsa_system_sgpr_private_segment_wavefront_offset 0
		.amdhsa_system_sgpr_workgroup_id_x 1
		.amdhsa_system_sgpr_workgroup_id_y 1
		.amdhsa_system_sgpr_workgroup_id_z 1
		.amdhsa_system_sgpr_workgroup_info 0
		.amdhsa_system_vgpr_workitem_id 1
		.amdhsa_next_free_vgpr 58
		.amdhsa_next_free_sgpr 23
		.amdhsa_reserve_vcc 1
		.amdhsa_reserve_flat_scratch 0
		.amdhsa_float_round_mode_32 0
		.amdhsa_float_round_mode_16_64 0
		.amdhsa_float_denorm_mode_32 3
		.amdhsa_float_denorm_mode_16_64 3
		.amdhsa_dx10_clamp 1
		.amdhsa_ieee_mode 1
		.amdhsa_fp16_overflow 0
		.amdhsa_workgroup_processor_mode 1
		.amdhsa_memory_ordered 1
		.amdhsa_forward_progress 1
		.amdhsa_shared_vgpr_count 0
		.amdhsa_exception_fp_ieee_invalid_op 0
		.amdhsa_exception_fp_denorm_src 0
		.amdhsa_exception_fp_ieee_div_zero 0
		.amdhsa_exception_fp_ieee_overflow 0
		.amdhsa_exception_fp_ieee_underflow 0
		.amdhsa_exception_fp_ieee_inexact 0
		.amdhsa_exception_int_div_zero 0
	.end_amdhsa_kernel
	.section	.text._ZN12_GLOBAL__N_127rocblas_gemm_batched_kernelIfLi16ELi16ELi64ELi64ELi4ELi64ELi4ELi4ELi64ELc78ELc67EKfS1_fEEvlllT_PT11_llS4_llS2_PT12_llPT13_lli,"axG",@progbits,_ZN12_GLOBAL__N_127rocblas_gemm_batched_kernelIfLi16ELi16ELi64ELi64ELi4ELi64ELi4ELi4ELi64ELc78ELc67EKfS1_fEEvlllT_PT11_llS4_llS2_PT12_llPT13_lli,comdat
.Lfunc_end314:
	.size	_ZN12_GLOBAL__N_127rocblas_gemm_batched_kernelIfLi16ELi16ELi64ELi64ELi4ELi64ELi4ELi4ELi64ELc78ELc67EKfS1_fEEvlllT_PT11_llS4_llS2_PT12_llPT13_lli, .Lfunc_end314-_ZN12_GLOBAL__N_127rocblas_gemm_batched_kernelIfLi16ELi16ELi64ELi64ELi4ELi64ELi4ELi4ELi64ELc78ELc67EKfS1_fEEvlllT_PT11_llS4_llS2_PT12_llPT13_lli
                                        ; -- End function
	.set _ZN12_GLOBAL__N_127rocblas_gemm_batched_kernelIfLi16ELi16ELi64ELi64ELi4ELi64ELi4ELi4ELi64ELc78ELc67EKfS1_fEEvlllT_PT11_llS4_llS2_PT12_llPT13_lli.num_vgpr, 58
	.set _ZN12_GLOBAL__N_127rocblas_gemm_batched_kernelIfLi16ELi16ELi64ELi64ELi4ELi64ELi4ELi4ELi64ELc78ELc67EKfS1_fEEvlllT_PT11_llS4_llS2_PT12_llPT13_lli.num_agpr, 0
	.set _ZN12_GLOBAL__N_127rocblas_gemm_batched_kernelIfLi16ELi16ELi64ELi64ELi4ELi64ELi4ELi4ELi64ELc78ELc67EKfS1_fEEvlllT_PT11_llS4_llS2_PT12_llPT13_lli.numbered_sgpr, 23
	.set _ZN12_GLOBAL__N_127rocblas_gemm_batched_kernelIfLi16ELi16ELi64ELi64ELi4ELi64ELi4ELi4ELi64ELc78ELc67EKfS1_fEEvlllT_PT11_llS4_llS2_PT12_llPT13_lli.num_named_barrier, 0
	.set _ZN12_GLOBAL__N_127rocblas_gemm_batched_kernelIfLi16ELi16ELi64ELi64ELi4ELi64ELi4ELi4ELi64ELc78ELc67EKfS1_fEEvlllT_PT11_llS4_llS2_PT12_llPT13_lli.private_seg_size, 0
	.set _ZN12_GLOBAL__N_127rocblas_gemm_batched_kernelIfLi16ELi16ELi64ELi64ELi4ELi64ELi4ELi4ELi64ELc78ELc67EKfS1_fEEvlllT_PT11_llS4_llS2_PT12_llPT13_lli.uses_vcc, 1
	.set _ZN12_GLOBAL__N_127rocblas_gemm_batched_kernelIfLi16ELi16ELi64ELi64ELi4ELi64ELi4ELi4ELi64ELc78ELc67EKfS1_fEEvlllT_PT11_llS4_llS2_PT12_llPT13_lli.uses_flat_scratch, 0
	.set _ZN12_GLOBAL__N_127rocblas_gemm_batched_kernelIfLi16ELi16ELi64ELi64ELi4ELi64ELi4ELi4ELi64ELc78ELc67EKfS1_fEEvlllT_PT11_llS4_llS2_PT12_llPT13_lli.has_dyn_sized_stack, 0
	.set _ZN12_GLOBAL__N_127rocblas_gemm_batched_kernelIfLi16ELi16ELi64ELi64ELi4ELi64ELi4ELi4ELi64ELc78ELc67EKfS1_fEEvlllT_PT11_llS4_llS2_PT12_llPT13_lli.has_recursion, 0
	.set _ZN12_GLOBAL__N_127rocblas_gemm_batched_kernelIfLi16ELi16ELi64ELi64ELi4ELi64ELi4ELi4ELi64ELc78ELc67EKfS1_fEEvlllT_PT11_llS4_llS2_PT12_llPT13_lli.has_indirect_call, 0
	.section	.AMDGPU.csdata,"",@progbits
; Kernel info:
; codeLenInByte = 2248
; TotalNumSgprs: 25
; NumVgprs: 58
; ScratchSize: 0
; MemoryBound: 0
; FloatMode: 240
; IeeeMode: 1
; LDSByteSize: 2048 bytes/workgroup (compile time only)
; SGPRBlocks: 0
; VGPRBlocks: 7
; NumSGPRsForWavesPerEU: 25
; NumVGPRsForWavesPerEU: 58
; Occupancy: 16
; WaveLimiterHint : 0
; COMPUTE_PGM_RSRC2:SCRATCH_EN: 0
; COMPUTE_PGM_RSRC2:USER_SGPR: 6
; COMPUTE_PGM_RSRC2:TRAP_HANDLER: 0
; COMPUTE_PGM_RSRC2:TGID_X_EN: 1
; COMPUTE_PGM_RSRC2:TGID_Y_EN: 1
; COMPUTE_PGM_RSRC2:TGID_Z_EN: 1
; COMPUTE_PGM_RSRC2:TIDIG_COMP_CNT: 1
	.section	.text._ZN12_GLOBAL__N_127rocblas_gemm_batched_kernelIfLi16ELi16ELi64ELi64ELi4ELi64ELi4ELi4ELi64ELc84ELc67EKfS1_fEEvlllT_PT11_llS4_llS2_PT12_llPT13_lli,"axG",@progbits,_ZN12_GLOBAL__N_127rocblas_gemm_batched_kernelIfLi16ELi16ELi64ELi64ELi4ELi64ELi4ELi4ELi64ELc84ELc67EKfS1_fEEvlllT_PT11_llS4_llS2_PT12_llPT13_lli,comdat
	.globl	_ZN12_GLOBAL__N_127rocblas_gemm_batched_kernelIfLi16ELi16ELi64ELi64ELi4ELi64ELi4ELi4ELi64ELc84ELc67EKfS1_fEEvlllT_PT11_llS4_llS2_PT12_llPT13_lli ; -- Begin function _ZN12_GLOBAL__N_127rocblas_gemm_batched_kernelIfLi16ELi16ELi64ELi64ELi4ELi64ELi4ELi4ELi64ELc84ELc67EKfS1_fEEvlllT_PT11_llS4_llS2_PT12_llPT13_lli
	.p2align	8
	.type	_ZN12_GLOBAL__N_127rocblas_gemm_batched_kernelIfLi16ELi16ELi64ELi64ELi4ELi64ELi4ELi4ELi64ELc84ELc67EKfS1_fEEvlllT_PT11_llS4_llS2_PT12_llPT13_lli,@function
_ZN12_GLOBAL__N_127rocblas_gemm_batched_kernelIfLi16ELi16ELi64ELi64ELi4ELi64ELi4ELi4ELi64ELc84ELc67EKfS1_fEEvlllT_PT11_llS4_llS2_PT12_llPT13_lli: ; @_ZN12_GLOBAL__N_127rocblas_gemm_batched_kernelIfLi16ELi16ELi64ELi64ELi4ELi64ELi4ELi4ELi64ELc84ELc67EKfS1_fEEvlllT_PT11_llS4_llS2_PT12_llPT13_lli
; %bb.0:
	s_load_dwordx2 s[20:21], s[4:5], 0x10
	s_mov_b32 s0, s7
	v_mov_b32_e32 v19, 0
	v_mov_b32_e32 v21, 0
	;; [unrolled: 1-line block ×16, first 2 shown]
	s_ashr_i32 s7, s6, 31
	s_ashr_i32 s1, s0, 31
	s_waitcnt lgkmcnt(0)
	v_cmp_lt_i64_e64 s2, s[20:21], 1
	s_lshl_b64 s[6:7], s[6:7], 6
	s_lshl_b64 s[10:11], s[0:1], 6
	s_and_b32 vcc_lo, exec_lo, s2
	s_cbranch_vccnz .LBB315_3
; %bb.1:
	v_lshlrev_b32_e32 v4, 4, v1
	s_clause 0x1
	s_load_dwordx4 s[0:3], s[4:5], 0x40
	s_load_dwordx8 s[12:19], s[4:5], 0x20
	v_and_b32_e32 v8, 3, v0
	v_mov_b32_e32 v3, 0
	v_add_nc_u32_e32 v5, v4, v0
	v_add_nc_u32_e32 v23, 0x400, v4
	v_lshlrev_b32_e32 v22, 2, v0
	v_lshlrev_b32_e32 v6, 2, v8
	v_mov_b32_e32 v13, v3
	v_and_b32_e32 v7, 63, v5
	v_lshrrev_b32_e32 v2, 2, v5
	v_lshrrev_b32_e32 v10, 6, v5
	v_mov_b32_e32 v14, v3
	v_mov_b32_e32 v15, v3
	v_lshlrev_b32_e32 v4, 2, v7
	v_lshl_or_b32 v9, v2, 4, v6
	v_add_co_u32 v6, s9, s6, v7
	v_add_co_ci_u32_e64 v7, null, s7, 0, s9
	v_lshl_or_b32 v24, v10, 8, v4
	s_waitcnt lgkmcnt(0)
	v_mad_u64_u32 v[4:5], null, s0, v8, v[2:3]
	v_mul_lo_u32 v11, s15, v6
	v_mul_lo_u32 v12, s14, v7
	v_mad_u64_u32 v[6:7], null, s14, v6, 0
	s_mul_i32 s3, s3, s8
	s_mul_hi_u32 s9, s2, s8
	v_mov_b32_e32 v2, v5
	s_mul_i32 s2, s2, s8
	s_add_i32 s3, s9, s3
	v_add_nc_u32_e32 v25, 0x400, v9
	v_add3_u32 v7, v7, v12, v11
	v_mad_u64_u32 v[8:9], null, s1, v8, v[2:3]
	s_lshl_b64 s[2:3], s[2:3], 2
	v_lshlrev_b32_e32 v2, 2, v10
	s_add_u32 s9, s18, s2
	s_addc_u32 s14, s19, s3
	s_mul_i32 s2, s17, s8
	s_mul_hi_u32 s3, s16, s8
	v_lshlrev_b64 v[5:6], 2, v[6:7]
	v_add_co_u32 v7, vcc_lo, v4, s10
	s_add_i32 s3, s3, s2
	s_mul_i32 s2, s16, s8
	v_add_co_ci_u32_e64 v8, null, s11, v8, vcc_lo
	s_lshl_b64 s[2:3], s[2:3], 2
	v_mov_b32_e32 v10, v3
	v_add_co_u32 v9, vcc_lo, v5, s2
	v_add_co_ci_u32_e64 v6, null, s3, v6, vcc_lo
	v_lshlrev_b64 v[4:5], 2, v[7:8]
	v_add_co_u32 v2, vcc_lo, v9, v2
	v_add_co_ci_u32_e64 v7, null, 0, v6, vcc_lo
	v_mov_b32_e32 v8, v3
	v_add_co_u32 v4, vcc_lo, s9, v4
	v_add_co_ci_u32_e64 v5, null, s14, v5, vcc_lo
	v_add_co_u32 v6, vcc_lo, s12, v2
	v_add_co_ci_u32_e64 v7, null, s13, v7, vcc_lo
	v_mov_b32_e32 v2, v3
	v_mov_b32_e32 v9, v3
	;; [unrolled: 1-line block ×10, first 2 shown]
	s_lshl_b64 s[0:1], s[0:1], 4
	s_mov_b64 s[2:3], 0
.LBB315_2:                              ; =>This Inner Loop Header: Depth=1
	global_load_dword v26, v[6:7], off
	global_load_dword v27, v[4:5], off
	s_add_u32 s2, s2, 4
	s_addc_u32 s3, s3, 0
	v_add_co_u32 v4, vcc_lo, v4, s0
	v_cmp_lt_i64_e64 s9, s[2:3], s[20:21]
	v_add_co_ci_u32_e64 v5, null, s1, v5, vcc_lo
	v_add_co_u32 v6, vcc_lo, v6, 16
	v_add_co_ci_u32_e64 v7, null, 0, v7, vcc_lo
	s_and_b32 vcc_lo, exec_lo, s9
	s_waitcnt vmcnt(1)
	ds_write_b32 v24, v26
	s_waitcnt vmcnt(0)
	ds_write_b32 v25, v27
	s_waitcnt lgkmcnt(0)
	s_barrier
	buffer_gl0_inv
	ds_read_b128 v[26:29], v23
	ds_read2_b32 v[42:43], v22 offset1:16
	ds_read2_b32 v[44:45], v22 offset0:32 offset1:48
	ds_read_b128 v[30:33], v23 offset:256
	ds_read_b128 v[34:37], v23 offset:512
	;; [unrolled: 1-line block ×3, first 2 shown]
	ds_read2_b32 v[46:47], v22 offset0:64 offset1:80
	ds_read2_b32 v[48:49], v22 offset0:96 offset1:112
	;; [unrolled: 1-line block ×6, first 2 shown]
	s_waitcnt lgkmcnt(0)
	s_barrier
	buffer_gl0_inv
	v_fmac_f32_e32 v19, v42, v26
	v_fmac_f32_e32 v21, v43, v26
	;; [unrolled: 1-line block ×64, first 2 shown]
	s_cbranch_vccnz .LBB315_2
.LBB315_3:
	s_clause 0x3
	s_load_dwordx4 s[0:3], s[4:5], 0x78
	s_load_dword s9, s[4:5], 0x50
	s_load_dwordx8 s[12:19], s[4:5], 0x58
	s_load_dword s4, s[4:5], 0x18
	v_add_co_u32 v5, s5, s6, v0
	v_add_co_ci_u32_e64 v6, null, s7, 0, s5
	v_add_co_u32 v4, s5, s10, v1
	v_add_co_ci_u32_e64 v7, null, s11, 0, s5
	v_lshlrev_b64 v[0:1], 2, v[5:6]
	s_waitcnt lgkmcnt(0)
	s_mul_i32 s3, s3, s8
	s_mul_hi_u32 s5, s2, s8
	v_mul_lo_u32 v5, v7, s0
	v_mul_lo_u32 v6, v4, s1
	s_mul_i32 s2, s2, s8
	v_cmp_neq_f32_e64 s6, s9, 0
	s_add_i32 s3, s5, s3
	s_mov_b32 s5, 0
	s_lshl_b64 s[2:3], s[2:3], 2
	s_add_u32 s2, s18, s2
	s_addc_u32 s3, s19, s3
	s_and_b32 vcc_lo, exec_lo, s6
	s_cbranch_vccnz .LBB315_7
; %bb.4:
	v_mad_u64_u32 v[22:23], null, v4, s0, 0
	s_lshl_b64 s[6:7], s[0:1], 6
	v_mul_f32_e32 v26, s4, v19
	v_mul_f32_e32 v27, s4, v21
	;; [unrolled: 1-line block ×5, first 2 shown]
	v_add3_u32 v23, v23, v6, v5
	v_mul_f32_e32 v31, s4, v16
	v_mul_f32_e32 v32, s4, v15
	;; [unrolled: 1-line block ×3, first 2 shown]
	v_lshlrev_b64 v[22:23], 2, v[22:23]
	v_add_co_u32 v22, vcc_lo, s2, v22
	v_add_co_ci_u32_e64 v23, null, s3, v23, vcc_lo
	v_add_co_u32 v34, vcc_lo, v22, s6
	v_add_co_ci_u32_e64 v35, null, s7, v23, vcc_lo
	;; [unrolled: 2-line block ×4, first 2 shown]
	global_store_dword v[22:23], v26, off
	global_store_dword v[22:23], v27, off offset:64
	global_store_dword v[22:23], v28, off offset:128
	;; [unrolled: 1-line block ×3, first 2 shown]
	global_store_dword v[24:25], v30, off
	global_store_dword v[24:25], v31, off offset:64
	v_add_co_u32 v26, vcc_lo, v34, s6
	v_add_co_ci_u32_e64 v27, null, s7, v35, vcc_lo
	v_mul_f32_e32 v28, s4, v13
	v_add_co_u32 v22, vcc_lo, v26, v0
	v_add_co_ci_u32_e64 v23, null, v27, v1, vcc_lo
	v_mul_f32_e32 v29, s4, v12
	v_mul_f32_e32 v30, s4, v11
	global_store_dword v[24:25], v32, off offset:128
	global_store_dword v[24:25], v33, off offset:192
	global_store_dword v[22:23], v28, off
	global_store_dword v[22:23], v29, off offset:64
	global_store_dword v[22:23], v30, off offset:128
	v_add_co_u32 v24, vcc_lo, v26, s6
	v_add_co_ci_u32_e64 v25, null, s7, v27, vcc_lo
	v_mul_f32_e32 v28, s4, v10
	v_add_co_u32 v24, vcc_lo, v24, v0
	v_mul_f32_e32 v26, s4, v9
	v_add_co_ci_u32_e64 v25, null, v25, v1, vcc_lo
	v_mul_f32_e32 v27, s4, v8
	v_mul_f32_e32 v29, s4, v2
	;; [unrolled: 1-line block ×3, first 2 shown]
	global_store_dword v[22:23], v28, off offset:192
	global_store_dword v[24:25], v26, off
	global_store_dword v[24:25], v27, off offset:64
	global_store_dword v[24:25], v29, off offset:128
	;; [unrolled: 1-line block ×3, first 2 shown]
	s_andn2_b32 vcc_lo, exec_lo, s5
	s_cbranch_vccnz .LBB315_6
.LBB315_5:
	v_mul_lo_u32 v7, v7, s14
	v_mul_lo_u32 v24, v4, s15
	v_mad_u64_u32 v[22:23], null, v4, s14, 0
	s_mul_i32 s5, s17, s8
	s_mul_hi_u32 s7, s16, s8
	s_mul_i32 s6, s16, s8
	s_add_i32 s7, s7, s5
	s_lshl_b64 s[6:7], s[6:7], 2
	v_add3_u32 v23, v23, v24, v7
	s_add_u32 s5, s12, s6
	s_addc_u32 s6, s13, s7
	v_mad_u64_u32 v[24:25], null, v4, s0, 0
	v_lshlrev_b64 v[22:23], 2, v[22:23]
	s_lshl_b64 s[0:1], s[0:1], 6
	v_add3_u32 v25, v25, v6, v5
	v_add_co_u32 v7, vcc_lo, s5, v22
	v_add_co_ci_u32_e64 v26, null, s6, v23, vcc_lo
	v_lshlrev_b64 v[4:5], 2, v[24:25]
	v_add_co_u32 v22, vcc_lo, v7, v0
	v_add_co_ci_u32_e64 v23, null, v26, v1, vcc_lo
	v_add_co_u32 v24, vcc_lo, s2, v4
	global_load_dword v27, v[22:23], off
	v_add_co_ci_u32_e64 v25, null, s3, v5, vcc_lo
	v_add_co_u32 v4, vcc_lo, v24, v0
	s_lshl_b64 s[2:3], s[14:15], 6
	v_add_co_ci_u32_e64 v5, null, v25, v1, vcc_lo
	s_waitcnt vmcnt(0)
	v_mul_f32_e32 v6, s9, v27
	v_fmac_f32_e32 v6, s4, v19
	global_store_dword v[4:5], v6, off
	global_load_dword v6, v[22:23], off offset:64
	s_waitcnt vmcnt(0)
	v_mul_f32_e32 v6, s9, v6
	v_fmac_f32_e32 v6, s4, v21
	global_store_dword v[4:5], v6, off offset:64
	global_load_dword v6, v[22:23], off offset:128
	s_waitcnt vmcnt(0)
	v_mul_f32_e32 v6, s9, v6
	v_fmac_f32_e32 v6, s4, v20
	v_add_co_u32 v20, vcc_lo, v7, s2
	v_add_co_ci_u32_e64 v21, null, s3, v26, vcc_lo
	global_store_dword v[4:5], v6, off offset:128
	global_load_dword v6, v[22:23], off offset:192
	s_waitcnt vmcnt(0)
	v_mul_f32_e32 v19, s9, v6
	v_add_co_u32 v6, vcc_lo, v20, v0
	v_add_co_ci_u32_e64 v7, null, v21, v1, vcc_lo
	v_fmac_f32_e32 v19, s4, v18
	v_add_co_u32 v18, vcc_lo, v24, s0
	global_store_dword v[4:5], v19, off offset:192
	global_load_dword v4, v[6:7], off
	v_add_co_ci_u32_e64 v19, null, s1, v25, vcc_lo
	s_waitcnt vmcnt(0)
	v_mul_f32_e32 v22, s9, v4
	v_add_co_u32 v4, vcc_lo, v18, v0
	v_add_co_ci_u32_e64 v5, null, v19, v1, vcc_lo
	v_fmac_f32_e32 v22, s4, v17
	global_store_dword v[4:5], v22, off
	global_load_dword v17, v[6:7], off offset:64
	s_waitcnt vmcnt(0)
	v_mul_f32_e32 v17, s9, v17
	v_fmac_f32_e32 v17, s4, v16
	global_store_dword v[4:5], v17, off offset:64
	global_load_dword v16, v[6:7], off offset:128
	s_waitcnt vmcnt(0)
	v_mul_f32_e32 v16, s9, v16
	v_fmac_f32_e32 v16, s4, v15
	global_store_dword v[4:5], v16, off offset:128
	global_load_dword v6, v[6:7], off offset:192
	v_add_co_u32 v16, vcc_lo, v20, s2
	v_add_co_ci_u32_e64 v17, null, s3, v21, vcc_lo
	s_waitcnt vmcnt(0)
	v_mul_f32_e32 v15, s9, v6
	v_add_co_u32 v6, vcc_lo, v16, v0
	v_add_co_ci_u32_e64 v7, null, v17, v1, vcc_lo
	v_fmac_f32_e32 v15, s4, v14
	v_add_co_u32 v14, vcc_lo, v18, s0
	global_store_dword v[4:5], v15, off offset:192
	global_load_dword v4, v[6:7], off
	v_add_co_ci_u32_e64 v15, null, s1, v19, vcc_lo
	s_waitcnt vmcnt(0)
	v_mul_f32_e32 v18, s9, v4
	v_add_co_u32 v4, vcc_lo, v14, v0
	v_add_co_ci_u32_e64 v5, null, v15, v1, vcc_lo
	v_fmac_f32_e32 v18, s4, v13
	global_store_dword v[4:5], v18, off
	global_load_dword v13, v[6:7], off offset:64
	s_waitcnt vmcnt(0)
	v_mul_f32_e32 v13, s9, v13
	v_fmac_f32_e32 v13, s4, v12
	global_store_dword v[4:5], v13, off offset:64
	global_load_dword v12, v[6:7], off offset:128
	s_waitcnt vmcnt(0)
	v_mul_f32_e32 v12, s9, v12
	v_fmac_f32_e32 v12, s4, v11
	global_store_dword v[4:5], v12, off offset:128
	global_load_dword v6, v[6:7], off offset:192
	s_waitcnt vmcnt(0)
	v_mul_f32_e32 v11, s9, v6
	v_add_co_u32 v6, vcc_lo, v16, s2
	v_add_co_ci_u32_e64 v7, null, s3, v17, vcc_lo
	v_fmac_f32_e32 v11, s4, v10
	v_add_co_u32 v6, vcc_lo, v6, v0
	v_add_co_ci_u32_e64 v7, null, v7, v1, vcc_lo
	global_store_dword v[4:5], v11, off offset:192
	v_add_co_u32 v5, vcc_lo, v14, s0
	global_load_dword v4, v[6:7], off
	v_add_co_ci_u32_e64 v10, null, s1, v15, vcc_lo
	v_add_co_u32 v0, vcc_lo, v5, v0
	v_add_co_ci_u32_e64 v1, null, v10, v1, vcc_lo
	s_waitcnt vmcnt(0)
	v_mul_f32_e32 v4, s9, v4
	v_fmac_f32_e32 v4, s4, v9
	global_store_dword v[0:1], v4, off
	global_load_dword v4, v[6:7], off offset:64
	s_waitcnt vmcnt(0)
	v_mul_f32_e32 v4, s9, v4
	v_fmac_f32_e32 v4, s4, v8
	global_store_dword v[0:1], v4, off offset:64
	global_load_dword v4, v[6:7], off offset:128
	s_waitcnt vmcnt(0)
	v_mul_f32_e32 v4, s9, v4
	v_fmac_f32_e32 v4, s4, v2
	global_store_dword v[0:1], v4, off offset:128
	;; [unrolled: 5-line block ×3, first 2 shown]
.LBB315_6:
	s_endpgm
.LBB315_7:
	s_branch .LBB315_5
	.section	.rodata,"a",@progbits
	.p2align	6, 0x0
	.amdhsa_kernel _ZN12_GLOBAL__N_127rocblas_gemm_batched_kernelIfLi16ELi16ELi64ELi64ELi4ELi64ELi4ELi4ELi64ELc84ELc67EKfS1_fEEvlllT_PT11_llS4_llS2_PT12_llPT13_lli
		.amdhsa_group_segment_fixed_size 2048
		.amdhsa_private_segment_fixed_size 0
		.amdhsa_kernarg_size 140
		.amdhsa_user_sgpr_count 6
		.amdhsa_user_sgpr_private_segment_buffer 1
		.amdhsa_user_sgpr_dispatch_ptr 0
		.amdhsa_user_sgpr_queue_ptr 0
		.amdhsa_user_sgpr_kernarg_segment_ptr 1
		.amdhsa_user_sgpr_dispatch_id 0
		.amdhsa_user_sgpr_flat_scratch_init 0
		.amdhsa_user_sgpr_private_segment_size 0
		.amdhsa_wavefront_size32 1
		.amdhsa_uses_dynamic_stack 0
		.amdhsa_system_sgpr_private_segment_wavefront_offset 0
		.amdhsa_system_sgpr_workgroup_id_x 1
		.amdhsa_system_sgpr_workgroup_id_y 1
		.amdhsa_system_sgpr_workgroup_id_z 1
		.amdhsa_system_sgpr_workgroup_info 0
		.amdhsa_system_vgpr_workitem_id 1
		.amdhsa_next_free_vgpr 58
		.amdhsa_next_free_sgpr 22
		.amdhsa_reserve_vcc 1
		.amdhsa_reserve_flat_scratch 0
		.amdhsa_float_round_mode_32 0
		.amdhsa_float_round_mode_16_64 0
		.amdhsa_float_denorm_mode_32 3
		.amdhsa_float_denorm_mode_16_64 3
		.amdhsa_dx10_clamp 1
		.amdhsa_ieee_mode 1
		.amdhsa_fp16_overflow 0
		.amdhsa_workgroup_processor_mode 1
		.amdhsa_memory_ordered 1
		.amdhsa_forward_progress 1
		.amdhsa_shared_vgpr_count 0
		.amdhsa_exception_fp_ieee_invalid_op 0
		.amdhsa_exception_fp_denorm_src 0
		.amdhsa_exception_fp_ieee_div_zero 0
		.amdhsa_exception_fp_ieee_overflow 0
		.amdhsa_exception_fp_ieee_underflow 0
		.amdhsa_exception_fp_ieee_inexact 0
		.amdhsa_exception_int_div_zero 0
	.end_amdhsa_kernel
	.section	.text._ZN12_GLOBAL__N_127rocblas_gemm_batched_kernelIfLi16ELi16ELi64ELi64ELi4ELi64ELi4ELi4ELi64ELc84ELc67EKfS1_fEEvlllT_PT11_llS4_llS2_PT12_llPT13_lli,"axG",@progbits,_ZN12_GLOBAL__N_127rocblas_gemm_batched_kernelIfLi16ELi16ELi64ELi64ELi4ELi64ELi4ELi4ELi64ELc84ELc67EKfS1_fEEvlllT_PT11_llS4_llS2_PT12_llPT13_lli,comdat
.Lfunc_end315:
	.size	_ZN12_GLOBAL__N_127rocblas_gemm_batched_kernelIfLi16ELi16ELi64ELi64ELi4ELi64ELi4ELi4ELi64ELc84ELc67EKfS1_fEEvlllT_PT11_llS4_llS2_PT12_llPT13_lli, .Lfunc_end315-_ZN12_GLOBAL__N_127rocblas_gemm_batched_kernelIfLi16ELi16ELi64ELi64ELi4ELi64ELi4ELi4ELi64ELc84ELc67EKfS1_fEEvlllT_PT11_llS4_llS2_PT12_llPT13_lli
                                        ; -- End function
	.set _ZN12_GLOBAL__N_127rocblas_gemm_batched_kernelIfLi16ELi16ELi64ELi64ELi4ELi64ELi4ELi4ELi64ELc84ELc67EKfS1_fEEvlllT_PT11_llS4_llS2_PT12_llPT13_lli.num_vgpr, 58
	.set _ZN12_GLOBAL__N_127rocblas_gemm_batched_kernelIfLi16ELi16ELi64ELi64ELi4ELi64ELi4ELi4ELi64ELc84ELc67EKfS1_fEEvlllT_PT11_llS4_llS2_PT12_llPT13_lli.num_agpr, 0
	.set _ZN12_GLOBAL__N_127rocblas_gemm_batched_kernelIfLi16ELi16ELi64ELi64ELi4ELi64ELi4ELi4ELi64ELc84ELc67EKfS1_fEEvlllT_PT11_llS4_llS2_PT12_llPT13_lli.numbered_sgpr, 22
	.set _ZN12_GLOBAL__N_127rocblas_gemm_batched_kernelIfLi16ELi16ELi64ELi64ELi4ELi64ELi4ELi4ELi64ELc84ELc67EKfS1_fEEvlllT_PT11_llS4_llS2_PT12_llPT13_lli.num_named_barrier, 0
	.set _ZN12_GLOBAL__N_127rocblas_gemm_batched_kernelIfLi16ELi16ELi64ELi64ELi4ELi64ELi4ELi4ELi64ELc84ELc67EKfS1_fEEvlllT_PT11_llS4_llS2_PT12_llPT13_lli.private_seg_size, 0
	.set _ZN12_GLOBAL__N_127rocblas_gemm_batched_kernelIfLi16ELi16ELi64ELi64ELi4ELi64ELi4ELi4ELi64ELc84ELc67EKfS1_fEEvlllT_PT11_llS4_llS2_PT12_llPT13_lli.uses_vcc, 1
	.set _ZN12_GLOBAL__N_127rocblas_gemm_batched_kernelIfLi16ELi16ELi64ELi64ELi4ELi64ELi4ELi4ELi64ELc84ELc67EKfS1_fEEvlllT_PT11_llS4_llS2_PT12_llPT13_lli.uses_flat_scratch, 0
	.set _ZN12_GLOBAL__N_127rocblas_gemm_batched_kernelIfLi16ELi16ELi64ELi64ELi4ELi64ELi4ELi4ELi64ELc84ELc67EKfS1_fEEvlllT_PT11_llS4_llS2_PT12_llPT13_lli.has_dyn_sized_stack, 0
	.set _ZN12_GLOBAL__N_127rocblas_gemm_batched_kernelIfLi16ELi16ELi64ELi64ELi4ELi64ELi4ELi4ELi64ELc84ELc67EKfS1_fEEvlllT_PT11_llS4_llS2_PT12_llPT13_lli.has_recursion, 0
	.set _ZN12_GLOBAL__N_127rocblas_gemm_batched_kernelIfLi16ELi16ELi64ELi64ELi4ELi64ELi4ELi4ELi64ELc84ELc67EKfS1_fEEvlllT_PT11_llS4_llS2_PT12_llPT13_lli.has_indirect_call, 0
	.section	.AMDGPU.csdata,"",@progbits
; Kernel info:
; codeLenInByte = 2284
; TotalNumSgprs: 24
; NumVgprs: 58
; ScratchSize: 0
; MemoryBound: 0
; FloatMode: 240
; IeeeMode: 1
; LDSByteSize: 2048 bytes/workgroup (compile time only)
; SGPRBlocks: 0
; VGPRBlocks: 7
; NumSGPRsForWavesPerEU: 24
; NumVGPRsForWavesPerEU: 58
; Occupancy: 16
; WaveLimiterHint : 0
; COMPUTE_PGM_RSRC2:SCRATCH_EN: 0
; COMPUTE_PGM_RSRC2:USER_SGPR: 6
; COMPUTE_PGM_RSRC2:TRAP_HANDLER: 0
; COMPUTE_PGM_RSRC2:TGID_X_EN: 1
; COMPUTE_PGM_RSRC2:TGID_Y_EN: 1
; COMPUTE_PGM_RSRC2:TGID_Z_EN: 1
; COMPUTE_PGM_RSRC2:TIDIG_COMP_CNT: 1
	.section	.text._ZN12_GLOBAL__N_127rocblas_gemm_batched_kernelIfLi16ELi16ELi32ELi32ELi8ELi32ELi8ELi8ELi32ELc78ELc78EKfS1_fEEvlllT_PT11_llS4_llS2_PT12_llPT13_lli,"axG",@progbits,_ZN12_GLOBAL__N_127rocblas_gemm_batched_kernelIfLi16ELi16ELi32ELi32ELi8ELi32ELi8ELi8ELi32ELc78ELc78EKfS1_fEEvlllT_PT11_llS4_llS2_PT12_llPT13_lli,comdat
	.globl	_ZN12_GLOBAL__N_127rocblas_gemm_batched_kernelIfLi16ELi16ELi32ELi32ELi8ELi32ELi8ELi8ELi32ELc78ELc78EKfS1_fEEvlllT_PT11_llS4_llS2_PT12_llPT13_lli ; -- Begin function _ZN12_GLOBAL__N_127rocblas_gemm_batched_kernelIfLi16ELi16ELi32ELi32ELi8ELi32ELi8ELi8ELi32ELc78ELc78EKfS1_fEEvlllT_PT11_llS4_llS2_PT12_llPT13_lli
	.p2align	8
	.type	_ZN12_GLOBAL__N_127rocblas_gemm_batched_kernelIfLi16ELi16ELi32ELi32ELi8ELi32ELi8ELi8ELi32ELc78ELc78EKfS1_fEEvlllT_PT11_llS4_llS2_PT12_llPT13_lli,@function
_ZN12_GLOBAL__N_127rocblas_gemm_batched_kernelIfLi16ELi16ELi32ELi32ELi8ELi32ELi8ELi8ELi32ELc78ELc78EKfS1_fEEvlllT_PT11_llS4_llS2_PT12_llPT13_lli: ; @_ZN12_GLOBAL__N_127rocblas_gemm_batched_kernelIfLi16ELi16ELi32ELi32ELi8ELi32ELi8ELi8ELi32ELc78ELc78EKfS1_fEEvlllT_PT11_llS4_llS2_PT12_llPT13_lli
; %bb.0:
	s_load_dwordx2 s[20:21], s[4:5], 0x10
	s_mov_b32 s0, s7
	v_mov_b32_e32 v9, 0
	v_mov_b32_e32 v8, 0
	;; [unrolled: 1-line block ×4, first 2 shown]
	s_ashr_i32 s7, s6, 31
	s_ashr_i32 s1, s0, 31
	s_lshl_b64 s[6:7], s[6:7], 5
	s_lshl_b64 s[10:11], s[0:1], 5
	s_waitcnt lgkmcnt(0)
	v_cmp_lt_i64_e64 s2, s[20:21], 1
	s_and_b32 vcc_lo, exec_lo, s2
	s_cbranch_vccnz .LBB316_3
; %bb.1:
	s_load_dwordx4 s[0:3], s[4:5], 0x40
	v_lshl_add_u32 v2, v1, 4, v0
	s_load_dwordx8 s[12:19], s[4:5], 0x20
	v_and_b32_e32 v3, 7, v0
	v_mov_b32_e32 v6, 0
	v_lshlrev_b32_e32 v10, 2, v0
	v_lshrrev_b32_e32 v4, 3, v2
	v_and_b32_e32 v9, 31, v2
	v_lshlrev_b32_e32 v14, 2, v3
	v_lshrrev_b32_e32 v7, 5, v2
	v_lshl_add_u32 v11, v1, 5, 0x400
	v_add_co_u32 v3, s9, v4, s10
	v_add_co_ci_u32_e64 v5, null, 0, s11, s9
	v_lshl_or_b32 v13, v4, 5, v14
	v_lshlrev_b32_e32 v8, 2, v9
	v_add_nc_u32_e32 v13, 0x400, v13
	s_waitcnt lgkmcnt(0)
	v_mul_lo_u32 v15, s1, v3
	v_mul_lo_u32 v16, s0, v5
	v_mad_u64_u32 v[2:3], null, s0, v3, 0
	v_mad_u64_u32 v[4:5], null, s14, v7, s[6:7]
	s_mul_i32 s1, s3, s8
	s_mul_hi_u32 s3, s2, s8
	v_lshl_or_b32 v12, v7, 7, v8
	s_mul_i32 s0, s2, s8
	v_add3_u32 v3, v3, v16, v15
	s_add_i32 s1, s3, s1
	v_mad_u64_u32 v[7:8], null, s15, v7, v[5:6]
	s_lshl_b64 s[0:1], s[0:1], 2
	v_lshlrev_b64 v[2:3], 2, v[2:3]
	s_mul_i32 s2, s17, s8
	s_mul_hi_u32 s3, s16, s8
	v_add_co_u32 v5, vcc_lo, v2, s0
	v_add_co_ci_u32_e64 v8, null, s1, v3, vcc_lo
	v_add_co_u32 v2, vcc_lo, v4, v9
	v_add_co_ci_u32_e64 v3, null, 0, v7, vcc_lo
	v_add_co_u32 v7, vcc_lo, v5, v14
	s_add_i32 s1, s3, s2
	s_mul_i32 s0, s16, s8
	v_lshlrev_b64 v[4:5], 2, v[2:3]
	v_add_co_ci_u32_e64 v8, null, 0, v8, vcc_lo
	s_lshl_b64 s[0:1], s[0:1], 2
	v_add_co_u32 v2, vcc_lo, s18, v7
	s_add_u32 s0, s12, s0
	v_add_co_ci_u32_e64 v3, null, s19, v8, vcc_lo
	s_addc_u32 s1, s13, s1
	v_add_co_u32 v4, vcc_lo, s0, v4
	v_add_co_ci_u32_e64 v5, null, s1, v5, vcc_lo
	v_mov_b32_e32 v7, 0
	v_mov_b32_e32 v8, 0
	v_mov_b32_e32 v9, 0
	s_lshl_b64 s[0:1], s[14:15], 5
	s_mov_b64 s[2:3], 0
.LBB316_2:                              ; =>This Inner Loop Header: Depth=1
	global_load_dword v14, v[4:5], off
	global_load_dword v15, v[2:3], off
	s_add_u32 s2, s2, 8
	s_addc_u32 s3, s3, 0
	v_add_co_u32 v2, vcc_lo, v2, 32
	v_cmp_lt_i64_e64 s9, s[2:3], s[20:21]
	v_add_co_ci_u32_e64 v3, null, 0, v3, vcc_lo
	v_add_co_u32 v4, vcc_lo, v4, s0
	v_add_co_ci_u32_e64 v5, null, s1, v5, vcc_lo
	s_and_b32 vcc_lo, exec_lo, s9
	s_waitcnt vmcnt(1)
	ds_write_b32 v12, v14
	s_waitcnt vmcnt(0)
	ds_write_b32 v13, v15
	s_waitcnt lgkmcnt(0)
	s_barrier
	buffer_gl0_inv
	ds_read_b128 v[14:17], v11
	ds_read2_b32 v[30:31], v10 offset1:16
	ds_read_b128 v[18:21], v11 offset:512
	ds_read2_b32 v[32:33], v10 offset0:32 offset1:48
	ds_read2_b32 v[34:35], v10 offset0:64 offset1:80
	ds_read_b128 v[22:25], v11 offset:16
	ds_read2_b32 v[36:37], v10 offset0:96 offset1:112
	ds_read2_b32 v[38:39], v10 offset0:128 offset1:144
	;; [unrolled: 3-line block ×3, first 2 shown]
	ds_read2_b32 v[44:45], v10 offset0:224 offset1:240
	s_waitcnt lgkmcnt(0)
	s_barrier
	buffer_gl0_inv
	v_fmac_f32_e32 v9, v30, v14
	v_fmac_f32_e32 v8, v31, v14
	;; [unrolled: 1-line block ×32, first 2 shown]
	s_cbranch_vccnz .LBB316_2
.LBB316_3:
	s_clause 0x3
	s_load_dwordx4 s[0:3], s[4:5], 0x78
	s_load_dword s9, s[4:5], 0x50
	s_load_dwordx8 s[12:19], s[4:5], 0x58
	s_load_dword s4, s[4:5], 0x18
	v_add_co_u32 v3, s5, s6, v0
	v_add_co_ci_u32_e64 v4, null, s7, 0, s5
	v_add_co_u32 v2, s5, s10, v1
	v_add_co_ci_u32_e64 v5, null, s11, 0, s5
	v_lshlrev_b64 v[0:1], 2, v[3:4]
	s_waitcnt lgkmcnt(0)
	s_mul_i32 s3, s3, s8
	s_mul_hi_u32 s5, s2, s8
	v_mul_lo_u32 v3, v5, s0
	v_mul_lo_u32 v4, v2, s1
	s_mul_i32 s2, s2, s8
	v_cmp_neq_f32_e64 s6, s9, 0
	s_add_i32 s3, s5, s3
	s_mov_b32 s5, 0
	s_lshl_b64 s[2:3], s[2:3], 2
	s_add_u32 s2, s18, s2
	s_addc_u32 s3, s19, s3
	s_and_b32 vcc_lo, exec_lo, s6
	s_cbranch_vccnz .LBB316_7
; %bb.4:
	v_mad_u64_u32 v[10:11], null, v2, s0, 0
	s_lshl_b64 s[6:7], s[0:1], 6
	v_mul_f32_e32 v14, s4, v9
	v_mul_f32_e32 v15, s4, v8
	;; [unrolled: 1-line block ×4, first 2 shown]
	v_add3_u32 v11, v11, v4, v3
	v_lshlrev_b64 v[10:11], 2, v[10:11]
	v_add_co_u32 v10, vcc_lo, s2, v10
	v_add_co_ci_u32_e64 v11, null, s3, v11, vcc_lo
	v_add_co_u32 v12, vcc_lo, v10, s6
	v_add_co_ci_u32_e64 v13, null, s7, v11, vcc_lo
	;; [unrolled: 2-line block ×4, first 2 shown]
	global_store_dword v[10:11], v14, off
	global_store_dword v[10:11], v15, off offset:64
	global_store_dword v[12:13], v16, off
	global_store_dword v[12:13], v17, off offset:64
	s_andn2_b32 vcc_lo, exec_lo, s5
	s_cbranch_vccnz .LBB316_6
.LBB316_5:
	v_mul_lo_u32 v5, v5, s14
	v_mul_lo_u32 v12, v2, s15
	v_mad_u64_u32 v[10:11], null, v2, s14, 0
	s_mul_i32 s5, s17, s8
	s_mul_hi_u32 s7, s16, s8
	s_mul_i32 s6, s16, s8
	s_add_i32 s7, s7, s5
	s_lshl_b64 s[6:7], s[6:7], 2
	v_add3_u32 v11, v11, v12, v5
	s_add_u32 s5, s12, s6
	s_addc_u32 s6, s13, s7
	v_mad_u64_u32 v[12:13], null, v2, s0, 0
	v_lshlrev_b64 v[10:11], 2, v[10:11]
	s_lshl_b64 s[0:1], s[0:1], 6
	v_add3_u32 v13, v13, v4, v3
	v_add_co_u32 v5, vcc_lo, s5, v10
	v_add_co_ci_u32_e64 v14, null, s6, v11, vcc_lo
	v_lshlrev_b64 v[2:3], 2, v[12:13]
	v_add_co_u32 v10, vcc_lo, v5, v0
	v_add_co_ci_u32_e64 v11, null, v14, v1, vcc_lo
	v_add_co_u32 v12, vcc_lo, s2, v2
	global_load_dword v15, v[10:11], off
	v_add_co_ci_u32_e64 v13, null, s3, v3, vcc_lo
	v_add_co_u32 v2, vcc_lo, v12, v0
	s_lshl_b64 s[2:3], s[14:15], 6
	v_add_co_ci_u32_e64 v3, null, v13, v1, vcc_lo
	s_waitcnt vmcnt(0)
	v_mul_f32_e32 v4, s9, v15
	v_fmac_f32_e32 v4, s4, v9
	global_store_dword v[2:3], v4, off
	global_load_dword v4, v[10:11], off offset:64
	s_waitcnt vmcnt(0)
	v_mul_f32_e32 v9, s9, v4
	v_add_co_u32 v4, vcc_lo, v5, s2
	v_add_co_ci_u32_e64 v5, null, s3, v14, vcc_lo
	v_fmac_f32_e32 v9, s4, v8
	v_add_co_u32 v4, vcc_lo, v4, v0
	v_add_co_ci_u32_e64 v5, null, v5, v1, vcc_lo
	global_store_dword v[2:3], v9, off offset:64
	v_add_co_u32 v3, vcc_lo, v12, s0
	global_load_dword v2, v[4:5], off
	v_add_co_ci_u32_e64 v8, null, s1, v13, vcc_lo
	v_add_co_u32 v0, vcc_lo, v3, v0
	v_add_co_ci_u32_e64 v1, null, v8, v1, vcc_lo
	s_waitcnt vmcnt(0)
	v_mul_f32_e32 v2, s9, v2
	v_fmac_f32_e32 v2, s4, v7
	global_store_dword v[0:1], v2, off
	global_load_dword v2, v[4:5], off offset:64
	s_waitcnt vmcnt(0)
	v_mul_f32_e32 v2, s9, v2
	v_fmac_f32_e32 v2, s4, v6
	global_store_dword v[0:1], v2, off offset:64
.LBB316_6:
	s_endpgm
.LBB316_7:
	s_branch .LBB316_5
	.section	.rodata,"a",@progbits
	.p2align	6, 0x0
	.amdhsa_kernel _ZN12_GLOBAL__N_127rocblas_gemm_batched_kernelIfLi16ELi16ELi32ELi32ELi8ELi32ELi8ELi8ELi32ELc78ELc78EKfS1_fEEvlllT_PT11_llS4_llS2_PT12_llPT13_lli
		.amdhsa_group_segment_fixed_size 2048
		.amdhsa_private_segment_fixed_size 0
		.amdhsa_kernarg_size 140
		.amdhsa_user_sgpr_count 6
		.amdhsa_user_sgpr_private_segment_buffer 1
		.amdhsa_user_sgpr_dispatch_ptr 0
		.amdhsa_user_sgpr_queue_ptr 0
		.amdhsa_user_sgpr_kernarg_segment_ptr 1
		.amdhsa_user_sgpr_dispatch_id 0
		.amdhsa_user_sgpr_flat_scratch_init 0
		.amdhsa_user_sgpr_private_segment_size 0
		.amdhsa_wavefront_size32 1
		.amdhsa_uses_dynamic_stack 0
		.amdhsa_system_sgpr_private_segment_wavefront_offset 0
		.amdhsa_system_sgpr_workgroup_id_x 1
		.amdhsa_system_sgpr_workgroup_id_y 1
		.amdhsa_system_sgpr_workgroup_id_z 1
		.amdhsa_system_sgpr_workgroup_info 0
		.amdhsa_system_vgpr_workitem_id 1
		.amdhsa_next_free_vgpr 46
		.amdhsa_next_free_sgpr 22
		.amdhsa_reserve_vcc 1
		.amdhsa_reserve_flat_scratch 0
		.amdhsa_float_round_mode_32 0
		.amdhsa_float_round_mode_16_64 0
		.amdhsa_float_denorm_mode_32 3
		.amdhsa_float_denorm_mode_16_64 3
		.amdhsa_dx10_clamp 1
		.amdhsa_ieee_mode 1
		.amdhsa_fp16_overflow 0
		.amdhsa_workgroup_processor_mode 1
		.amdhsa_memory_ordered 1
		.amdhsa_forward_progress 1
		.amdhsa_shared_vgpr_count 0
		.amdhsa_exception_fp_ieee_invalid_op 0
		.amdhsa_exception_fp_denorm_src 0
		.amdhsa_exception_fp_ieee_div_zero 0
		.amdhsa_exception_fp_ieee_overflow 0
		.amdhsa_exception_fp_ieee_underflow 0
		.amdhsa_exception_fp_ieee_inexact 0
		.amdhsa_exception_int_div_zero 0
	.end_amdhsa_kernel
	.section	.text._ZN12_GLOBAL__N_127rocblas_gemm_batched_kernelIfLi16ELi16ELi32ELi32ELi8ELi32ELi8ELi8ELi32ELc78ELc78EKfS1_fEEvlllT_PT11_llS4_llS2_PT12_llPT13_lli,"axG",@progbits,_ZN12_GLOBAL__N_127rocblas_gemm_batched_kernelIfLi16ELi16ELi32ELi32ELi8ELi32ELi8ELi8ELi32ELc78ELc78EKfS1_fEEvlllT_PT11_llS4_llS2_PT12_llPT13_lli,comdat
.Lfunc_end316:
	.size	_ZN12_GLOBAL__N_127rocblas_gemm_batched_kernelIfLi16ELi16ELi32ELi32ELi8ELi32ELi8ELi8ELi32ELc78ELc78EKfS1_fEEvlllT_PT11_llS4_llS2_PT12_llPT13_lli, .Lfunc_end316-_ZN12_GLOBAL__N_127rocblas_gemm_batched_kernelIfLi16ELi16ELi32ELi32ELi8ELi32ELi8ELi8ELi32ELc78ELc78EKfS1_fEEvlllT_PT11_llS4_llS2_PT12_llPT13_lli
                                        ; -- End function
	.set _ZN12_GLOBAL__N_127rocblas_gemm_batched_kernelIfLi16ELi16ELi32ELi32ELi8ELi32ELi8ELi8ELi32ELc78ELc78EKfS1_fEEvlllT_PT11_llS4_llS2_PT12_llPT13_lli.num_vgpr, 46
	.set _ZN12_GLOBAL__N_127rocblas_gemm_batched_kernelIfLi16ELi16ELi32ELi32ELi8ELi32ELi8ELi8ELi32ELc78ELc78EKfS1_fEEvlllT_PT11_llS4_llS2_PT12_llPT13_lli.num_agpr, 0
	.set _ZN12_GLOBAL__N_127rocblas_gemm_batched_kernelIfLi16ELi16ELi32ELi32ELi8ELi32ELi8ELi8ELi32ELc78ELc78EKfS1_fEEvlllT_PT11_llS4_llS2_PT12_llPT13_lli.numbered_sgpr, 22
	.set _ZN12_GLOBAL__N_127rocblas_gemm_batched_kernelIfLi16ELi16ELi32ELi32ELi8ELi32ELi8ELi8ELi32ELc78ELc78EKfS1_fEEvlllT_PT11_llS4_llS2_PT12_llPT13_lli.num_named_barrier, 0
	.set _ZN12_GLOBAL__N_127rocblas_gemm_batched_kernelIfLi16ELi16ELi32ELi32ELi8ELi32ELi8ELi8ELi32ELc78ELc78EKfS1_fEEvlllT_PT11_llS4_llS2_PT12_llPT13_lli.private_seg_size, 0
	.set _ZN12_GLOBAL__N_127rocblas_gemm_batched_kernelIfLi16ELi16ELi32ELi32ELi8ELi32ELi8ELi8ELi32ELc78ELc78EKfS1_fEEvlllT_PT11_llS4_llS2_PT12_llPT13_lli.uses_vcc, 1
	.set _ZN12_GLOBAL__N_127rocblas_gemm_batched_kernelIfLi16ELi16ELi32ELi32ELi8ELi32ELi8ELi8ELi32ELc78ELc78EKfS1_fEEvlllT_PT11_llS4_llS2_PT12_llPT13_lli.uses_flat_scratch, 0
	.set _ZN12_GLOBAL__N_127rocblas_gemm_batched_kernelIfLi16ELi16ELi32ELi32ELi8ELi32ELi8ELi8ELi32ELc78ELc78EKfS1_fEEvlllT_PT11_llS4_llS2_PT12_llPT13_lli.has_dyn_sized_stack, 0
	.set _ZN12_GLOBAL__N_127rocblas_gemm_batched_kernelIfLi16ELi16ELi32ELi32ELi8ELi32ELi8ELi8ELi32ELc78ELc78EKfS1_fEEvlllT_PT11_llS4_llS2_PT12_llPT13_lli.has_recursion, 0
	.set _ZN12_GLOBAL__N_127rocblas_gemm_batched_kernelIfLi16ELi16ELi32ELi32ELi8ELi32ELi8ELi8ELi32ELc78ELc78EKfS1_fEEvlllT_PT11_llS4_llS2_PT12_llPT13_lli.has_indirect_call, 0
	.section	.AMDGPU.csdata,"",@progbits
; Kernel info:
; codeLenInByte = 1380
; TotalNumSgprs: 24
; NumVgprs: 46
; ScratchSize: 0
; MemoryBound: 0
; FloatMode: 240
; IeeeMode: 1
; LDSByteSize: 2048 bytes/workgroup (compile time only)
; SGPRBlocks: 0
; VGPRBlocks: 5
; NumSGPRsForWavesPerEU: 24
; NumVGPRsForWavesPerEU: 46
; Occupancy: 16
; WaveLimiterHint : 0
; COMPUTE_PGM_RSRC2:SCRATCH_EN: 0
; COMPUTE_PGM_RSRC2:USER_SGPR: 6
; COMPUTE_PGM_RSRC2:TRAP_HANDLER: 0
; COMPUTE_PGM_RSRC2:TGID_X_EN: 1
; COMPUTE_PGM_RSRC2:TGID_Y_EN: 1
; COMPUTE_PGM_RSRC2:TGID_Z_EN: 1
; COMPUTE_PGM_RSRC2:TIDIG_COMP_CNT: 1
	.section	.text._ZN12_GLOBAL__N_127rocblas_gemm_batched_kernelIfLi16ELi16ELi32ELi32ELi8ELi32ELi8ELi8ELi32ELc84ELc78EKfS1_fEEvlllT_PT11_llS4_llS2_PT12_llPT13_lli,"axG",@progbits,_ZN12_GLOBAL__N_127rocblas_gemm_batched_kernelIfLi16ELi16ELi32ELi32ELi8ELi32ELi8ELi8ELi32ELc84ELc78EKfS1_fEEvlllT_PT11_llS4_llS2_PT12_llPT13_lli,comdat
	.globl	_ZN12_GLOBAL__N_127rocblas_gemm_batched_kernelIfLi16ELi16ELi32ELi32ELi8ELi32ELi8ELi8ELi32ELc84ELc78EKfS1_fEEvlllT_PT11_llS4_llS2_PT12_llPT13_lli ; -- Begin function _ZN12_GLOBAL__N_127rocblas_gemm_batched_kernelIfLi16ELi16ELi32ELi32ELi8ELi32ELi8ELi8ELi32ELc84ELc78EKfS1_fEEvlllT_PT11_llS4_llS2_PT12_llPT13_lli
	.p2align	8
	.type	_ZN12_GLOBAL__N_127rocblas_gemm_batched_kernelIfLi16ELi16ELi32ELi32ELi8ELi32ELi8ELi8ELi32ELc84ELc78EKfS1_fEEvlllT_PT11_llS4_llS2_PT12_llPT13_lli,@function
_ZN12_GLOBAL__N_127rocblas_gemm_batched_kernelIfLi16ELi16ELi32ELi32ELi8ELi32ELi8ELi8ELi32ELc84ELc78EKfS1_fEEvlllT_PT11_llS4_llS2_PT12_llPT13_lli: ; @_ZN12_GLOBAL__N_127rocblas_gemm_batched_kernelIfLi16ELi16ELi32ELi32ELi8ELi32ELi8ELi8ELi32ELc84ELc78EKfS1_fEEvlllT_PT11_llS4_llS2_PT12_llPT13_lli
; %bb.0:
	s_load_dwordx2 s[20:21], s[4:5], 0x10
	s_mov_b32 s0, s7
	v_mov_b32_e32 v9, 0
	v_mov_b32_e32 v8, 0
	;; [unrolled: 1-line block ×4, first 2 shown]
	s_ashr_i32 s7, s6, 31
	s_ashr_i32 s1, s0, 31
	s_lshl_b64 s[6:7], s[6:7], 5
	s_lshl_b64 s[10:11], s[0:1], 5
	s_waitcnt lgkmcnt(0)
	v_cmp_lt_i64_e64 s2, s[20:21], 1
	s_and_b32 vcc_lo, exec_lo, s2
	s_cbranch_vccnz .LBB317_3
; %bb.1:
	s_load_dwordx4 s[0:3], s[4:5], 0x40
	v_lshl_add_u32 v2, v1, 4, v0
	s_load_dwordx8 s[12:19], s[4:5], 0x20
	v_and_b32_e32 v3, 7, v0
	v_mov_b32_e32 v6, 0
	v_lshrrev_b32_e32 v4, 3, v2
	v_and_b32_e32 v5, 31, v2
	v_lshrrev_b32_e32 v7, 5, v2
	v_lshlrev_b32_e32 v8, 2, v3
	v_add_co_u32 v2, s9, v4, s10
	v_add_co_ci_u32_e64 v3, null, 0, s11, s9
	v_lshlrev_b32_e32 v9, 2, v5
	v_add_co_u32 v5, s9, s6, v5
	v_lshl_or_b32 v4, v4, 5, v8
	v_add_co_ci_u32_e64 v12, null, s7, 0, s9
	s_waitcnt lgkmcnt(0)
	v_mul_lo_u32 v13, s1, v2
	v_mul_lo_u32 v14, s0, v3
	v_mad_u64_u32 v[2:3], null, s0, v2, 0
	v_lshl_or_b32 v10, v7, 7, v9
	v_add_nc_u32_e32 v11, 0x400, v4
	v_mul_lo_u32 v9, s15, v5
	v_mul_lo_u32 v15, s14, v12
	v_mad_u64_u32 v[4:5], null, s14, v5, 0
	v_add3_u32 v3, v3, v14, v13
	s_mul_i32 s0, s3, s8
	s_mul_hi_u32 s1, s2, s8
	s_mul_hi_u32 s3, s16, s8
	s_add_i32 s1, s1, s0
	v_lshlrev_b64 v[2:3], 2, v[2:3]
	v_add3_u32 v5, v5, v15, v9
	s_mul_i32 s0, s2, s8
	s_mul_i32 s2, s17, s8
	s_lshl_b64 s[0:1], s[0:1], 2
	s_add_i32 s3, s3, s2
	v_lshlrev_b64 v[4:5], 2, v[4:5]
	s_mul_i32 s2, s16, s8
	v_add_co_u32 v2, vcc_lo, v2, s0
	v_add_co_ci_u32_e64 v3, null, s1, v3, vcc_lo
	s_lshl_b64 s[0:1], s[2:3], 2
	v_lshlrev_b32_e32 v7, 2, v7
	v_add_co_u32 v4, vcc_lo, v4, s0
	v_add_co_ci_u32_e64 v5, null, s1, v5, vcc_lo
	v_add_co_u32 v2, vcc_lo, v2, v8
	v_add_co_ci_u32_e64 v3, null, 0, v3, vcc_lo
	;; [unrolled: 2-line block ×4, first 2 shown]
	v_add_co_u32 v4, vcc_lo, s12, v4
	v_lshlrev_b32_e32 v12, 2, v0
	v_lshl_add_u32 v13, v1, 5, 0x400
	v_add_co_ci_u32_e64 v5, null, s13, v5, vcc_lo
	v_mov_b32_e32 v7, 0
	v_mov_b32_e32 v8, 0
	;; [unrolled: 1-line block ×3, first 2 shown]
	s_mov_b64 s[0:1], 0
.LBB317_2:                              ; =>This Inner Loop Header: Depth=1
	global_load_dword v14, v[4:5], off
	global_load_dword v15, v[2:3], off
	s_add_u32 s0, s0, 8
	s_addc_u32 s1, s1, 0
	v_add_co_u32 v2, vcc_lo, v2, 32
	v_cmp_lt_i64_e64 s2, s[0:1], s[20:21]
	v_add_co_ci_u32_e64 v3, null, 0, v3, vcc_lo
	v_add_co_u32 v4, vcc_lo, v4, 32
	v_add_co_ci_u32_e64 v5, null, 0, v5, vcc_lo
	s_and_b32 vcc_lo, exec_lo, s2
	s_waitcnt vmcnt(1)
	ds_write_b32 v10, v14
	s_waitcnt vmcnt(0)
	ds_write_b32 v11, v15
	s_waitcnt lgkmcnt(0)
	s_barrier
	buffer_gl0_inv
	ds_read_b128 v[14:17], v13
	ds_read2_b32 v[30:31], v12 offset1:16
	ds_read_b128 v[18:21], v13 offset:512
	ds_read2_b32 v[32:33], v12 offset0:32 offset1:48
	ds_read2_b32 v[34:35], v12 offset0:64 offset1:80
	ds_read_b128 v[22:25], v13 offset:16
	ds_read2_b32 v[36:37], v12 offset0:96 offset1:112
	ds_read2_b32 v[38:39], v12 offset0:128 offset1:144
	;; [unrolled: 3-line block ×3, first 2 shown]
	ds_read2_b32 v[44:45], v12 offset0:224 offset1:240
	s_waitcnt lgkmcnt(0)
	s_barrier
	buffer_gl0_inv
	v_fmac_f32_e32 v9, v30, v14
	v_fmac_f32_e32 v8, v31, v14
	;; [unrolled: 1-line block ×32, first 2 shown]
	s_cbranch_vccnz .LBB317_2
.LBB317_3:
	s_clause 0x3
	s_load_dwordx4 s[0:3], s[4:5], 0x78
	s_load_dword s9, s[4:5], 0x50
	s_load_dwordx8 s[12:19], s[4:5], 0x58
	s_load_dword s4, s[4:5], 0x18
	v_add_co_u32 v3, s5, s6, v0
	v_add_co_ci_u32_e64 v4, null, s7, 0, s5
	v_add_co_u32 v2, s5, s10, v1
	v_add_co_ci_u32_e64 v5, null, s11, 0, s5
	v_lshlrev_b64 v[0:1], 2, v[3:4]
	s_waitcnt lgkmcnt(0)
	s_mul_i32 s3, s3, s8
	s_mul_hi_u32 s5, s2, s8
	v_mul_lo_u32 v3, v5, s0
	v_mul_lo_u32 v4, v2, s1
	s_mul_i32 s2, s2, s8
	v_cmp_neq_f32_e64 s6, s9, 0
	s_add_i32 s3, s5, s3
	s_mov_b32 s5, 0
	s_lshl_b64 s[2:3], s[2:3], 2
	s_add_u32 s2, s18, s2
	s_addc_u32 s3, s19, s3
	s_and_b32 vcc_lo, exec_lo, s6
	s_cbranch_vccnz .LBB317_7
; %bb.4:
	v_mad_u64_u32 v[10:11], null, v2, s0, 0
	s_lshl_b64 s[6:7], s[0:1], 6
	v_mul_f32_e32 v14, s4, v9
	v_mul_f32_e32 v15, s4, v8
	;; [unrolled: 1-line block ×4, first 2 shown]
	v_add3_u32 v11, v11, v4, v3
	v_lshlrev_b64 v[10:11], 2, v[10:11]
	v_add_co_u32 v10, vcc_lo, s2, v10
	v_add_co_ci_u32_e64 v11, null, s3, v11, vcc_lo
	v_add_co_u32 v12, vcc_lo, v10, s6
	v_add_co_ci_u32_e64 v13, null, s7, v11, vcc_lo
	;; [unrolled: 2-line block ×4, first 2 shown]
	global_store_dword v[10:11], v14, off
	global_store_dword v[10:11], v15, off offset:64
	global_store_dword v[12:13], v16, off
	global_store_dword v[12:13], v17, off offset:64
	s_andn2_b32 vcc_lo, exec_lo, s5
	s_cbranch_vccnz .LBB317_6
.LBB317_5:
	v_mul_lo_u32 v5, v5, s14
	v_mul_lo_u32 v12, v2, s15
	v_mad_u64_u32 v[10:11], null, v2, s14, 0
	s_mul_i32 s5, s17, s8
	s_mul_hi_u32 s7, s16, s8
	s_mul_i32 s6, s16, s8
	s_add_i32 s7, s7, s5
	s_lshl_b64 s[6:7], s[6:7], 2
	v_add3_u32 v11, v11, v12, v5
	s_add_u32 s5, s12, s6
	s_addc_u32 s6, s13, s7
	v_mad_u64_u32 v[12:13], null, v2, s0, 0
	v_lshlrev_b64 v[10:11], 2, v[10:11]
	s_lshl_b64 s[0:1], s[0:1], 6
	v_add3_u32 v13, v13, v4, v3
	v_add_co_u32 v5, vcc_lo, s5, v10
	v_add_co_ci_u32_e64 v14, null, s6, v11, vcc_lo
	v_lshlrev_b64 v[2:3], 2, v[12:13]
	v_add_co_u32 v10, vcc_lo, v5, v0
	v_add_co_ci_u32_e64 v11, null, v14, v1, vcc_lo
	v_add_co_u32 v12, vcc_lo, s2, v2
	global_load_dword v15, v[10:11], off
	v_add_co_ci_u32_e64 v13, null, s3, v3, vcc_lo
	v_add_co_u32 v2, vcc_lo, v12, v0
	s_lshl_b64 s[2:3], s[14:15], 6
	v_add_co_ci_u32_e64 v3, null, v13, v1, vcc_lo
	s_waitcnt vmcnt(0)
	v_mul_f32_e32 v4, s9, v15
	v_fmac_f32_e32 v4, s4, v9
	global_store_dword v[2:3], v4, off
	global_load_dword v4, v[10:11], off offset:64
	s_waitcnt vmcnt(0)
	v_mul_f32_e32 v9, s9, v4
	v_add_co_u32 v4, vcc_lo, v5, s2
	v_add_co_ci_u32_e64 v5, null, s3, v14, vcc_lo
	v_fmac_f32_e32 v9, s4, v8
	v_add_co_u32 v4, vcc_lo, v4, v0
	v_add_co_ci_u32_e64 v5, null, v5, v1, vcc_lo
	global_store_dword v[2:3], v9, off offset:64
	v_add_co_u32 v3, vcc_lo, v12, s0
	global_load_dword v2, v[4:5], off
	v_add_co_ci_u32_e64 v8, null, s1, v13, vcc_lo
	v_add_co_u32 v0, vcc_lo, v3, v0
	v_add_co_ci_u32_e64 v1, null, v8, v1, vcc_lo
	s_waitcnt vmcnt(0)
	v_mul_f32_e32 v2, s9, v2
	v_fmac_f32_e32 v2, s4, v7
	global_store_dword v[0:1], v2, off
	global_load_dword v2, v[4:5], off offset:64
	s_waitcnt vmcnt(0)
	v_mul_f32_e32 v2, s9, v2
	v_fmac_f32_e32 v2, s4, v6
	global_store_dword v[0:1], v2, off offset:64
.LBB317_6:
	s_endpgm
.LBB317_7:
	s_branch .LBB317_5
	.section	.rodata,"a",@progbits
	.p2align	6, 0x0
	.amdhsa_kernel _ZN12_GLOBAL__N_127rocblas_gemm_batched_kernelIfLi16ELi16ELi32ELi32ELi8ELi32ELi8ELi8ELi32ELc84ELc78EKfS1_fEEvlllT_PT11_llS4_llS2_PT12_llPT13_lli
		.amdhsa_group_segment_fixed_size 2048
		.amdhsa_private_segment_fixed_size 0
		.amdhsa_kernarg_size 140
		.amdhsa_user_sgpr_count 6
		.amdhsa_user_sgpr_private_segment_buffer 1
		.amdhsa_user_sgpr_dispatch_ptr 0
		.amdhsa_user_sgpr_queue_ptr 0
		.amdhsa_user_sgpr_kernarg_segment_ptr 1
		.amdhsa_user_sgpr_dispatch_id 0
		.amdhsa_user_sgpr_flat_scratch_init 0
		.amdhsa_user_sgpr_private_segment_size 0
		.amdhsa_wavefront_size32 1
		.amdhsa_uses_dynamic_stack 0
		.amdhsa_system_sgpr_private_segment_wavefront_offset 0
		.amdhsa_system_sgpr_workgroup_id_x 1
		.amdhsa_system_sgpr_workgroup_id_y 1
		.amdhsa_system_sgpr_workgroup_id_z 1
		.amdhsa_system_sgpr_workgroup_info 0
		.amdhsa_system_vgpr_workitem_id 1
		.amdhsa_next_free_vgpr 46
		.amdhsa_next_free_sgpr 22
		.amdhsa_reserve_vcc 1
		.amdhsa_reserve_flat_scratch 0
		.amdhsa_float_round_mode_32 0
		.amdhsa_float_round_mode_16_64 0
		.amdhsa_float_denorm_mode_32 3
		.amdhsa_float_denorm_mode_16_64 3
		.amdhsa_dx10_clamp 1
		.amdhsa_ieee_mode 1
		.amdhsa_fp16_overflow 0
		.amdhsa_workgroup_processor_mode 1
		.amdhsa_memory_ordered 1
		.amdhsa_forward_progress 1
		.amdhsa_shared_vgpr_count 0
		.amdhsa_exception_fp_ieee_invalid_op 0
		.amdhsa_exception_fp_denorm_src 0
		.amdhsa_exception_fp_ieee_div_zero 0
		.amdhsa_exception_fp_ieee_overflow 0
		.amdhsa_exception_fp_ieee_underflow 0
		.amdhsa_exception_fp_ieee_inexact 0
		.amdhsa_exception_int_div_zero 0
	.end_amdhsa_kernel
	.section	.text._ZN12_GLOBAL__N_127rocblas_gemm_batched_kernelIfLi16ELi16ELi32ELi32ELi8ELi32ELi8ELi8ELi32ELc84ELc78EKfS1_fEEvlllT_PT11_llS4_llS2_PT12_llPT13_lli,"axG",@progbits,_ZN12_GLOBAL__N_127rocblas_gemm_batched_kernelIfLi16ELi16ELi32ELi32ELi8ELi32ELi8ELi8ELi32ELc84ELc78EKfS1_fEEvlllT_PT11_llS4_llS2_PT12_llPT13_lli,comdat
.Lfunc_end317:
	.size	_ZN12_GLOBAL__N_127rocblas_gemm_batched_kernelIfLi16ELi16ELi32ELi32ELi8ELi32ELi8ELi8ELi32ELc84ELc78EKfS1_fEEvlllT_PT11_llS4_llS2_PT12_llPT13_lli, .Lfunc_end317-_ZN12_GLOBAL__N_127rocblas_gemm_batched_kernelIfLi16ELi16ELi32ELi32ELi8ELi32ELi8ELi8ELi32ELc84ELc78EKfS1_fEEvlllT_PT11_llS4_llS2_PT12_llPT13_lli
                                        ; -- End function
	.set _ZN12_GLOBAL__N_127rocblas_gemm_batched_kernelIfLi16ELi16ELi32ELi32ELi8ELi32ELi8ELi8ELi32ELc84ELc78EKfS1_fEEvlllT_PT11_llS4_llS2_PT12_llPT13_lli.num_vgpr, 46
	.set _ZN12_GLOBAL__N_127rocblas_gemm_batched_kernelIfLi16ELi16ELi32ELi32ELi8ELi32ELi8ELi8ELi32ELc84ELc78EKfS1_fEEvlllT_PT11_llS4_llS2_PT12_llPT13_lli.num_agpr, 0
	.set _ZN12_GLOBAL__N_127rocblas_gemm_batched_kernelIfLi16ELi16ELi32ELi32ELi8ELi32ELi8ELi8ELi32ELc84ELc78EKfS1_fEEvlllT_PT11_llS4_llS2_PT12_llPT13_lli.numbered_sgpr, 22
	.set _ZN12_GLOBAL__N_127rocblas_gemm_batched_kernelIfLi16ELi16ELi32ELi32ELi8ELi32ELi8ELi8ELi32ELc84ELc78EKfS1_fEEvlllT_PT11_llS4_llS2_PT12_llPT13_lli.num_named_barrier, 0
	.set _ZN12_GLOBAL__N_127rocblas_gemm_batched_kernelIfLi16ELi16ELi32ELi32ELi8ELi32ELi8ELi8ELi32ELc84ELc78EKfS1_fEEvlllT_PT11_llS4_llS2_PT12_llPT13_lli.private_seg_size, 0
	.set _ZN12_GLOBAL__N_127rocblas_gemm_batched_kernelIfLi16ELi16ELi32ELi32ELi8ELi32ELi8ELi8ELi32ELc84ELc78EKfS1_fEEvlllT_PT11_llS4_llS2_PT12_llPT13_lli.uses_vcc, 1
	.set _ZN12_GLOBAL__N_127rocblas_gemm_batched_kernelIfLi16ELi16ELi32ELi32ELi8ELi32ELi8ELi8ELi32ELc84ELc78EKfS1_fEEvlllT_PT11_llS4_llS2_PT12_llPT13_lli.uses_flat_scratch, 0
	.set _ZN12_GLOBAL__N_127rocblas_gemm_batched_kernelIfLi16ELi16ELi32ELi32ELi8ELi32ELi8ELi8ELi32ELc84ELc78EKfS1_fEEvlllT_PT11_llS4_llS2_PT12_llPT13_lli.has_dyn_sized_stack, 0
	.set _ZN12_GLOBAL__N_127rocblas_gemm_batched_kernelIfLi16ELi16ELi32ELi32ELi8ELi32ELi8ELi8ELi32ELc84ELc78EKfS1_fEEvlllT_PT11_llS4_llS2_PT12_llPT13_lli.has_recursion, 0
	.set _ZN12_GLOBAL__N_127rocblas_gemm_batched_kernelIfLi16ELi16ELi32ELi32ELi8ELi32ELi8ELi8ELi32ELc84ELc78EKfS1_fEEvlllT_PT11_llS4_llS2_PT12_llPT13_lli.has_indirect_call, 0
	.section	.AMDGPU.csdata,"",@progbits
; Kernel info:
; codeLenInByte = 1420
; TotalNumSgprs: 24
; NumVgprs: 46
; ScratchSize: 0
; MemoryBound: 0
; FloatMode: 240
; IeeeMode: 1
; LDSByteSize: 2048 bytes/workgroup (compile time only)
; SGPRBlocks: 0
; VGPRBlocks: 5
; NumSGPRsForWavesPerEU: 24
; NumVGPRsForWavesPerEU: 46
; Occupancy: 16
; WaveLimiterHint : 0
; COMPUTE_PGM_RSRC2:SCRATCH_EN: 0
; COMPUTE_PGM_RSRC2:USER_SGPR: 6
; COMPUTE_PGM_RSRC2:TRAP_HANDLER: 0
; COMPUTE_PGM_RSRC2:TGID_X_EN: 1
; COMPUTE_PGM_RSRC2:TGID_Y_EN: 1
; COMPUTE_PGM_RSRC2:TGID_Z_EN: 1
; COMPUTE_PGM_RSRC2:TIDIG_COMP_CNT: 1
	.section	.text._ZN12_GLOBAL__N_127rocblas_gemm_batched_kernelIfLi16ELi16ELi32ELi32ELi8ELi32ELi8ELi8ELi32ELc78ELc84EKfS1_fEEvlllT_PT11_llS4_llS2_PT12_llPT13_lli,"axG",@progbits,_ZN12_GLOBAL__N_127rocblas_gemm_batched_kernelIfLi16ELi16ELi32ELi32ELi8ELi32ELi8ELi8ELi32ELc78ELc84EKfS1_fEEvlllT_PT11_llS4_llS2_PT12_llPT13_lli,comdat
	.globl	_ZN12_GLOBAL__N_127rocblas_gemm_batched_kernelIfLi16ELi16ELi32ELi32ELi8ELi32ELi8ELi8ELi32ELc78ELc84EKfS1_fEEvlllT_PT11_llS4_llS2_PT12_llPT13_lli ; -- Begin function _ZN12_GLOBAL__N_127rocblas_gemm_batched_kernelIfLi16ELi16ELi32ELi32ELi8ELi32ELi8ELi8ELi32ELc78ELc84EKfS1_fEEvlllT_PT11_llS4_llS2_PT12_llPT13_lli
	.p2align	8
	.type	_ZN12_GLOBAL__N_127rocblas_gemm_batched_kernelIfLi16ELi16ELi32ELi32ELi8ELi32ELi8ELi8ELi32ELc78ELc84EKfS1_fEEvlllT_PT11_llS4_llS2_PT12_llPT13_lli,@function
_ZN12_GLOBAL__N_127rocblas_gemm_batched_kernelIfLi16ELi16ELi32ELi32ELi8ELi32ELi8ELi8ELi32ELc78ELc84EKfS1_fEEvlllT_PT11_llS4_llS2_PT12_llPT13_lli: ; @_ZN12_GLOBAL__N_127rocblas_gemm_batched_kernelIfLi16ELi16ELi32ELi32ELi8ELi32ELi8ELi8ELi32ELc78ELc84EKfS1_fEEvlllT_PT11_llS4_llS2_PT12_llPT13_lli
; %bb.0:
	s_load_dwordx2 s[20:21], s[4:5], 0x10
	s_mov_b32 s0, s7
	v_mov_b32_e32 v9, 0
	v_mov_b32_e32 v8, 0
	;; [unrolled: 1-line block ×4, first 2 shown]
	s_ashr_i32 s7, s6, 31
	s_ashr_i32 s1, s0, 31
	s_lshl_b64 s[6:7], s[6:7], 5
	s_lshl_b64 s[10:11], s[0:1], 5
	s_waitcnt lgkmcnt(0)
	v_cmp_lt_i64_e64 s2, s[20:21], 1
	s_and_b32 vcc_lo, exec_lo, s2
	s_cbranch_vccnz .LBB318_3
; %bb.1:
	s_clause 0x1
	s_load_dwordx4 s[0:3], s[4:5], 0x40
	s_load_dwordx8 s[12:19], s[4:5], 0x20
	v_lshl_add_u32 v3, v1, 4, v0
	v_and_b32_e32 v8, 7, v0
	v_lshlrev_b32_e32 v10, 2, v0
	v_lshl_add_u32 v11, v1, 5, 0x400
	v_lshrrev_b32_e32 v2, 3, v3
	v_and_b32_e32 v14, 31, v3
	v_lshlrev_b32_e32 v4, 2, v8
	v_lshrrev_b32_e32 v9, 5, v3
	v_mov_b32_e32 v3, 0
	v_lshlrev_b32_e32 v5, 2, v14
	v_lshl_or_b32 v4, v2, 5, v4
	v_lshl_or_b32 v12, v9, 7, v5
	v_add_nc_u32_e32 v13, 0x400, v4
	s_waitcnt lgkmcnt(0)
	v_mad_u64_u32 v[4:5], null, s0, v8, v[2:3]
	v_mad_u64_u32 v[6:7], null, s14, v9, s[6:7]
	s_mul_i32 s3, s3, s8
	s_mul_hi_u32 s9, s2, s8
	s_mul_i32 s2, s2, s8
	s_add_i32 s3, s9, s3
	v_mov_b32_e32 v2, v5
	v_add_co_u32 v4, vcc_lo, v4, s10
	v_mov_b32_e32 v5, v7
	s_lshl_b64 s[2:3], s[2:3], 2
	v_mad_u64_u32 v[7:8], null, s1, v8, v[2:3]
	s_mul_i32 s17, s17, s8
	v_mad_u64_u32 v[8:9], null, s15, v9, v[5:6]
	s_mul_hi_u32 s9, s16, s8
	s_add_u32 s18, s18, s2
	s_mul_i32 s16, s16, s8
	v_add_co_ci_u32_e64 v5, null, s11, v7, vcc_lo
	v_add_co_u32 v6, vcc_lo, v6, v14
	v_add_co_ci_u32_e64 v7, null, 0, v8, vcc_lo
	v_lshlrev_b64 v[4:5], 2, v[4:5]
	s_addc_u32 s19, s19, s3
	s_add_i32 s17, s9, s17
	v_lshlrev_b64 v[6:7], 2, v[6:7]
	s_lshl_b64 s[2:3], s[16:17], 2
	s_lshl_b64 s[0:1], s[0:1], 5
	s_add_u32 s2, s12, s2
	v_add_co_u32 v4, vcc_lo, s18, v4
	v_add_co_ci_u32_e64 v5, null, s19, v5, vcc_lo
	s_addc_u32 s3, s13, s3
	v_add_co_u32 v6, vcc_lo, s2, v6
	v_add_co_ci_u32_e64 v7, null, s3, v7, vcc_lo
	v_mov_b32_e32 v2, v3
	v_mov_b32_e32 v8, v3
	;; [unrolled: 1-line block ×3, first 2 shown]
	s_lshl_b64 s[2:3], s[14:15], 5
	s_mov_b64 s[12:13], 0
.LBB318_2:                              ; =>This Inner Loop Header: Depth=1
	global_load_dword v14, v[6:7], off
	global_load_dword v15, v[4:5], off
	s_add_u32 s12, s12, 8
	s_addc_u32 s13, s13, 0
	v_add_co_u32 v4, vcc_lo, v4, s0
	v_cmp_lt_i64_e64 s9, s[12:13], s[20:21]
	v_add_co_ci_u32_e64 v5, null, s1, v5, vcc_lo
	v_add_co_u32 v6, vcc_lo, v6, s2
	v_add_co_ci_u32_e64 v7, null, s3, v7, vcc_lo
	s_and_b32 vcc_lo, exec_lo, s9
	s_waitcnt vmcnt(1)
	ds_write_b32 v12, v14
	s_waitcnt vmcnt(0)
	ds_write_b32 v13, v15
	s_waitcnt lgkmcnt(0)
	s_barrier
	buffer_gl0_inv
	ds_read_b128 v[14:17], v11
	ds_read2_b32 v[30:31], v10 offset1:16
	ds_read_b128 v[18:21], v11 offset:512
	ds_read2_b32 v[32:33], v10 offset0:32 offset1:48
	ds_read2_b32 v[34:35], v10 offset0:64 offset1:80
	ds_read_b128 v[22:25], v11 offset:16
	ds_read2_b32 v[36:37], v10 offset0:96 offset1:112
	ds_read2_b32 v[38:39], v10 offset0:128 offset1:144
	;; [unrolled: 3-line block ×3, first 2 shown]
	ds_read2_b32 v[44:45], v10 offset0:224 offset1:240
	s_waitcnt lgkmcnt(0)
	s_barrier
	buffer_gl0_inv
	v_fmac_f32_e32 v9, v30, v14
	v_fmac_f32_e32 v8, v31, v14
	;; [unrolled: 1-line block ×32, first 2 shown]
	s_cbranch_vccnz .LBB318_2
.LBB318_3:
	s_clause 0x3
	s_load_dwordx4 s[0:3], s[4:5], 0x78
	s_load_dword s9, s[4:5], 0x50
	s_load_dwordx8 s[12:19], s[4:5], 0x58
	s_load_dword s4, s[4:5], 0x18
	v_add_co_u32 v5, s5, s6, v0
	v_add_co_ci_u32_e64 v6, null, s7, 0, s5
	v_add_co_u32 v4, s5, s10, v1
	v_add_co_ci_u32_e64 v7, null, s11, 0, s5
	v_lshlrev_b64 v[0:1], 2, v[5:6]
	s_waitcnt lgkmcnt(0)
	s_mul_i32 s3, s3, s8
	s_mul_hi_u32 s5, s2, s8
	v_mul_lo_u32 v5, v7, s0
	v_mul_lo_u32 v6, v4, s1
	s_mul_i32 s2, s2, s8
	v_cmp_neq_f32_e64 s6, s9, 0
	s_add_i32 s3, s5, s3
	s_mov_b32 s5, 0
	s_lshl_b64 s[2:3], s[2:3], 2
	s_add_u32 s2, s18, s2
	s_addc_u32 s3, s19, s3
	s_and_b32 vcc_lo, exec_lo, s6
	s_cbranch_vccnz .LBB318_7
; %bb.4:
	v_mad_u64_u32 v[10:11], null, v4, s0, 0
	s_lshl_b64 s[6:7], s[0:1], 6
	v_mul_f32_e32 v14, s4, v9
	v_mul_f32_e32 v15, s4, v8
	;; [unrolled: 1-line block ×4, first 2 shown]
	v_add3_u32 v11, v11, v6, v5
	v_lshlrev_b64 v[10:11], 2, v[10:11]
	v_add_co_u32 v10, vcc_lo, s2, v10
	v_add_co_ci_u32_e64 v11, null, s3, v11, vcc_lo
	v_add_co_u32 v12, vcc_lo, v10, s6
	v_add_co_ci_u32_e64 v13, null, s7, v11, vcc_lo
	;; [unrolled: 2-line block ×4, first 2 shown]
	global_store_dword v[10:11], v14, off
	global_store_dword v[10:11], v15, off offset:64
	global_store_dword v[12:13], v16, off
	global_store_dword v[12:13], v17, off offset:64
	s_andn2_b32 vcc_lo, exec_lo, s5
	s_cbranch_vccnz .LBB318_6
.LBB318_5:
	v_mul_lo_u32 v7, v7, s14
	v_mul_lo_u32 v12, v4, s15
	v_mad_u64_u32 v[10:11], null, v4, s14, 0
	s_mul_i32 s5, s17, s8
	s_mul_hi_u32 s7, s16, s8
	s_mul_i32 s6, s16, s8
	s_add_i32 s7, s7, s5
	s_lshl_b64 s[6:7], s[6:7], 2
	v_add3_u32 v11, v11, v12, v7
	s_add_u32 s5, s12, s6
	s_addc_u32 s6, s13, s7
	v_mad_u64_u32 v[12:13], null, v4, s0, 0
	v_lshlrev_b64 v[10:11], 2, v[10:11]
	s_lshl_b64 s[0:1], s[0:1], 6
	v_add3_u32 v13, v13, v6, v5
	v_add_co_u32 v7, vcc_lo, s5, v10
	v_add_co_ci_u32_e64 v14, null, s6, v11, vcc_lo
	v_lshlrev_b64 v[4:5], 2, v[12:13]
	v_add_co_u32 v10, vcc_lo, v7, v0
	v_add_co_ci_u32_e64 v11, null, v14, v1, vcc_lo
	v_add_co_u32 v12, vcc_lo, s2, v4
	global_load_dword v15, v[10:11], off
	v_add_co_ci_u32_e64 v13, null, s3, v5, vcc_lo
	v_add_co_u32 v4, vcc_lo, v12, v0
	s_lshl_b64 s[2:3], s[14:15], 6
	v_add_co_ci_u32_e64 v5, null, v13, v1, vcc_lo
	s_waitcnt vmcnt(0)
	v_mul_f32_e32 v6, s9, v15
	v_fmac_f32_e32 v6, s4, v9
	global_store_dword v[4:5], v6, off
	global_load_dword v6, v[10:11], off offset:64
	s_waitcnt vmcnt(0)
	v_mul_f32_e32 v9, s9, v6
	v_add_co_u32 v6, vcc_lo, v7, s2
	v_add_co_ci_u32_e64 v7, null, s3, v14, vcc_lo
	v_fmac_f32_e32 v9, s4, v8
	v_add_co_u32 v6, vcc_lo, v6, v0
	v_add_co_ci_u32_e64 v7, null, v7, v1, vcc_lo
	global_store_dword v[4:5], v9, off offset:64
	v_add_co_u32 v5, vcc_lo, v12, s0
	global_load_dword v4, v[6:7], off
	v_add_co_ci_u32_e64 v8, null, s1, v13, vcc_lo
	v_add_co_u32 v0, vcc_lo, v5, v0
	v_add_co_ci_u32_e64 v1, null, v8, v1, vcc_lo
	s_waitcnt vmcnt(0)
	v_mul_f32_e32 v4, s9, v4
	v_fmac_f32_e32 v4, s4, v2
	global_store_dword v[0:1], v4, off
	global_load_dword v2, v[6:7], off offset:64
	s_waitcnt vmcnt(0)
	v_mul_f32_e32 v2, s9, v2
	v_fmac_f32_e32 v2, s4, v3
	global_store_dword v[0:1], v2, off offset:64
.LBB318_6:
	s_endpgm
.LBB318_7:
	s_branch .LBB318_5
	.section	.rodata,"a",@progbits
	.p2align	6, 0x0
	.amdhsa_kernel _ZN12_GLOBAL__N_127rocblas_gemm_batched_kernelIfLi16ELi16ELi32ELi32ELi8ELi32ELi8ELi8ELi32ELc78ELc84EKfS1_fEEvlllT_PT11_llS4_llS2_PT12_llPT13_lli
		.amdhsa_group_segment_fixed_size 2048
		.amdhsa_private_segment_fixed_size 0
		.amdhsa_kernarg_size 140
		.amdhsa_user_sgpr_count 6
		.amdhsa_user_sgpr_private_segment_buffer 1
		.amdhsa_user_sgpr_dispatch_ptr 0
		.amdhsa_user_sgpr_queue_ptr 0
		.amdhsa_user_sgpr_kernarg_segment_ptr 1
		.amdhsa_user_sgpr_dispatch_id 0
		.amdhsa_user_sgpr_flat_scratch_init 0
		.amdhsa_user_sgpr_private_segment_size 0
		.amdhsa_wavefront_size32 1
		.amdhsa_uses_dynamic_stack 0
		.amdhsa_system_sgpr_private_segment_wavefront_offset 0
		.amdhsa_system_sgpr_workgroup_id_x 1
		.amdhsa_system_sgpr_workgroup_id_y 1
		.amdhsa_system_sgpr_workgroup_id_z 1
		.amdhsa_system_sgpr_workgroup_info 0
		.amdhsa_system_vgpr_workitem_id 1
		.amdhsa_next_free_vgpr 46
		.amdhsa_next_free_sgpr 22
		.amdhsa_reserve_vcc 1
		.amdhsa_reserve_flat_scratch 0
		.amdhsa_float_round_mode_32 0
		.amdhsa_float_round_mode_16_64 0
		.amdhsa_float_denorm_mode_32 3
		.amdhsa_float_denorm_mode_16_64 3
		.amdhsa_dx10_clamp 1
		.amdhsa_ieee_mode 1
		.amdhsa_fp16_overflow 0
		.amdhsa_workgroup_processor_mode 1
		.amdhsa_memory_ordered 1
		.amdhsa_forward_progress 1
		.amdhsa_shared_vgpr_count 0
		.amdhsa_exception_fp_ieee_invalid_op 0
		.amdhsa_exception_fp_denorm_src 0
		.amdhsa_exception_fp_ieee_div_zero 0
		.amdhsa_exception_fp_ieee_overflow 0
		.amdhsa_exception_fp_ieee_underflow 0
		.amdhsa_exception_fp_ieee_inexact 0
		.amdhsa_exception_int_div_zero 0
	.end_amdhsa_kernel
	.section	.text._ZN12_GLOBAL__N_127rocblas_gemm_batched_kernelIfLi16ELi16ELi32ELi32ELi8ELi32ELi8ELi8ELi32ELc78ELc84EKfS1_fEEvlllT_PT11_llS4_llS2_PT12_llPT13_lli,"axG",@progbits,_ZN12_GLOBAL__N_127rocblas_gemm_batched_kernelIfLi16ELi16ELi32ELi32ELi8ELi32ELi8ELi8ELi32ELc78ELc84EKfS1_fEEvlllT_PT11_llS4_llS2_PT12_llPT13_lli,comdat
.Lfunc_end318:
	.size	_ZN12_GLOBAL__N_127rocblas_gemm_batched_kernelIfLi16ELi16ELi32ELi32ELi8ELi32ELi8ELi8ELi32ELc78ELc84EKfS1_fEEvlllT_PT11_llS4_llS2_PT12_llPT13_lli, .Lfunc_end318-_ZN12_GLOBAL__N_127rocblas_gemm_batched_kernelIfLi16ELi16ELi32ELi32ELi8ELi32ELi8ELi8ELi32ELc78ELc84EKfS1_fEEvlllT_PT11_llS4_llS2_PT12_llPT13_lli
                                        ; -- End function
	.set _ZN12_GLOBAL__N_127rocblas_gemm_batched_kernelIfLi16ELi16ELi32ELi32ELi8ELi32ELi8ELi8ELi32ELc78ELc84EKfS1_fEEvlllT_PT11_llS4_llS2_PT12_llPT13_lli.num_vgpr, 46
	.set _ZN12_GLOBAL__N_127rocblas_gemm_batched_kernelIfLi16ELi16ELi32ELi32ELi8ELi32ELi8ELi8ELi32ELc78ELc84EKfS1_fEEvlllT_PT11_llS4_llS2_PT12_llPT13_lli.num_agpr, 0
	.set _ZN12_GLOBAL__N_127rocblas_gemm_batched_kernelIfLi16ELi16ELi32ELi32ELi8ELi32ELi8ELi8ELi32ELc78ELc84EKfS1_fEEvlllT_PT11_llS4_llS2_PT12_llPT13_lli.numbered_sgpr, 22
	.set _ZN12_GLOBAL__N_127rocblas_gemm_batched_kernelIfLi16ELi16ELi32ELi32ELi8ELi32ELi8ELi8ELi32ELc78ELc84EKfS1_fEEvlllT_PT11_llS4_llS2_PT12_llPT13_lli.num_named_barrier, 0
	.set _ZN12_GLOBAL__N_127rocblas_gemm_batched_kernelIfLi16ELi16ELi32ELi32ELi8ELi32ELi8ELi8ELi32ELc78ELc84EKfS1_fEEvlllT_PT11_llS4_llS2_PT12_llPT13_lli.private_seg_size, 0
	.set _ZN12_GLOBAL__N_127rocblas_gemm_batched_kernelIfLi16ELi16ELi32ELi32ELi8ELi32ELi8ELi8ELi32ELc78ELc84EKfS1_fEEvlllT_PT11_llS4_llS2_PT12_llPT13_lli.uses_vcc, 1
	.set _ZN12_GLOBAL__N_127rocblas_gemm_batched_kernelIfLi16ELi16ELi32ELi32ELi8ELi32ELi8ELi8ELi32ELc78ELc84EKfS1_fEEvlllT_PT11_llS4_llS2_PT12_llPT13_lli.uses_flat_scratch, 0
	.set _ZN12_GLOBAL__N_127rocblas_gemm_batched_kernelIfLi16ELi16ELi32ELi32ELi8ELi32ELi8ELi8ELi32ELc78ELc84EKfS1_fEEvlllT_PT11_llS4_llS2_PT12_llPT13_lli.has_dyn_sized_stack, 0
	.set _ZN12_GLOBAL__N_127rocblas_gemm_batched_kernelIfLi16ELi16ELi32ELi32ELi8ELi32ELi8ELi8ELi32ELc78ELc84EKfS1_fEEvlllT_PT11_llS4_llS2_PT12_llPT13_lli.has_recursion, 0
	.set _ZN12_GLOBAL__N_127rocblas_gemm_batched_kernelIfLi16ELi16ELi32ELi32ELi8ELi32ELi8ELi8ELi32ELc78ELc84EKfS1_fEEvlllT_PT11_llS4_llS2_PT12_llPT13_lli.has_indirect_call, 0
	.section	.AMDGPU.csdata,"",@progbits
; Kernel info:
; codeLenInByte = 1356
; TotalNumSgprs: 24
; NumVgprs: 46
; ScratchSize: 0
; MemoryBound: 0
; FloatMode: 240
; IeeeMode: 1
; LDSByteSize: 2048 bytes/workgroup (compile time only)
; SGPRBlocks: 0
; VGPRBlocks: 5
; NumSGPRsForWavesPerEU: 24
; NumVGPRsForWavesPerEU: 46
; Occupancy: 16
; WaveLimiterHint : 0
; COMPUTE_PGM_RSRC2:SCRATCH_EN: 0
; COMPUTE_PGM_RSRC2:USER_SGPR: 6
; COMPUTE_PGM_RSRC2:TRAP_HANDLER: 0
; COMPUTE_PGM_RSRC2:TGID_X_EN: 1
; COMPUTE_PGM_RSRC2:TGID_Y_EN: 1
; COMPUTE_PGM_RSRC2:TGID_Z_EN: 1
; COMPUTE_PGM_RSRC2:TIDIG_COMP_CNT: 1
	.section	.text._ZN12_GLOBAL__N_127rocblas_gemm_batched_kernelIfLi16ELi16ELi32ELi32ELi8ELi32ELi8ELi8ELi32ELc84ELc84EKfS1_fEEvlllT_PT11_llS4_llS2_PT12_llPT13_lli,"axG",@progbits,_ZN12_GLOBAL__N_127rocblas_gemm_batched_kernelIfLi16ELi16ELi32ELi32ELi8ELi32ELi8ELi8ELi32ELc84ELc84EKfS1_fEEvlllT_PT11_llS4_llS2_PT12_llPT13_lli,comdat
	.globl	_ZN12_GLOBAL__N_127rocblas_gemm_batched_kernelIfLi16ELi16ELi32ELi32ELi8ELi32ELi8ELi8ELi32ELc84ELc84EKfS1_fEEvlllT_PT11_llS4_llS2_PT12_llPT13_lli ; -- Begin function _ZN12_GLOBAL__N_127rocblas_gemm_batched_kernelIfLi16ELi16ELi32ELi32ELi8ELi32ELi8ELi8ELi32ELc84ELc84EKfS1_fEEvlllT_PT11_llS4_llS2_PT12_llPT13_lli
	.p2align	8
	.type	_ZN12_GLOBAL__N_127rocblas_gemm_batched_kernelIfLi16ELi16ELi32ELi32ELi8ELi32ELi8ELi8ELi32ELc84ELc84EKfS1_fEEvlllT_PT11_llS4_llS2_PT12_llPT13_lli,@function
_ZN12_GLOBAL__N_127rocblas_gemm_batched_kernelIfLi16ELi16ELi32ELi32ELi8ELi32ELi8ELi8ELi32ELc84ELc84EKfS1_fEEvlllT_PT11_llS4_llS2_PT12_llPT13_lli: ; @_ZN12_GLOBAL__N_127rocblas_gemm_batched_kernelIfLi16ELi16ELi32ELi32ELi8ELi32ELi8ELi8ELi32ELc84ELc84EKfS1_fEEvlllT_PT11_llS4_llS2_PT12_llPT13_lli
; %bb.0:
	s_load_dwordx2 s[20:21], s[4:5], 0x10
	s_mov_b32 s0, s7
	v_mov_b32_e32 v9, 0
	v_mov_b32_e32 v8, 0
	;; [unrolled: 1-line block ×4, first 2 shown]
	s_ashr_i32 s7, s6, 31
	s_ashr_i32 s1, s0, 31
	s_lshl_b64 s[6:7], s[6:7], 5
	s_lshl_b64 s[10:11], s[0:1], 5
	s_waitcnt lgkmcnt(0)
	v_cmp_lt_i64_e64 s2, s[20:21], 1
	s_and_b32 vcc_lo, exec_lo, s2
	s_cbranch_vccnz .LBB319_3
; %bb.1:
	s_clause 0x1
	s_load_dwordx8 s[12:19], s[4:5], 0x20
	s_load_dwordx4 s[0:3], s[4:5], 0x40
	v_lshl_add_u32 v4, v1, 4, v0
	v_and_b32_e32 v8, 7, v0
	v_mov_b32_e32 v3, 0
	v_lshlrev_b32_e32 v10, 2, v0
	v_lshl_add_u32 v11, v1, 5, 0x400
	v_and_b32_e32 v5, 31, v4
	v_lshrrev_b32_e32 v2, 3, v4
	v_lshlrev_b32_e32 v6, 2, v8
	v_lshrrev_b32_e32 v14, 5, v4
	v_lshlrev_b32_e32 v4, 2, v5
	v_lshl_or_b32 v9, v2, 5, v6
	v_add_co_u32 v6, s9, s6, v5
	v_add_co_ci_u32_e64 v7, null, s7, 0, s9
	v_lshl_or_b32 v12, v14, 7, v4
	s_waitcnt lgkmcnt(0)
	v_mul_lo_u32 v15, s15, v6
	v_mad_u64_u32 v[4:5], null, s0, v8, v[2:3]
	v_mul_lo_u32 v16, s14, v7
	v_mad_u64_u32 v[6:7], null, s14, v6, 0
	s_mul_i32 s3, s3, s8
	s_mul_hi_u32 s9, s2, s8
	s_mul_i32 s2, s2, s8
	v_mov_b32_e32 v2, v5
	s_add_i32 s3, s9, s3
	v_add_nc_u32_e32 v13, 0x400, v9
	v_add3_u32 v7, v7, v16, v15
	s_lshl_b64 s[2:3], s[2:3], 2
	v_mad_u64_u32 v[8:9], null, s1, v8, v[2:3]
	s_add_u32 s9, s18, s2
	s_addc_u32 s14, s19, s3
	s_mul_i32 s2, s17, s8
	s_mul_hi_u32 s3, s16, s8
	v_lshlrev_b64 v[5:6], 2, v[6:7]
	v_add_co_u32 v7, vcc_lo, v4, s10
	s_add_i32 s3, s3, s2
	s_mul_i32 s2, s16, s8
	v_add_co_ci_u32_e64 v8, null, s11, v8, vcc_lo
	s_lshl_b64 s[2:3], s[2:3], 2
	v_lshlrev_b32_e32 v2, 2, v14
	v_add_co_u32 v9, vcc_lo, v5, s2
	v_add_co_ci_u32_e64 v6, null, s3, v6, vcc_lo
	v_lshlrev_b64 v[4:5], 2, v[7:8]
	v_add_co_u32 v2, vcc_lo, v9, v2
	v_add_co_ci_u32_e64 v7, null, 0, v6, vcc_lo
	v_mov_b32_e32 v8, v3
	v_add_co_u32 v4, vcc_lo, s9, v4
	v_add_co_ci_u32_e64 v5, null, s14, v5, vcc_lo
	v_add_co_u32 v6, vcc_lo, s12, v2
	v_add_co_ci_u32_e64 v7, null, s13, v7, vcc_lo
	v_mov_b32_e32 v2, v3
	v_mov_b32_e32 v9, v3
	s_lshl_b64 s[0:1], s[0:1], 5
	s_mov_b64 s[2:3], 0
.LBB319_2:                              ; =>This Inner Loop Header: Depth=1
	global_load_dword v14, v[6:7], off
	global_load_dword v15, v[4:5], off
	s_add_u32 s2, s2, 8
	s_addc_u32 s3, s3, 0
	v_add_co_u32 v4, vcc_lo, v4, s0
	v_cmp_lt_i64_e64 s9, s[2:3], s[20:21]
	v_add_co_ci_u32_e64 v5, null, s1, v5, vcc_lo
	v_add_co_u32 v6, vcc_lo, v6, 32
	v_add_co_ci_u32_e64 v7, null, 0, v7, vcc_lo
	s_and_b32 vcc_lo, exec_lo, s9
	s_waitcnt vmcnt(1)
	ds_write_b32 v12, v14
	s_waitcnt vmcnt(0)
	ds_write_b32 v13, v15
	s_waitcnt lgkmcnt(0)
	s_barrier
	buffer_gl0_inv
	ds_read_b128 v[14:17], v11
	ds_read2_b32 v[30:31], v10 offset1:16
	ds_read_b128 v[18:21], v11 offset:512
	ds_read2_b32 v[32:33], v10 offset0:32 offset1:48
	ds_read2_b32 v[34:35], v10 offset0:64 offset1:80
	ds_read_b128 v[22:25], v11 offset:16
	ds_read2_b32 v[36:37], v10 offset0:96 offset1:112
	ds_read2_b32 v[38:39], v10 offset0:128 offset1:144
	ds_read_b128 v[26:29], v11 offset:528
	ds_read2_b32 v[40:41], v10 offset0:160 offset1:176
	ds_read2_b32 v[42:43], v10 offset0:192 offset1:208
	ds_read2_b32 v[44:45], v10 offset0:224 offset1:240
	s_waitcnt lgkmcnt(0)
	s_barrier
	buffer_gl0_inv
	v_fmac_f32_e32 v9, v30, v14
	v_fmac_f32_e32 v8, v31, v14
	;; [unrolled: 1-line block ×32, first 2 shown]
	s_cbranch_vccnz .LBB319_2
.LBB319_3:
	s_clause 0x3
	s_load_dwordx4 s[0:3], s[4:5], 0x78
	s_load_dword s9, s[4:5], 0x50
	s_load_dwordx8 s[12:19], s[4:5], 0x58
	s_load_dword s4, s[4:5], 0x18
	v_add_co_u32 v5, s5, s6, v0
	v_add_co_ci_u32_e64 v6, null, s7, 0, s5
	v_add_co_u32 v4, s5, s10, v1
	v_add_co_ci_u32_e64 v7, null, s11, 0, s5
	v_lshlrev_b64 v[0:1], 2, v[5:6]
	s_waitcnt lgkmcnt(0)
	s_mul_i32 s3, s3, s8
	s_mul_hi_u32 s5, s2, s8
	v_mul_lo_u32 v5, v7, s0
	v_mul_lo_u32 v6, v4, s1
	s_mul_i32 s2, s2, s8
	v_cmp_neq_f32_e64 s6, s9, 0
	s_add_i32 s3, s5, s3
	s_mov_b32 s5, 0
	s_lshl_b64 s[2:3], s[2:3], 2
	s_add_u32 s2, s18, s2
	s_addc_u32 s3, s19, s3
	s_and_b32 vcc_lo, exec_lo, s6
	s_cbranch_vccnz .LBB319_7
; %bb.4:
	v_mad_u64_u32 v[10:11], null, v4, s0, 0
	s_lshl_b64 s[6:7], s[0:1], 6
	v_mul_f32_e32 v14, s4, v9
	v_mul_f32_e32 v15, s4, v8
	v_mul_f32_e32 v16, s4, v2
	v_mul_f32_e32 v17, s4, v3
	v_add3_u32 v11, v11, v6, v5
	v_lshlrev_b64 v[10:11], 2, v[10:11]
	v_add_co_u32 v10, vcc_lo, s2, v10
	v_add_co_ci_u32_e64 v11, null, s3, v11, vcc_lo
	v_add_co_u32 v12, vcc_lo, v10, s6
	v_add_co_ci_u32_e64 v13, null, s7, v11, vcc_lo
	;; [unrolled: 2-line block ×4, first 2 shown]
	global_store_dword v[10:11], v14, off
	global_store_dword v[10:11], v15, off offset:64
	global_store_dword v[12:13], v16, off
	global_store_dword v[12:13], v17, off offset:64
	s_andn2_b32 vcc_lo, exec_lo, s5
	s_cbranch_vccnz .LBB319_6
.LBB319_5:
	v_mul_lo_u32 v7, v7, s14
	v_mul_lo_u32 v12, v4, s15
	v_mad_u64_u32 v[10:11], null, v4, s14, 0
	s_mul_i32 s5, s17, s8
	s_mul_hi_u32 s7, s16, s8
	s_mul_i32 s6, s16, s8
	s_add_i32 s7, s7, s5
	s_lshl_b64 s[6:7], s[6:7], 2
	v_add3_u32 v11, v11, v12, v7
	s_add_u32 s5, s12, s6
	s_addc_u32 s6, s13, s7
	v_mad_u64_u32 v[12:13], null, v4, s0, 0
	v_lshlrev_b64 v[10:11], 2, v[10:11]
	s_lshl_b64 s[0:1], s[0:1], 6
	v_add3_u32 v13, v13, v6, v5
	v_add_co_u32 v7, vcc_lo, s5, v10
	v_add_co_ci_u32_e64 v14, null, s6, v11, vcc_lo
	v_lshlrev_b64 v[4:5], 2, v[12:13]
	v_add_co_u32 v10, vcc_lo, v7, v0
	v_add_co_ci_u32_e64 v11, null, v14, v1, vcc_lo
	v_add_co_u32 v12, vcc_lo, s2, v4
	global_load_dword v15, v[10:11], off
	v_add_co_ci_u32_e64 v13, null, s3, v5, vcc_lo
	v_add_co_u32 v4, vcc_lo, v12, v0
	s_lshl_b64 s[2:3], s[14:15], 6
	v_add_co_ci_u32_e64 v5, null, v13, v1, vcc_lo
	s_waitcnt vmcnt(0)
	v_mul_f32_e32 v6, s9, v15
	v_fmac_f32_e32 v6, s4, v9
	global_store_dword v[4:5], v6, off
	global_load_dword v6, v[10:11], off offset:64
	s_waitcnt vmcnt(0)
	v_mul_f32_e32 v9, s9, v6
	v_add_co_u32 v6, vcc_lo, v7, s2
	v_add_co_ci_u32_e64 v7, null, s3, v14, vcc_lo
	v_fmac_f32_e32 v9, s4, v8
	v_add_co_u32 v6, vcc_lo, v6, v0
	v_add_co_ci_u32_e64 v7, null, v7, v1, vcc_lo
	global_store_dword v[4:5], v9, off offset:64
	v_add_co_u32 v5, vcc_lo, v12, s0
	global_load_dword v4, v[6:7], off
	v_add_co_ci_u32_e64 v8, null, s1, v13, vcc_lo
	v_add_co_u32 v0, vcc_lo, v5, v0
	v_add_co_ci_u32_e64 v1, null, v8, v1, vcc_lo
	s_waitcnt vmcnt(0)
	v_mul_f32_e32 v4, s9, v4
	v_fmac_f32_e32 v4, s4, v2
	global_store_dword v[0:1], v4, off
	global_load_dword v2, v[6:7], off offset:64
	s_waitcnt vmcnt(0)
	v_mul_f32_e32 v2, s9, v2
	v_fmac_f32_e32 v2, s4, v3
	global_store_dword v[0:1], v2, off offset:64
.LBB319_6:
	s_endpgm
.LBB319_7:
	s_branch .LBB319_5
	.section	.rodata,"a",@progbits
	.p2align	6, 0x0
	.amdhsa_kernel _ZN12_GLOBAL__N_127rocblas_gemm_batched_kernelIfLi16ELi16ELi32ELi32ELi8ELi32ELi8ELi8ELi32ELc84ELc84EKfS1_fEEvlllT_PT11_llS4_llS2_PT12_llPT13_lli
		.amdhsa_group_segment_fixed_size 2048
		.amdhsa_private_segment_fixed_size 0
		.amdhsa_kernarg_size 140
		.amdhsa_user_sgpr_count 6
		.amdhsa_user_sgpr_private_segment_buffer 1
		.amdhsa_user_sgpr_dispatch_ptr 0
		.amdhsa_user_sgpr_queue_ptr 0
		.amdhsa_user_sgpr_kernarg_segment_ptr 1
		.amdhsa_user_sgpr_dispatch_id 0
		.amdhsa_user_sgpr_flat_scratch_init 0
		.amdhsa_user_sgpr_private_segment_size 0
		.amdhsa_wavefront_size32 1
		.amdhsa_uses_dynamic_stack 0
		.amdhsa_system_sgpr_private_segment_wavefront_offset 0
		.amdhsa_system_sgpr_workgroup_id_x 1
		.amdhsa_system_sgpr_workgroup_id_y 1
		.amdhsa_system_sgpr_workgroup_id_z 1
		.amdhsa_system_sgpr_workgroup_info 0
		.amdhsa_system_vgpr_workitem_id 1
		.amdhsa_next_free_vgpr 46
		.amdhsa_next_free_sgpr 22
		.amdhsa_reserve_vcc 1
		.amdhsa_reserve_flat_scratch 0
		.amdhsa_float_round_mode_32 0
		.amdhsa_float_round_mode_16_64 0
		.amdhsa_float_denorm_mode_32 3
		.amdhsa_float_denorm_mode_16_64 3
		.amdhsa_dx10_clamp 1
		.amdhsa_ieee_mode 1
		.amdhsa_fp16_overflow 0
		.amdhsa_workgroup_processor_mode 1
		.amdhsa_memory_ordered 1
		.amdhsa_forward_progress 1
		.amdhsa_shared_vgpr_count 0
		.amdhsa_exception_fp_ieee_invalid_op 0
		.amdhsa_exception_fp_denorm_src 0
		.amdhsa_exception_fp_ieee_div_zero 0
		.amdhsa_exception_fp_ieee_overflow 0
		.amdhsa_exception_fp_ieee_underflow 0
		.amdhsa_exception_fp_ieee_inexact 0
		.amdhsa_exception_int_div_zero 0
	.end_amdhsa_kernel
	.section	.text._ZN12_GLOBAL__N_127rocblas_gemm_batched_kernelIfLi16ELi16ELi32ELi32ELi8ELi32ELi8ELi8ELi32ELc84ELc84EKfS1_fEEvlllT_PT11_llS4_llS2_PT12_llPT13_lli,"axG",@progbits,_ZN12_GLOBAL__N_127rocblas_gemm_batched_kernelIfLi16ELi16ELi32ELi32ELi8ELi32ELi8ELi8ELi32ELc84ELc84EKfS1_fEEvlllT_PT11_llS4_llS2_PT12_llPT13_lli,comdat
.Lfunc_end319:
	.size	_ZN12_GLOBAL__N_127rocblas_gemm_batched_kernelIfLi16ELi16ELi32ELi32ELi8ELi32ELi8ELi8ELi32ELc84ELc84EKfS1_fEEvlllT_PT11_llS4_llS2_PT12_llPT13_lli, .Lfunc_end319-_ZN12_GLOBAL__N_127rocblas_gemm_batched_kernelIfLi16ELi16ELi32ELi32ELi8ELi32ELi8ELi8ELi32ELc84ELc84EKfS1_fEEvlllT_PT11_llS4_llS2_PT12_llPT13_lli
                                        ; -- End function
	.set _ZN12_GLOBAL__N_127rocblas_gemm_batched_kernelIfLi16ELi16ELi32ELi32ELi8ELi32ELi8ELi8ELi32ELc84ELc84EKfS1_fEEvlllT_PT11_llS4_llS2_PT12_llPT13_lli.num_vgpr, 46
	.set _ZN12_GLOBAL__N_127rocblas_gemm_batched_kernelIfLi16ELi16ELi32ELi32ELi8ELi32ELi8ELi8ELi32ELc84ELc84EKfS1_fEEvlllT_PT11_llS4_llS2_PT12_llPT13_lli.num_agpr, 0
	.set _ZN12_GLOBAL__N_127rocblas_gemm_batched_kernelIfLi16ELi16ELi32ELi32ELi8ELi32ELi8ELi8ELi32ELc84ELc84EKfS1_fEEvlllT_PT11_llS4_llS2_PT12_llPT13_lli.numbered_sgpr, 22
	.set _ZN12_GLOBAL__N_127rocblas_gemm_batched_kernelIfLi16ELi16ELi32ELi32ELi8ELi32ELi8ELi8ELi32ELc84ELc84EKfS1_fEEvlllT_PT11_llS4_llS2_PT12_llPT13_lli.num_named_barrier, 0
	.set _ZN12_GLOBAL__N_127rocblas_gemm_batched_kernelIfLi16ELi16ELi32ELi32ELi8ELi32ELi8ELi8ELi32ELc84ELc84EKfS1_fEEvlllT_PT11_llS4_llS2_PT12_llPT13_lli.private_seg_size, 0
	.set _ZN12_GLOBAL__N_127rocblas_gemm_batched_kernelIfLi16ELi16ELi32ELi32ELi8ELi32ELi8ELi8ELi32ELc84ELc84EKfS1_fEEvlllT_PT11_llS4_llS2_PT12_llPT13_lli.uses_vcc, 1
	.set _ZN12_GLOBAL__N_127rocblas_gemm_batched_kernelIfLi16ELi16ELi32ELi32ELi8ELi32ELi8ELi8ELi32ELc84ELc84EKfS1_fEEvlllT_PT11_llS4_llS2_PT12_llPT13_lli.uses_flat_scratch, 0
	.set _ZN12_GLOBAL__N_127rocblas_gemm_batched_kernelIfLi16ELi16ELi32ELi32ELi8ELi32ELi8ELi8ELi32ELc84ELc84EKfS1_fEEvlllT_PT11_llS4_llS2_PT12_llPT13_lli.has_dyn_sized_stack, 0
	.set _ZN12_GLOBAL__N_127rocblas_gemm_batched_kernelIfLi16ELi16ELi32ELi32ELi8ELi32ELi8ELi8ELi32ELc84ELc84EKfS1_fEEvlllT_PT11_llS4_llS2_PT12_llPT13_lli.has_recursion, 0
	.set _ZN12_GLOBAL__N_127rocblas_gemm_batched_kernelIfLi16ELi16ELi32ELi32ELi8ELi32ELi8ELi8ELi32ELc84ELc84EKfS1_fEEvlllT_PT11_llS4_llS2_PT12_llPT13_lli.has_indirect_call, 0
	.section	.AMDGPU.csdata,"",@progbits
; Kernel info:
; codeLenInByte = 1392
; TotalNumSgprs: 24
; NumVgprs: 46
; ScratchSize: 0
; MemoryBound: 0
; FloatMode: 240
; IeeeMode: 1
; LDSByteSize: 2048 bytes/workgroup (compile time only)
; SGPRBlocks: 0
; VGPRBlocks: 5
; NumSGPRsForWavesPerEU: 24
; NumVGPRsForWavesPerEU: 46
; Occupancy: 16
; WaveLimiterHint : 0
; COMPUTE_PGM_RSRC2:SCRATCH_EN: 0
; COMPUTE_PGM_RSRC2:USER_SGPR: 6
; COMPUTE_PGM_RSRC2:TRAP_HANDLER: 0
; COMPUTE_PGM_RSRC2:TGID_X_EN: 1
; COMPUTE_PGM_RSRC2:TGID_Y_EN: 1
; COMPUTE_PGM_RSRC2:TGID_Z_EN: 1
; COMPUTE_PGM_RSRC2:TIDIG_COMP_CNT: 1
	.section	.text._ZN12_GLOBAL__N_127rocblas_gemm_batched_kernelIfLi16ELi16ELi32ELi32ELi8ELi32ELi8ELi8ELi32ELc67ELc67EKfS1_fEEvlllT_PT11_llS4_llS2_PT12_llPT13_lli,"axG",@progbits,_ZN12_GLOBAL__N_127rocblas_gemm_batched_kernelIfLi16ELi16ELi32ELi32ELi8ELi32ELi8ELi8ELi32ELc67ELc67EKfS1_fEEvlllT_PT11_llS4_llS2_PT12_llPT13_lli,comdat
	.globl	_ZN12_GLOBAL__N_127rocblas_gemm_batched_kernelIfLi16ELi16ELi32ELi32ELi8ELi32ELi8ELi8ELi32ELc67ELc67EKfS1_fEEvlllT_PT11_llS4_llS2_PT12_llPT13_lli ; -- Begin function _ZN12_GLOBAL__N_127rocblas_gemm_batched_kernelIfLi16ELi16ELi32ELi32ELi8ELi32ELi8ELi8ELi32ELc67ELc67EKfS1_fEEvlllT_PT11_llS4_llS2_PT12_llPT13_lli
	.p2align	8
	.type	_ZN12_GLOBAL__N_127rocblas_gemm_batched_kernelIfLi16ELi16ELi32ELi32ELi8ELi32ELi8ELi8ELi32ELc67ELc67EKfS1_fEEvlllT_PT11_llS4_llS2_PT12_llPT13_lli,@function
_ZN12_GLOBAL__N_127rocblas_gemm_batched_kernelIfLi16ELi16ELi32ELi32ELi8ELi32ELi8ELi8ELi32ELc67ELc67EKfS1_fEEvlllT_PT11_llS4_llS2_PT12_llPT13_lli: ; @_ZN12_GLOBAL__N_127rocblas_gemm_batched_kernelIfLi16ELi16ELi32ELi32ELi8ELi32ELi8ELi8ELi32ELc67ELc67EKfS1_fEEvlllT_PT11_llS4_llS2_PT12_llPT13_lli
; %bb.0:
	s_load_dwordx2 s[20:21], s[4:5], 0x10
	s_mov_b32 s0, s7
	v_mov_b32_e32 v9, 0
	v_mov_b32_e32 v8, 0
	v_mov_b32_e32 v2, 0
	v_mov_b32_e32 v3, 0
	s_ashr_i32 s7, s6, 31
	s_ashr_i32 s1, s0, 31
	s_lshl_b64 s[6:7], s[6:7], 5
	s_lshl_b64 s[10:11], s[0:1], 5
	s_waitcnt lgkmcnt(0)
	v_cmp_lt_i64_e64 s2, s[20:21], 1
	s_and_b32 vcc_lo, exec_lo, s2
	s_cbranch_vccnz .LBB320_3
; %bb.1:
	s_clause 0x1
	s_load_dwordx8 s[12:19], s[4:5], 0x20
	s_load_dwordx4 s[0:3], s[4:5], 0x40
	v_lshl_add_u32 v4, v1, 4, v0
	v_and_b32_e32 v8, 7, v0
	v_mov_b32_e32 v3, 0
	v_lshlrev_b32_e32 v10, 2, v0
	v_lshl_add_u32 v11, v1, 5, 0x400
	v_and_b32_e32 v5, 31, v4
	v_lshrrev_b32_e32 v2, 3, v4
	v_lshlrev_b32_e32 v6, 2, v8
	v_lshrrev_b32_e32 v14, 5, v4
	v_lshlrev_b32_e32 v4, 2, v5
	v_lshl_or_b32 v9, v2, 5, v6
	v_add_co_u32 v6, s9, s6, v5
	v_add_co_ci_u32_e64 v7, null, s7, 0, s9
	v_lshl_or_b32 v12, v14, 7, v4
	s_waitcnt lgkmcnt(0)
	v_mul_lo_u32 v15, s15, v6
	v_mad_u64_u32 v[4:5], null, s0, v8, v[2:3]
	v_mul_lo_u32 v16, s14, v7
	v_mad_u64_u32 v[6:7], null, s14, v6, 0
	s_mul_i32 s3, s3, s8
	s_mul_hi_u32 s9, s2, s8
	s_mul_i32 s2, s2, s8
	v_mov_b32_e32 v2, v5
	s_add_i32 s3, s9, s3
	v_add_nc_u32_e32 v13, 0x400, v9
	v_add3_u32 v7, v7, v16, v15
	s_lshl_b64 s[2:3], s[2:3], 2
	v_mad_u64_u32 v[8:9], null, s1, v8, v[2:3]
	s_add_u32 s9, s18, s2
	s_addc_u32 s14, s19, s3
	s_mul_i32 s2, s17, s8
	s_mul_hi_u32 s3, s16, s8
	v_lshlrev_b64 v[5:6], 2, v[6:7]
	v_add_co_u32 v7, vcc_lo, v4, s10
	s_add_i32 s3, s3, s2
	s_mul_i32 s2, s16, s8
	v_add_co_ci_u32_e64 v8, null, s11, v8, vcc_lo
	s_lshl_b64 s[2:3], s[2:3], 2
	v_lshlrev_b32_e32 v2, 2, v14
	v_add_co_u32 v9, vcc_lo, v5, s2
	v_add_co_ci_u32_e64 v6, null, s3, v6, vcc_lo
	v_lshlrev_b64 v[4:5], 2, v[7:8]
	v_add_co_u32 v2, vcc_lo, v9, v2
	v_add_co_ci_u32_e64 v7, null, 0, v6, vcc_lo
	v_mov_b32_e32 v8, v3
	v_add_co_u32 v4, vcc_lo, s9, v4
	v_add_co_ci_u32_e64 v5, null, s14, v5, vcc_lo
	v_add_co_u32 v6, vcc_lo, s12, v2
	v_add_co_ci_u32_e64 v7, null, s13, v7, vcc_lo
	v_mov_b32_e32 v2, v3
	v_mov_b32_e32 v9, v3
	s_lshl_b64 s[0:1], s[0:1], 5
	s_mov_b64 s[2:3], 0
.LBB320_2:                              ; =>This Inner Loop Header: Depth=1
	global_load_dword v14, v[6:7], off
	global_load_dword v15, v[4:5], off
	s_add_u32 s2, s2, 8
	s_addc_u32 s3, s3, 0
	v_add_co_u32 v4, vcc_lo, v4, s0
	v_cmp_lt_i64_e64 s9, s[2:3], s[20:21]
	v_add_co_ci_u32_e64 v5, null, s1, v5, vcc_lo
	v_add_co_u32 v6, vcc_lo, v6, 32
	v_add_co_ci_u32_e64 v7, null, 0, v7, vcc_lo
	s_and_b32 vcc_lo, exec_lo, s9
	s_waitcnt vmcnt(1)
	ds_write_b32 v12, v14
	s_waitcnt vmcnt(0)
	ds_write_b32 v13, v15
	s_waitcnt lgkmcnt(0)
	s_barrier
	buffer_gl0_inv
	ds_read_b128 v[14:17], v11
	ds_read2_b32 v[30:31], v10 offset1:16
	ds_read_b128 v[18:21], v11 offset:512
	ds_read2_b32 v[32:33], v10 offset0:32 offset1:48
	ds_read2_b32 v[34:35], v10 offset0:64 offset1:80
	ds_read_b128 v[22:25], v11 offset:16
	ds_read2_b32 v[36:37], v10 offset0:96 offset1:112
	ds_read2_b32 v[38:39], v10 offset0:128 offset1:144
	ds_read_b128 v[26:29], v11 offset:528
	ds_read2_b32 v[40:41], v10 offset0:160 offset1:176
	ds_read2_b32 v[42:43], v10 offset0:192 offset1:208
	ds_read2_b32 v[44:45], v10 offset0:224 offset1:240
	s_waitcnt lgkmcnt(0)
	s_barrier
	buffer_gl0_inv
	v_fmac_f32_e32 v9, v30, v14
	v_fmac_f32_e32 v8, v31, v14
	v_fmac_f32_e32 v2, v30, v18
	v_fmac_f32_e32 v3, v31, v18
	v_fmac_f32_e32 v9, v32, v15
	v_fmac_f32_e32 v8, v33, v15
	v_fmac_f32_e32 v2, v32, v19
	v_fmac_f32_e32 v3, v33, v19
	v_fmac_f32_e32 v9, v34, v16
	v_fmac_f32_e32 v8, v35, v16
	v_fmac_f32_e32 v2, v34, v20
	v_fmac_f32_e32 v3, v35, v20
	v_fmac_f32_e32 v9, v36, v17
	v_fmac_f32_e32 v8, v37, v17
	v_fmac_f32_e32 v2, v36, v21
	v_fmac_f32_e32 v3, v37, v21
	v_fmac_f32_e32 v9, v38, v22
	v_fmac_f32_e32 v8, v39, v22
	v_fmac_f32_e32 v2, v38, v26
	v_fmac_f32_e32 v3, v39, v26
	v_fmac_f32_e32 v9, v40, v23
	v_fmac_f32_e32 v8, v41, v23
	v_fmac_f32_e32 v2, v40, v27
	v_fmac_f32_e32 v3, v41, v27
	v_fmac_f32_e32 v9, v42, v24
	v_fmac_f32_e32 v8, v43, v24
	v_fmac_f32_e32 v2, v42, v28
	v_fmac_f32_e32 v3, v43, v28
	v_fmac_f32_e32 v9, v44, v25
	v_fmac_f32_e32 v8, v45, v25
	v_fmac_f32_e32 v2, v44, v29
	v_fmac_f32_e32 v3, v45, v29
	s_cbranch_vccnz .LBB320_2
.LBB320_3:
	s_clause 0x3
	s_load_dwordx4 s[0:3], s[4:5], 0x78
	s_load_dword s9, s[4:5], 0x50
	s_load_dwordx8 s[12:19], s[4:5], 0x58
	s_load_dword s4, s[4:5], 0x18
	v_add_co_u32 v5, s5, s6, v0
	v_add_co_ci_u32_e64 v6, null, s7, 0, s5
	v_add_co_u32 v4, s5, s10, v1
	v_add_co_ci_u32_e64 v7, null, s11, 0, s5
	v_lshlrev_b64 v[0:1], 2, v[5:6]
	s_waitcnt lgkmcnt(0)
	s_mul_i32 s3, s3, s8
	s_mul_hi_u32 s5, s2, s8
	v_mul_lo_u32 v5, v7, s0
	v_mul_lo_u32 v6, v4, s1
	s_mul_i32 s2, s2, s8
	v_cmp_neq_f32_e64 s6, s9, 0
	s_add_i32 s3, s5, s3
	s_mov_b32 s5, 0
	s_lshl_b64 s[2:3], s[2:3], 2
	s_add_u32 s2, s18, s2
	s_addc_u32 s3, s19, s3
	s_and_b32 vcc_lo, exec_lo, s6
	s_cbranch_vccnz .LBB320_7
; %bb.4:
	v_mad_u64_u32 v[10:11], null, v4, s0, 0
	s_lshl_b64 s[6:7], s[0:1], 6
	v_mul_f32_e32 v14, s4, v9
	v_mul_f32_e32 v15, s4, v8
	;; [unrolled: 1-line block ×4, first 2 shown]
	v_add3_u32 v11, v11, v6, v5
	v_lshlrev_b64 v[10:11], 2, v[10:11]
	v_add_co_u32 v10, vcc_lo, s2, v10
	v_add_co_ci_u32_e64 v11, null, s3, v11, vcc_lo
	v_add_co_u32 v12, vcc_lo, v10, s6
	v_add_co_ci_u32_e64 v13, null, s7, v11, vcc_lo
	;; [unrolled: 2-line block ×4, first 2 shown]
	global_store_dword v[10:11], v14, off
	global_store_dword v[10:11], v15, off offset:64
	global_store_dword v[12:13], v16, off
	global_store_dword v[12:13], v17, off offset:64
	s_andn2_b32 vcc_lo, exec_lo, s5
	s_cbranch_vccnz .LBB320_6
.LBB320_5:
	v_mul_lo_u32 v7, v7, s14
	v_mul_lo_u32 v12, v4, s15
	v_mad_u64_u32 v[10:11], null, v4, s14, 0
	s_mul_i32 s5, s17, s8
	s_mul_hi_u32 s7, s16, s8
	s_mul_i32 s6, s16, s8
	s_add_i32 s7, s7, s5
	s_lshl_b64 s[6:7], s[6:7], 2
	v_add3_u32 v11, v11, v12, v7
	s_add_u32 s5, s12, s6
	s_addc_u32 s6, s13, s7
	v_mad_u64_u32 v[12:13], null, v4, s0, 0
	v_lshlrev_b64 v[10:11], 2, v[10:11]
	s_lshl_b64 s[0:1], s[0:1], 6
	v_add3_u32 v13, v13, v6, v5
	v_add_co_u32 v7, vcc_lo, s5, v10
	v_add_co_ci_u32_e64 v14, null, s6, v11, vcc_lo
	v_lshlrev_b64 v[4:5], 2, v[12:13]
	v_add_co_u32 v10, vcc_lo, v7, v0
	v_add_co_ci_u32_e64 v11, null, v14, v1, vcc_lo
	v_add_co_u32 v12, vcc_lo, s2, v4
	global_load_dword v15, v[10:11], off
	v_add_co_ci_u32_e64 v13, null, s3, v5, vcc_lo
	v_add_co_u32 v4, vcc_lo, v12, v0
	s_lshl_b64 s[2:3], s[14:15], 6
	v_add_co_ci_u32_e64 v5, null, v13, v1, vcc_lo
	s_waitcnt vmcnt(0)
	v_mul_f32_e32 v6, s9, v15
	v_fmac_f32_e32 v6, s4, v9
	global_store_dword v[4:5], v6, off
	global_load_dword v6, v[10:11], off offset:64
	s_waitcnt vmcnt(0)
	v_mul_f32_e32 v9, s9, v6
	v_add_co_u32 v6, vcc_lo, v7, s2
	v_add_co_ci_u32_e64 v7, null, s3, v14, vcc_lo
	v_fmac_f32_e32 v9, s4, v8
	v_add_co_u32 v6, vcc_lo, v6, v0
	v_add_co_ci_u32_e64 v7, null, v7, v1, vcc_lo
	global_store_dword v[4:5], v9, off offset:64
	v_add_co_u32 v5, vcc_lo, v12, s0
	global_load_dword v4, v[6:7], off
	v_add_co_ci_u32_e64 v8, null, s1, v13, vcc_lo
	v_add_co_u32 v0, vcc_lo, v5, v0
	v_add_co_ci_u32_e64 v1, null, v8, v1, vcc_lo
	s_waitcnt vmcnt(0)
	v_mul_f32_e32 v4, s9, v4
	v_fmac_f32_e32 v4, s4, v2
	global_store_dword v[0:1], v4, off
	global_load_dword v2, v[6:7], off offset:64
	s_waitcnt vmcnt(0)
	v_mul_f32_e32 v2, s9, v2
	v_fmac_f32_e32 v2, s4, v3
	global_store_dword v[0:1], v2, off offset:64
.LBB320_6:
	s_endpgm
.LBB320_7:
	s_branch .LBB320_5
	.section	.rodata,"a",@progbits
	.p2align	6, 0x0
	.amdhsa_kernel _ZN12_GLOBAL__N_127rocblas_gemm_batched_kernelIfLi16ELi16ELi32ELi32ELi8ELi32ELi8ELi8ELi32ELc67ELc67EKfS1_fEEvlllT_PT11_llS4_llS2_PT12_llPT13_lli
		.amdhsa_group_segment_fixed_size 2048
		.amdhsa_private_segment_fixed_size 0
		.amdhsa_kernarg_size 140
		.amdhsa_user_sgpr_count 6
		.amdhsa_user_sgpr_private_segment_buffer 1
		.amdhsa_user_sgpr_dispatch_ptr 0
		.amdhsa_user_sgpr_queue_ptr 0
		.amdhsa_user_sgpr_kernarg_segment_ptr 1
		.amdhsa_user_sgpr_dispatch_id 0
		.amdhsa_user_sgpr_flat_scratch_init 0
		.amdhsa_user_sgpr_private_segment_size 0
		.amdhsa_wavefront_size32 1
		.amdhsa_uses_dynamic_stack 0
		.amdhsa_system_sgpr_private_segment_wavefront_offset 0
		.amdhsa_system_sgpr_workgroup_id_x 1
		.amdhsa_system_sgpr_workgroup_id_y 1
		.amdhsa_system_sgpr_workgroup_id_z 1
		.amdhsa_system_sgpr_workgroup_info 0
		.amdhsa_system_vgpr_workitem_id 1
		.amdhsa_next_free_vgpr 46
		.amdhsa_next_free_sgpr 22
		.amdhsa_reserve_vcc 1
		.amdhsa_reserve_flat_scratch 0
		.amdhsa_float_round_mode_32 0
		.amdhsa_float_round_mode_16_64 0
		.amdhsa_float_denorm_mode_32 3
		.amdhsa_float_denorm_mode_16_64 3
		.amdhsa_dx10_clamp 1
		.amdhsa_ieee_mode 1
		.amdhsa_fp16_overflow 0
		.amdhsa_workgroup_processor_mode 1
		.amdhsa_memory_ordered 1
		.amdhsa_forward_progress 1
		.amdhsa_shared_vgpr_count 0
		.amdhsa_exception_fp_ieee_invalid_op 0
		.amdhsa_exception_fp_denorm_src 0
		.amdhsa_exception_fp_ieee_div_zero 0
		.amdhsa_exception_fp_ieee_overflow 0
		.amdhsa_exception_fp_ieee_underflow 0
		.amdhsa_exception_fp_ieee_inexact 0
		.amdhsa_exception_int_div_zero 0
	.end_amdhsa_kernel
	.section	.text._ZN12_GLOBAL__N_127rocblas_gemm_batched_kernelIfLi16ELi16ELi32ELi32ELi8ELi32ELi8ELi8ELi32ELc67ELc67EKfS1_fEEvlllT_PT11_llS4_llS2_PT12_llPT13_lli,"axG",@progbits,_ZN12_GLOBAL__N_127rocblas_gemm_batched_kernelIfLi16ELi16ELi32ELi32ELi8ELi32ELi8ELi8ELi32ELc67ELc67EKfS1_fEEvlllT_PT11_llS4_llS2_PT12_llPT13_lli,comdat
.Lfunc_end320:
	.size	_ZN12_GLOBAL__N_127rocblas_gemm_batched_kernelIfLi16ELi16ELi32ELi32ELi8ELi32ELi8ELi8ELi32ELc67ELc67EKfS1_fEEvlllT_PT11_llS4_llS2_PT12_llPT13_lli, .Lfunc_end320-_ZN12_GLOBAL__N_127rocblas_gemm_batched_kernelIfLi16ELi16ELi32ELi32ELi8ELi32ELi8ELi8ELi32ELc67ELc67EKfS1_fEEvlllT_PT11_llS4_llS2_PT12_llPT13_lli
                                        ; -- End function
	.set _ZN12_GLOBAL__N_127rocblas_gemm_batched_kernelIfLi16ELi16ELi32ELi32ELi8ELi32ELi8ELi8ELi32ELc67ELc67EKfS1_fEEvlllT_PT11_llS4_llS2_PT12_llPT13_lli.num_vgpr, 46
	.set _ZN12_GLOBAL__N_127rocblas_gemm_batched_kernelIfLi16ELi16ELi32ELi32ELi8ELi32ELi8ELi8ELi32ELc67ELc67EKfS1_fEEvlllT_PT11_llS4_llS2_PT12_llPT13_lli.num_agpr, 0
	.set _ZN12_GLOBAL__N_127rocblas_gemm_batched_kernelIfLi16ELi16ELi32ELi32ELi8ELi32ELi8ELi8ELi32ELc67ELc67EKfS1_fEEvlllT_PT11_llS4_llS2_PT12_llPT13_lli.numbered_sgpr, 22
	.set _ZN12_GLOBAL__N_127rocblas_gemm_batched_kernelIfLi16ELi16ELi32ELi32ELi8ELi32ELi8ELi8ELi32ELc67ELc67EKfS1_fEEvlllT_PT11_llS4_llS2_PT12_llPT13_lli.num_named_barrier, 0
	.set _ZN12_GLOBAL__N_127rocblas_gemm_batched_kernelIfLi16ELi16ELi32ELi32ELi8ELi32ELi8ELi8ELi32ELc67ELc67EKfS1_fEEvlllT_PT11_llS4_llS2_PT12_llPT13_lli.private_seg_size, 0
	.set _ZN12_GLOBAL__N_127rocblas_gemm_batched_kernelIfLi16ELi16ELi32ELi32ELi8ELi32ELi8ELi8ELi32ELc67ELc67EKfS1_fEEvlllT_PT11_llS4_llS2_PT12_llPT13_lli.uses_vcc, 1
	.set _ZN12_GLOBAL__N_127rocblas_gemm_batched_kernelIfLi16ELi16ELi32ELi32ELi8ELi32ELi8ELi8ELi32ELc67ELc67EKfS1_fEEvlllT_PT11_llS4_llS2_PT12_llPT13_lli.uses_flat_scratch, 0
	.set _ZN12_GLOBAL__N_127rocblas_gemm_batched_kernelIfLi16ELi16ELi32ELi32ELi8ELi32ELi8ELi8ELi32ELc67ELc67EKfS1_fEEvlllT_PT11_llS4_llS2_PT12_llPT13_lli.has_dyn_sized_stack, 0
	.set _ZN12_GLOBAL__N_127rocblas_gemm_batched_kernelIfLi16ELi16ELi32ELi32ELi8ELi32ELi8ELi8ELi32ELc67ELc67EKfS1_fEEvlllT_PT11_llS4_llS2_PT12_llPT13_lli.has_recursion, 0
	.set _ZN12_GLOBAL__N_127rocblas_gemm_batched_kernelIfLi16ELi16ELi32ELi32ELi8ELi32ELi8ELi8ELi32ELc67ELc67EKfS1_fEEvlllT_PT11_llS4_llS2_PT12_llPT13_lli.has_indirect_call, 0
	.section	.AMDGPU.csdata,"",@progbits
; Kernel info:
; codeLenInByte = 1392
; TotalNumSgprs: 24
; NumVgprs: 46
; ScratchSize: 0
; MemoryBound: 0
; FloatMode: 240
; IeeeMode: 1
; LDSByteSize: 2048 bytes/workgroup (compile time only)
; SGPRBlocks: 0
; VGPRBlocks: 5
; NumSGPRsForWavesPerEU: 24
; NumVGPRsForWavesPerEU: 46
; Occupancy: 16
; WaveLimiterHint : 0
; COMPUTE_PGM_RSRC2:SCRATCH_EN: 0
; COMPUTE_PGM_RSRC2:USER_SGPR: 6
; COMPUTE_PGM_RSRC2:TRAP_HANDLER: 0
; COMPUTE_PGM_RSRC2:TGID_X_EN: 1
; COMPUTE_PGM_RSRC2:TGID_Y_EN: 1
; COMPUTE_PGM_RSRC2:TGID_Z_EN: 1
; COMPUTE_PGM_RSRC2:TIDIG_COMP_CNT: 1
	.section	.text._ZN12_GLOBAL__N_127rocblas_gemm_batched_kernelIfLi16ELi16ELi32ELi32ELi8ELi32ELi8ELi8ELi32ELc67ELc78EKfS1_fEEvlllT_PT11_llS4_llS2_PT12_llPT13_lli,"axG",@progbits,_ZN12_GLOBAL__N_127rocblas_gemm_batched_kernelIfLi16ELi16ELi32ELi32ELi8ELi32ELi8ELi8ELi32ELc67ELc78EKfS1_fEEvlllT_PT11_llS4_llS2_PT12_llPT13_lli,comdat
	.globl	_ZN12_GLOBAL__N_127rocblas_gemm_batched_kernelIfLi16ELi16ELi32ELi32ELi8ELi32ELi8ELi8ELi32ELc67ELc78EKfS1_fEEvlllT_PT11_llS4_llS2_PT12_llPT13_lli ; -- Begin function _ZN12_GLOBAL__N_127rocblas_gemm_batched_kernelIfLi16ELi16ELi32ELi32ELi8ELi32ELi8ELi8ELi32ELc67ELc78EKfS1_fEEvlllT_PT11_llS4_llS2_PT12_llPT13_lli
	.p2align	8
	.type	_ZN12_GLOBAL__N_127rocblas_gemm_batched_kernelIfLi16ELi16ELi32ELi32ELi8ELi32ELi8ELi8ELi32ELc67ELc78EKfS1_fEEvlllT_PT11_llS4_llS2_PT12_llPT13_lli,@function
_ZN12_GLOBAL__N_127rocblas_gemm_batched_kernelIfLi16ELi16ELi32ELi32ELi8ELi32ELi8ELi8ELi32ELc67ELc78EKfS1_fEEvlllT_PT11_llS4_llS2_PT12_llPT13_lli: ; @_ZN12_GLOBAL__N_127rocblas_gemm_batched_kernelIfLi16ELi16ELi32ELi32ELi8ELi32ELi8ELi8ELi32ELc67ELc78EKfS1_fEEvlllT_PT11_llS4_llS2_PT12_llPT13_lli
; %bb.0:
	s_load_dwordx2 s[20:21], s[4:5], 0x10
	s_mov_b32 s0, s7
	v_mov_b32_e32 v9, 0
	v_mov_b32_e32 v8, 0
	;; [unrolled: 1-line block ×4, first 2 shown]
	s_ashr_i32 s7, s6, 31
	s_ashr_i32 s1, s0, 31
	s_lshl_b64 s[6:7], s[6:7], 5
	s_lshl_b64 s[10:11], s[0:1], 5
	s_waitcnt lgkmcnt(0)
	v_cmp_lt_i64_e64 s2, s[20:21], 1
	s_and_b32 vcc_lo, exec_lo, s2
	s_cbranch_vccnz .LBB321_3
; %bb.1:
	s_load_dwordx4 s[0:3], s[4:5], 0x40
	v_lshl_add_u32 v2, v1, 4, v0
	s_load_dwordx8 s[12:19], s[4:5], 0x20
	v_and_b32_e32 v3, 7, v0
	v_mov_b32_e32 v6, 0
	v_lshrrev_b32_e32 v4, 3, v2
	v_and_b32_e32 v5, 31, v2
	v_lshrrev_b32_e32 v7, 5, v2
	v_lshlrev_b32_e32 v8, 2, v3
	v_add_co_u32 v2, s9, v4, s10
	v_add_co_ci_u32_e64 v3, null, 0, s11, s9
	v_lshlrev_b32_e32 v9, 2, v5
	v_add_co_u32 v5, s9, s6, v5
	v_lshl_or_b32 v4, v4, 5, v8
	v_add_co_ci_u32_e64 v12, null, s7, 0, s9
	s_waitcnt lgkmcnt(0)
	v_mul_lo_u32 v13, s1, v2
	v_mul_lo_u32 v14, s0, v3
	v_mad_u64_u32 v[2:3], null, s0, v2, 0
	v_lshl_or_b32 v10, v7, 7, v9
	v_add_nc_u32_e32 v11, 0x400, v4
	v_mul_lo_u32 v9, s15, v5
	v_mul_lo_u32 v15, s14, v12
	v_mad_u64_u32 v[4:5], null, s14, v5, 0
	v_add3_u32 v3, v3, v14, v13
	s_mul_i32 s0, s3, s8
	s_mul_hi_u32 s1, s2, s8
	s_mul_hi_u32 s3, s16, s8
	s_add_i32 s1, s1, s0
	v_lshlrev_b64 v[2:3], 2, v[2:3]
	v_add3_u32 v5, v5, v15, v9
	s_mul_i32 s0, s2, s8
	s_mul_i32 s2, s17, s8
	s_lshl_b64 s[0:1], s[0:1], 2
	s_add_i32 s3, s3, s2
	v_lshlrev_b64 v[4:5], 2, v[4:5]
	s_mul_i32 s2, s16, s8
	v_add_co_u32 v2, vcc_lo, v2, s0
	v_add_co_ci_u32_e64 v3, null, s1, v3, vcc_lo
	s_lshl_b64 s[0:1], s[2:3], 2
	v_lshlrev_b32_e32 v7, 2, v7
	v_add_co_u32 v4, vcc_lo, v4, s0
	v_add_co_ci_u32_e64 v5, null, s1, v5, vcc_lo
	v_add_co_u32 v2, vcc_lo, v2, v8
	v_add_co_ci_u32_e64 v3, null, 0, v3, vcc_lo
	;; [unrolled: 2-line block ×4, first 2 shown]
	v_add_co_u32 v4, vcc_lo, s12, v4
	v_lshlrev_b32_e32 v12, 2, v0
	v_lshl_add_u32 v13, v1, 5, 0x400
	v_add_co_ci_u32_e64 v5, null, s13, v5, vcc_lo
	v_mov_b32_e32 v7, 0
	v_mov_b32_e32 v8, 0
	;; [unrolled: 1-line block ×3, first 2 shown]
	s_mov_b64 s[0:1], 0
.LBB321_2:                              ; =>This Inner Loop Header: Depth=1
	global_load_dword v14, v[4:5], off
	global_load_dword v15, v[2:3], off
	s_add_u32 s0, s0, 8
	s_addc_u32 s1, s1, 0
	v_add_co_u32 v2, vcc_lo, v2, 32
	v_cmp_lt_i64_e64 s2, s[0:1], s[20:21]
	v_add_co_ci_u32_e64 v3, null, 0, v3, vcc_lo
	v_add_co_u32 v4, vcc_lo, v4, 32
	v_add_co_ci_u32_e64 v5, null, 0, v5, vcc_lo
	s_and_b32 vcc_lo, exec_lo, s2
	s_waitcnt vmcnt(1)
	ds_write_b32 v10, v14
	s_waitcnt vmcnt(0)
	ds_write_b32 v11, v15
	s_waitcnt lgkmcnt(0)
	s_barrier
	buffer_gl0_inv
	ds_read_b128 v[14:17], v13
	ds_read2_b32 v[30:31], v12 offset1:16
	ds_read_b128 v[18:21], v13 offset:512
	ds_read2_b32 v[32:33], v12 offset0:32 offset1:48
	ds_read2_b32 v[34:35], v12 offset0:64 offset1:80
	ds_read_b128 v[22:25], v13 offset:16
	ds_read2_b32 v[36:37], v12 offset0:96 offset1:112
	ds_read2_b32 v[38:39], v12 offset0:128 offset1:144
	ds_read_b128 v[26:29], v13 offset:528
	ds_read2_b32 v[40:41], v12 offset0:160 offset1:176
	ds_read2_b32 v[42:43], v12 offset0:192 offset1:208
	ds_read2_b32 v[44:45], v12 offset0:224 offset1:240
	s_waitcnt lgkmcnt(0)
	s_barrier
	buffer_gl0_inv
	v_fmac_f32_e32 v9, v30, v14
	v_fmac_f32_e32 v8, v31, v14
	;; [unrolled: 1-line block ×32, first 2 shown]
	s_cbranch_vccnz .LBB321_2
.LBB321_3:
	s_clause 0x3
	s_load_dwordx4 s[0:3], s[4:5], 0x78
	s_load_dword s9, s[4:5], 0x50
	s_load_dwordx8 s[12:19], s[4:5], 0x58
	s_load_dword s4, s[4:5], 0x18
	v_add_co_u32 v3, s5, s6, v0
	v_add_co_ci_u32_e64 v4, null, s7, 0, s5
	v_add_co_u32 v2, s5, s10, v1
	v_add_co_ci_u32_e64 v5, null, s11, 0, s5
	v_lshlrev_b64 v[0:1], 2, v[3:4]
	s_waitcnt lgkmcnt(0)
	s_mul_i32 s3, s3, s8
	s_mul_hi_u32 s5, s2, s8
	v_mul_lo_u32 v3, v5, s0
	v_mul_lo_u32 v4, v2, s1
	s_mul_i32 s2, s2, s8
	v_cmp_neq_f32_e64 s6, s9, 0
	s_add_i32 s3, s5, s3
	s_mov_b32 s5, 0
	s_lshl_b64 s[2:3], s[2:3], 2
	s_add_u32 s2, s18, s2
	s_addc_u32 s3, s19, s3
	s_and_b32 vcc_lo, exec_lo, s6
	s_cbranch_vccnz .LBB321_7
; %bb.4:
	v_mad_u64_u32 v[10:11], null, v2, s0, 0
	s_lshl_b64 s[6:7], s[0:1], 6
	v_mul_f32_e32 v14, s4, v9
	v_mul_f32_e32 v15, s4, v8
	;; [unrolled: 1-line block ×4, first 2 shown]
	v_add3_u32 v11, v11, v4, v3
	v_lshlrev_b64 v[10:11], 2, v[10:11]
	v_add_co_u32 v10, vcc_lo, s2, v10
	v_add_co_ci_u32_e64 v11, null, s3, v11, vcc_lo
	v_add_co_u32 v12, vcc_lo, v10, s6
	v_add_co_ci_u32_e64 v13, null, s7, v11, vcc_lo
	;; [unrolled: 2-line block ×4, first 2 shown]
	global_store_dword v[10:11], v14, off
	global_store_dword v[10:11], v15, off offset:64
	global_store_dword v[12:13], v16, off
	global_store_dword v[12:13], v17, off offset:64
	s_andn2_b32 vcc_lo, exec_lo, s5
	s_cbranch_vccnz .LBB321_6
.LBB321_5:
	v_mul_lo_u32 v5, v5, s14
	v_mul_lo_u32 v12, v2, s15
	v_mad_u64_u32 v[10:11], null, v2, s14, 0
	s_mul_i32 s5, s17, s8
	s_mul_hi_u32 s7, s16, s8
	s_mul_i32 s6, s16, s8
	s_add_i32 s7, s7, s5
	s_lshl_b64 s[6:7], s[6:7], 2
	v_add3_u32 v11, v11, v12, v5
	s_add_u32 s5, s12, s6
	s_addc_u32 s6, s13, s7
	v_mad_u64_u32 v[12:13], null, v2, s0, 0
	v_lshlrev_b64 v[10:11], 2, v[10:11]
	s_lshl_b64 s[0:1], s[0:1], 6
	v_add3_u32 v13, v13, v4, v3
	v_add_co_u32 v5, vcc_lo, s5, v10
	v_add_co_ci_u32_e64 v14, null, s6, v11, vcc_lo
	v_lshlrev_b64 v[2:3], 2, v[12:13]
	v_add_co_u32 v10, vcc_lo, v5, v0
	v_add_co_ci_u32_e64 v11, null, v14, v1, vcc_lo
	v_add_co_u32 v12, vcc_lo, s2, v2
	global_load_dword v15, v[10:11], off
	v_add_co_ci_u32_e64 v13, null, s3, v3, vcc_lo
	v_add_co_u32 v2, vcc_lo, v12, v0
	s_lshl_b64 s[2:3], s[14:15], 6
	v_add_co_ci_u32_e64 v3, null, v13, v1, vcc_lo
	s_waitcnt vmcnt(0)
	v_mul_f32_e32 v4, s9, v15
	v_fmac_f32_e32 v4, s4, v9
	global_store_dword v[2:3], v4, off
	global_load_dword v4, v[10:11], off offset:64
	s_waitcnt vmcnt(0)
	v_mul_f32_e32 v9, s9, v4
	v_add_co_u32 v4, vcc_lo, v5, s2
	v_add_co_ci_u32_e64 v5, null, s3, v14, vcc_lo
	v_fmac_f32_e32 v9, s4, v8
	v_add_co_u32 v4, vcc_lo, v4, v0
	v_add_co_ci_u32_e64 v5, null, v5, v1, vcc_lo
	global_store_dword v[2:3], v9, off offset:64
	v_add_co_u32 v3, vcc_lo, v12, s0
	global_load_dword v2, v[4:5], off
	v_add_co_ci_u32_e64 v8, null, s1, v13, vcc_lo
	v_add_co_u32 v0, vcc_lo, v3, v0
	v_add_co_ci_u32_e64 v1, null, v8, v1, vcc_lo
	s_waitcnt vmcnt(0)
	v_mul_f32_e32 v2, s9, v2
	v_fmac_f32_e32 v2, s4, v7
	global_store_dword v[0:1], v2, off
	global_load_dword v2, v[4:5], off offset:64
	s_waitcnt vmcnt(0)
	v_mul_f32_e32 v2, s9, v2
	v_fmac_f32_e32 v2, s4, v6
	global_store_dword v[0:1], v2, off offset:64
.LBB321_6:
	s_endpgm
.LBB321_7:
	s_branch .LBB321_5
	.section	.rodata,"a",@progbits
	.p2align	6, 0x0
	.amdhsa_kernel _ZN12_GLOBAL__N_127rocblas_gemm_batched_kernelIfLi16ELi16ELi32ELi32ELi8ELi32ELi8ELi8ELi32ELc67ELc78EKfS1_fEEvlllT_PT11_llS4_llS2_PT12_llPT13_lli
		.amdhsa_group_segment_fixed_size 2048
		.amdhsa_private_segment_fixed_size 0
		.amdhsa_kernarg_size 140
		.amdhsa_user_sgpr_count 6
		.amdhsa_user_sgpr_private_segment_buffer 1
		.amdhsa_user_sgpr_dispatch_ptr 0
		.amdhsa_user_sgpr_queue_ptr 0
		.amdhsa_user_sgpr_kernarg_segment_ptr 1
		.amdhsa_user_sgpr_dispatch_id 0
		.amdhsa_user_sgpr_flat_scratch_init 0
		.amdhsa_user_sgpr_private_segment_size 0
		.amdhsa_wavefront_size32 1
		.amdhsa_uses_dynamic_stack 0
		.amdhsa_system_sgpr_private_segment_wavefront_offset 0
		.amdhsa_system_sgpr_workgroup_id_x 1
		.amdhsa_system_sgpr_workgroup_id_y 1
		.amdhsa_system_sgpr_workgroup_id_z 1
		.amdhsa_system_sgpr_workgroup_info 0
		.amdhsa_system_vgpr_workitem_id 1
		.amdhsa_next_free_vgpr 46
		.amdhsa_next_free_sgpr 22
		.amdhsa_reserve_vcc 1
		.amdhsa_reserve_flat_scratch 0
		.amdhsa_float_round_mode_32 0
		.amdhsa_float_round_mode_16_64 0
		.amdhsa_float_denorm_mode_32 3
		.amdhsa_float_denorm_mode_16_64 3
		.amdhsa_dx10_clamp 1
		.amdhsa_ieee_mode 1
		.amdhsa_fp16_overflow 0
		.amdhsa_workgroup_processor_mode 1
		.amdhsa_memory_ordered 1
		.amdhsa_forward_progress 1
		.amdhsa_shared_vgpr_count 0
		.amdhsa_exception_fp_ieee_invalid_op 0
		.amdhsa_exception_fp_denorm_src 0
		.amdhsa_exception_fp_ieee_div_zero 0
		.amdhsa_exception_fp_ieee_overflow 0
		.amdhsa_exception_fp_ieee_underflow 0
		.amdhsa_exception_fp_ieee_inexact 0
		.amdhsa_exception_int_div_zero 0
	.end_amdhsa_kernel
	.section	.text._ZN12_GLOBAL__N_127rocblas_gemm_batched_kernelIfLi16ELi16ELi32ELi32ELi8ELi32ELi8ELi8ELi32ELc67ELc78EKfS1_fEEvlllT_PT11_llS4_llS2_PT12_llPT13_lli,"axG",@progbits,_ZN12_GLOBAL__N_127rocblas_gemm_batched_kernelIfLi16ELi16ELi32ELi32ELi8ELi32ELi8ELi8ELi32ELc67ELc78EKfS1_fEEvlllT_PT11_llS4_llS2_PT12_llPT13_lli,comdat
.Lfunc_end321:
	.size	_ZN12_GLOBAL__N_127rocblas_gemm_batched_kernelIfLi16ELi16ELi32ELi32ELi8ELi32ELi8ELi8ELi32ELc67ELc78EKfS1_fEEvlllT_PT11_llS4_llS2_PT12_llPT13_lli, .Lfunc_end321-_ZN12_GLOBAL__N_127rocblas_gemm_batched_kernelIfLi16ELi16ELi32ELi32ELi8ELi32ELi8ELi8ELi32ELc67ELc78EKfS1_fEEvlllT_PT11_llS4_llS2_PT12_llPT13_lli
                                        ; -- End function
	.set _ZN12_GLOBAL__N_127rocblas_gemm_batched_kernelIfLi16ELi16ELi32ELi32ELi8ELi32ELi8ELi8ELi32ELc67ELc78EKfS1_fEEvlllT_PT11_llS4_llS2_PT12_llPT13_lli.num_vgpr, 46
	.set _ZN12_GLOBAL__N_127rocblas_gemm_batched_kernelIfLi16ELi16ELi32ELi32ELi8ELi32ELi8ELi8ELi32ELc67ELc78EKfS1_fEEvlllT_PT11_llS4_llS2_PT12_llPT13_lli.num_agpr, 0
	.set _ZN12_GLOBAL__N_127rocblas_gemm_batched_kernelIfLi16ELi16ELi32ELi32ELi8ELi32ELi8ELi8ELi32ELc67ELc78EKfS1_fEEvlllT_PT11_llS4_llS2_PT12_llPT13_lli.numbered_sgpr, 22
	.set _ZN12_GLOBAL__N_127rocblas_gemm_batched_kernelIfLi16ELi16ELi32ELi32ELi8ELi32ELi8ELi8ELi32ELc67ELc78EKfS1_fEEvlllT_PT11_llS4_llS2_PT12_llPT13_lli.num_named_barrier, 0
	.set _ZN12_GLOBAL__N_127rocblas_gemm_batched_kernelIfLi16ELi16ELi32ELi32ELi8ELi32ELi8ELi8ELi32ELc67ELc78EKfS1_fEEvlllT_PT11_llS4_llS2_PT12_llPT13_lli.private_seg_size, 0
	.set _ZN12_GLOBAL__N_127rocblas_gemm_batched_kernelIfLi16ELi16ELi32ELi32ELi8ELi32ELi8ELi8ELi32ELc67ELc78EKfS1_fEEvlllT_PT11_llS4_llS2_PT12_llPT13_lli.uses_vcc, 1
	.set _ZN12_GLOBAL__N_127rocblas_gemm_batched_kernelIfLi16ELi16ELi32ELi32ELi8ELi32ELi8ELi8ELi32ELc67ELc78EKfS1_fEEvlllT_PT11_llS4_llS2_PT12_llPT13_lli.uses_flat_scratch, 0
	.set _ZN12_GLOBAL__N_127rocblas_gemm_batched_kernelIfLi16ELi16ELi32ELi32ELi8ELi32ELi8ELi8ELi32ELc67ELc78EKfS1_fEEvlllT_PT11_llS4_llS2_PT12_llPT13_lli.has_dyn_sized_stack, 0
	.set _ZN12_GLOBAL__N_127rocblas_gemm_batched_kernelIfLi16ELi16ELi32ELi32ELi8ELi32ELi8ELi8ELi32ELc67ELc78EKfS1_fEEvlllT_PT11_llS4_llS2_PT12_llPT13_lli.has_recursion, 0
	.set _ZN12_GLOBAL__N_127rocblas_gemm_batched_kernelIfLi16ELi16ELi32ELi32ELi8ELi32ELi8ELi8ELi32ELc67ELc78EKfS1_fEEvlllT_PT11_llS4_llS2_PT12_llPT13_lli.has_indirect_call, 0
	.section	.AMDGPU.csdata,"",@progbits
; Kernel info:
; codeLenInByte = 1420
; TotalNumSgprs: 24
; NumVgprs: 46
; ScratchSize: 0
; MemoryBound: 0
; FloatMode: 240
; IeeeMode: 1
; LDSByteSize: 2048 bytes/workgroup (compile time only)
; SGPRBlocks: 0
; VGPRBlocks: 5
; NumSGPRsForWavesPerEU: 24
; NumVGPRsForWavesPerEU: 46
; Occupancy: 16
; WaveLimiterHint : 0
; COMPUTE_PGM_RSRC2:SCRATCH_EN: 0
; COMPUTE_PGM_RSRC2:USER_SGPR: 6
; COMPUTE_PGM_RSRC2:TRAP_HANDLER: 0
; COMPUTE_PGM_RSRC2:TGID_X_EN: 1
; COMPUTE_PGM_RSRC2:TGID_Y_EN: 1
; COMPUTE_PGM_RSRC2:TGID_Z_EN: 1
; COMPUTE_PGM_RSRC2:TIDIG_COMP_CNT: 1
	.section	.text._ZN12_GLOBAL__N_127rocblas_gemm_batched_kernelIfLi16ELi16ELi32ELi32ELi8ELi32ELi8ELi8ELi32ELc67ELc84EKfS1_fEEvlllT_PT11_llS4_llS2_PT12_llPT13_lli,"axG",@progbits,_ZN12_GLOBAL__N_127rocblas_gemm_batched_kernelIfLi16ELi16ELi32ELi32ELi8ELi32ELi8ELi8ELi32ELc67ELc84EKfS1_fEEvlllT_PT11_llS4_llS2_PT12_llPT13_lli,comdat
	.globl	_ZN12_GLOBAL__N_127rocblas_gemm_batched_kernelIfLi16ELi16ELi32ELi32ELi8ELi32ELi8ELi8ELi32ELc67ELc84EKfS1_fEEvlllT_PT11_llS4_llS2_PT12_llPT13_lli ; -- Begin function _ZN12_GLOBAL__N_127rocblas_gemm_batched_kernelIfLi16ELi16ELi32ELi32ELi8ELi32ELi8ELi8ELi32ELc67ELc84EKfS1_fEEvlllT_PT11_llS4_llS2_PT12_llPT13_lli
	.p2align	8
	.type	_ZN12_GLOBAL__N_127rocblas_gemm_batched_kernelIfLi16ELi16ELi32ELi32ELi8ELi32ELi8ELi8ELi32ELc67ELc84EKfS1_fEEvlllT_PT11_llS4_llS2_PT12_llPT13_lli,@function
_ZN12_GLOBAL__N_127rocblas_gemm_batched_kernelIfLi16ELi16ELi32ELi32ELi8ELi32ELi8ELi8ELi32ELc67ELc84EKfS1_fEEvlllT_PT11_llS4_llS2_PT12_llPT13_lli: ; @_ZN12_GLOBAL__N_127rocblas_gemm_batched_kernelIfLi16ELi16ELi32ELi32ELi8ELi32ELi8ELi8ELi32ELc67ELc84EKfS1_fEEvlllT_PT11_llS4_llS2_PT12_llPT13_lli
; %bb.0:
	s_load_dwordx2 s[20:21], s[4:5], 0x10
	s_mov_b32 s0, s7
	v_mov_b32_e32 v9, 0
	v_mov_b32_e32 v8, 0
	;; [unrolled: 1-line block ×4, first 2 shown]
	s_ashr_i32 s7, s6, 31
	s_ashr_i32 s1, s0, 31
	s_lshl_b64 s[6:7], s[6:7], 5
	s_lshl_b64 s[10:11], s[0:1], 5
	s_waitcnt lgkmcnt(0)
	v_cmp_lt_i64_e64 s2, s[20:21], 1
	s_and_b32 vcc_lo, exec_lo, s2
	s_cbranch_vccnz .LBB322_3
; %bb.1:
	s_clause 0x1
	s_load_dwordx8 s[12:19], s[4:5], 0x20
	s_load_dwordx4 s[0:3], s[4:5], 0x40
	v_lshl_add_u32 v4, v1, 4, v0
	v_and_b32_e32 v8, 7, v0
	v_mov_b32_e32 v3, 0
	v_lshlrev_b32_e32 v10, 2, v0
	v_lshl_add_u32 v11, v1, 5, 0x400
	v_and_b32_e32 v5, 31, v4
	v_lshrrev_b32_e32 v2, 3, v4
	v_lshlrev_b32_e32 v6, 2, v8
	v_lshrrev_b32_e32 v14, 5, v4
	v_lshlrev_b32_e32 v4, 2, v5
	v_lshl_or_b32 v9, v2, 5, v6
	v_add_co_u32 v6, s9, s6, v5
	v_add_co_ci_u32_e64 v7, null, s7, 0, s9
	v_lshl_or_b32 v12, v14, 7, v4
	s_waitcnt lgkmcnt(0)
	v_mul_lo_u32 v15, s15, v6
	v_mad_u64_u32 v[4:5], null, s0, v8, v[2:3]
	v_mul_lo_u32 v16, s14, v7
	v_mad_u64_u32 v[6:7], null, s14, v6, 0
	s_mul_i32 s3, s3, s8
	s_mul_hi_u32 s9, s2, s8
	s_mul_i32 s2, s2, s8
	v_mov_b32_e32 v2, v5
	s_add_i32 s3, s9, s3
	v_add_nc_u32_e32 v13, 0x400, v9
	v_add3_u32 v7, v7, v16, v15
	s_lshl_b64 s[2:3], s[2:3], 2
	v_mad_u64_u32 v[8:9], null, s1, v8, v[2:3]
	s_add_u32 s9, s18, s2
	s_addc_u32 s14, s19, s3
	s_mul_i32 s2, s17, s8
	s_mul_hi_u32 s3, s16, s8
	v_lshlrev_b64 v[5:6], 2, v[6:7]
	v_add_co_u32 v7, vcc_lo, v4, s10
	s_add_i32 s3, s3, s2
	s_mul_i32 s2, s16, s8
	v_add_co_ci_u32_e64 v8, null, s11, v8, vcc_lo
	s_lshl_b64 s[2:3], s[2:3], 2
	v_lshlrev_b32_e32 v2, 2, v14
	v_add_co_u32 v9, vcc_lo, v5, s2
	v_add_co_ci_u32_e64 v6, null, s3, v6, vcc_lo
	v_lshlrev_b64 v[4:5], 2, v[7:8]
	v_add_co_u32 v2, vcc_lo, v9, v2
	v_add_co_ci_u32_e64 v7, null, 0, v6, vcc_lo
	v_mov_b32_e32 v8, v3
	v_add_co_u32 v4, vcc_lo, s9, v4
	v_add_co_ci_u32_e64 v5, null, s14, v5, vcc_lo
	v_add_co_u32 v6, vcc_lo, s12, v2
	v_add_co_ci_u32_e64 v7, null, s13, v7, vcc_lo
	v_mov_b32_e32 v2, v3
	v_mov_b32_e32 v9, v3
	s_lshl_b64 s[0:1], s[0:1], 5
	s_mov_b64 s[2:3], 0
.LBB322_2:                              ; =>This Inner Loop Header: Depth=1
	global_load_dword v14, v[6:7], off
	global_load_dword v15, v[4:5], off
	s_add_u32 s2, s2, 8
	s_addc_u32 s3, s3, 0
	v_add_co_u32 v4, vcc_lo, v4, s0
	v_cmp_lt_i64_e64 s9, s[2:3], s[20:21]
	v_add_co_ci_u32_e64 v5, null, s1, v5, vcc_lo
	v_add_co_u32 v6, vcc_lo, v6, 32
	v_add_co_ci_u32_e64 v7, null, 0, v7, vcc_lo
	s_and_b32 vcc_lo, exec_lo, s9
	s_waitcnt vmcnt(1)
	ds_write_b32 v12, v14
	s_waitcnt vmcnt(0)
	ds_write_b32 v13, v15
	s_waitcnt lgkmcnt(0)
	s_barrier
	buffer_gl0_inv
	ds_read_b128 v[14:17], v11
	ds_read2_b32 v[30:31], v10 offset1:16
	ds_read_b128 v[18:21], v11 offset:512
	ds_read2_b32 v[32:33], v10 offset0:32 offset1:48
	ds_read2_b32 v[34:35], v10 offset0:64 offset1:80
	ds_read_b128 v[22:25], v11 offset:16
	ds_read2_b32 v[36:37], v10 offset0:96 offset1:112
	ds_read2_b32 v[38:39], v10 offset0:128 offset1:144
	;; [unrolled: 3-line block ×3, first 2 shown]
	ds_read2_b32 v[44:45], v10 offset0:224 offset1:240
	s_waitcnt lgkmcnt(0)
	s_barrier
	buffer_gl0_inv
	v_fmac_f32_e32 v9, v30, v14
	v_fmac_f32_e32 v8, v31, v14
	;; [unrolled: 1-line block ×32, first 2 shown]
	s_cbranch_vccnz .LBB322_2
.LBB322_3:
	s_clause 0x3
	s_load_dwordx4 s[0:3], s[4:5], 0x78
	s_load_dword s9, s[4:5], 0x50
	s_load_dwordx8 s[12:19], s[4:5], 0x58
	s_load_dword s4, s[4:5], 0x18
	v_add_co_u32 v5, s5, s6, v0
	v_add_co_ci_u32_e64 v6, null, s7, 0, s5
	v_add_co_u32 v4, s5, s10, v1
	v_add_co_ci_u32_e64 v7, null, s11, 0, s5
	v_lshlrev_b64 v[0:1], 2, v[5:6]
	s_waitcnt lgkmcnt(0)
	s_mul_i32 s3, s3, s8
	s_mul_hi_u32 s5, s2, s8
	v_mul_lo_u32 v5, v7, s0
	v_mul_lo_u32 v6, v4, s1
	s_mul_i32 s2, s2, s8
	v_cmp_neq_f32_e64 s6, s9, 0
	s_add_i32 s3, s5, s3
	s_mov_b32 s5, 0
	s_lshl_b64 s[2:3], s[2:3], 2
	s_add_u32 s2, s18, s2
	s_addc_u32 s3, s19, s3
	s_and_b32 vcc_lo, exec_lo, s6
	s_cbranch_vccnz .LBB322_7
; %bb.4:
	v_mad_u64_u32 v[10:11], null, v4, s0, 0
	s_lshl_b64 s[6:7], s[0:1], 6
	v_mul_f32_e32 v14, s4, v9
	v_mul_f32_e32 v15, s4, v8
	;; [unrolled: 1-line block ×4, first 2 shown]
	v_add3_u32 v11, v11, v6, v5
	v_lshlrev_b64 v[10:11], 2, v[10:11]
	v_add_co_u32 v10, vcc_lo, s2, v10
	v_add_co_ci_u32_e64 v11, null, s3, v11, vcc_lo
	v_add_co_u32 v12, vcc_lo, v10, s6
	v_add_co_ci_u32_e64 v13, null, s7, v11, vcc_lo
	;; [unrolled: 2-line block ×4, first 2 shown]
	global_store_dword v[10:11], v14, off
	global_store_dword v[10:11], v15, off offset:64
	global_store_dword v[12:13], v16, off
	global_store_dword v[12:13], v17, off offset:64
	s_andn2_b32 vcc_lo, exec_lo, s5
	s_cbranch_vccnz .LBB322_6
.LBB322_5:
	v_mul_lo_u32 v7, v7, s14
	v_mul_lo_u32 v12, v4, s15
	v_mad_u64_u32 v[10:11], null, v4, s14, 0
	s_mul_i32 s5, s17, s8
	s_mul_hi_u32 s7, s16, s8
	s_mul_i32 s6, s16, s8
	s_add_i32 s7, s7, s5
	s_lshl_b64 s[6:7], s[6:7], 2
	v_add3_u32 v11, v11, v12, v7
	s_add_u32 s5, s12, s6
	s_addc_u32 s6, s13, s7
	v_mad_u64_u32 v[12:13], null, v4, s0, 0
	v_lshlrev_b64 v[10:11], 2, v[10:11]
	s_lshl_b64 s[0:1], s[0:1], 6
	v_add3_u32 v13, v13, v6, v5
	v_add_co_u32 v7, vcc_lo, s5, v10
	v_add_co_ci_u32_e64 v14, null, s6, v11, vcc_lo
	v_lshlrev_b64 v[4:5], 2, v[12:13]
	v_add_co_u32 v10, vcc_lo, v7, v0
	v_add_co_ci_u32_e64 v11, null, v14, v1, vcc_lo
	v_add_co_u32 v12, vcc_lo, s2, v4
	global_load_dword v15, v[10:11], off
	v_add_co_ci_u32_e64 v13, null, s3, v5, vcc_lo
	v_add_co_u32 v4, vcc_lo, v12, v0
	s_lshl_b64 s[2:3], s[14:15], 6
	v_add_co_ci_u32_e64 v5, null, v13, v1, vcc_lo
	s_waitcnt vmcnt(0)
	v_mul_f32_e32 v6, s9, v15
	v_fmac_f32_e32 v6, s4, v9
	global_store_dword v[4:5], v6, off
	global_load_dword v6, v[10:11], off offset:64
	s_waitcnt vmcnt(0)
	v_mul_f32_e32 v9, s9, v6
	v_add_co_u32 v6, vcc_lo, v7, s2
	v_add_co_ci_u32_e64 v7, null, s3, v14, vcc_lo
	v_fmac_f32_e32 v9, s4, v8
	v_add_co_u32 v6, vcc_lo, v6, v0
	v_add_co_ci_u32_e64 v7, null, v7, v1, vcc_lo
	global_store_dword v[4:5], v9, off offset:64
	v_add_co_u32 v5, vcc_lo, v12, s0
	global_load_dword v4, v[6:7], off
	v_add_co_ci_u32_e64 v8, null, s1, v13, vcc_lo
	v_add_co_u32 v0, vcc_lo, v5, v0
	v_add_co_ci_u32_e64 v1, null, v8, v1, vcc_lo
	s_waitcnt vmcnt(0)
	v_mul_f32_e32 v4, s9, v4
	v_fmac_f32_e32 v4, s4, v2
	global_store_dword v[0:1], v4, off
	global_load_dword v2, v[6:7], off offset:64
	s_waitcnt vmcnt(0)
	v_mul_f32_e32 v2, s9, v2
	v_fmac_f32_e32 v2, s4, v3
	global_store_dword v[0:1], v2, off offset:64
.LBB322_6:
	s_endpgm
.LBB322_7:
	s_branch .LBB322_5
	.section	.rodata,"a",@progbits
	.p2align	6, 0x0
	.amdhsa_kernel _ZN12_GLOBAL__N_127rocblas_gemm_batched_kernelIfLi16ELi16ELi32ELi32ELi8ELi32ELi8ELi8ELi32ELc67ELc84EKfS1_fEEvlllT_PT11_llS4_llS2_PT12_llPT13_lli
		.amdhsa_group_segment_fixed_size 2048
		.amdhsa_private_segment_fixed_size 0
		.amdhsa_kernarg_size 140
		.amdhsa_user_sgpr_count 6
		.amdhsa_user_sgpr_private_segment_buffer 1
		.amdhsa_user_sgpr_dispatch_ptr 0
		.amdhsa_user_sgpr_queue_ptr 0
		.amdhsa_user_sgpr_kernarg_segment_ptr 1
		.amdhsa_user_sgpr_dispatch_id 0
		.amdhsa_user_sgpr_flat_scratch_init 0
		.amdhsa_user_sgpr_private_segment_size 0
		.amdhsa_wavefront_size32 1
		.amdhsa_uses_dynamic_stack 0
		.amdhsa_system_sgpr_private_segment_wavefront_offset 0
		.amdhsa_system_sgpr_workgroup_id_x 1
		.amdhsa_system_sgpr_workgroup_id_y 1
		.amdhsa_system_sgpr_workgroup_id_z 1
		.amdhsa_system_sgpr_workgroup_info 0
		.amdhsa_system_vgpr_workitem_id 1
		.amdhsa_next_free_vgpr 46
		.amdhsa_next_free_sgpr 22
		.amdhsa_reserve_vcc 1
		.amdhsa_reserve_flat_scratch 0
		.amdhsa_float_round_mode_32 0
		.amdhsa_float_round_mode_16_64 0
		.amdhsa_float_denorm_mode_32 3
		.amdhsa_float_denorm_mode_16_64 3
		.amdhsa_dx10_clamp 1
		.amdhsa_ieee_mode 1
		.amdhsa_fp16_overflow 0
		.amdhsa_workgroup_processor_mode 1
		.amdhsa_memory_ordered 1
		.amdhsa_forward_progress 1
		.amdhsa_shared_vgpr_count 0
		.amdhsa_exception_fp_ieee_invalid_op 0
		.amdhsa_exception_fp_denorm_src 0
		.amdhsa_exception_fp_ieee_div_zero 0
		.amdhsa_exception_fp_ieee_overflow 0
		.amdhsa_exception_fp_ieee_underflow 0
		.amdhsa_exception_fp_ieee_inexact 0
		.amdhsa_exception_int_div_zero 0
	.end_amdhsa_kernel
	.section	.text._ZN12_GLOBAL__N_127rocblas_gemm_batched_kernelIfLi16ELi16ELi32ELi32ELi8ELi32ELi8ELi8ELi32ELc67ELc84EKfS1_fEEvlllT_PT11_llS4_llS2_PT12_llPT13_lli,"axG",@progbits,_ZN12_GLOBAL__N_127rocblas_gemm_batched_kernelIfLi16ELi16ELi32ELi32ELi8ELi32ELi8ELi8ELi32ELc67ELc84EKfS1_fEEvlllT_PT11_llS4_llS2_PT12_llPT13_lli,comdat
.Lfunc_end322:
	.size	_ZN12_GLOBAL__N_127rocblas_gemm_batched_kernelIfLi16ELi16ELi32ELi32ELi8ELi32ELi8ELi8ELi32ELc67ELc84EKfS1_fEEvlllT_PT11_llS4_llS2_PT12_llPT13_lli, .Lfunc_end322-_ZN12_GLOBAL__N_127rocblas_gemm_batched_kernelIfLi16ELi16ELi32ELi32ELi8ELi32ELi8ELi8ELi32ELc67ELc84EKfS1_fEEvlllT_PT11_llS4_llS2_PT12_llPT13_lli
                                        ; -- End function
	.set _ZN12_GLOBAL__N_127rocblas_gemm_batched_kernelIfLi16ELi16ELi32ELi32ELi8ELi32ELi8ELi8ELi32ELc67ELc84EKfS1_fEEvlllT_PT11_llS4_llS2_PT12_llPT13_lli.num_vgpr, 46
	.set _ZN12_GLOBAL__N_127rocblas_gemm_batched_kernelIfLi16ELi16ELi32ELi32ELi8ELi32ELi8ELi8ELi32ELc67ELc84EKfS1_fEEvlllT_PT11_llS4_llS2_PT12_llPT13_lli.num_agpr, 0
	.set _ZN12_GLOBAL__N_127rocblas_gemm_batched_kernelIfLi16ELi16ELi32ELi32ELi8ELi32ELi8ELi8ELi32ELc67ELc84EKfS1_fEEvlllT_PT11_llS4_llS2_PT12_llPT13_lli.numbered_sgpr, 22
	.set _ZN12_GLOBAL__N_127rocblas_gemm_batched_kernelIfLi16ELi16ELi32ELi32ELi8ELi32ELi8ELi8ELi32ELc67ELc84EKfS1_fEEvlllT_PT11_llS4_llS2_PT12_llPT13_lli.num_named_barrier, 0
	.set _ZN12_GLOBAL__N_127rocblas_gemm_batched_kernelIfLi16ELi16ELi32ELi32ELi8ELi32ELi8ELi8ELi32ELc67ELc84EKfS1_fEEvlllT_PT11_llS4_llS2_PT12_llPT13_lli.private_seg_size, 0
	.set _ZN12_GLOBAL__N_127rocblas_gemm_batched_kernelIfLi16ELi16ELi32ELi32ELi8ELi32ELi8ELi8ELi32ELc67ELc84EKfS1_fEEvlllT_PT11_llS4_llS2_PT12_llPT13_lli.uses_vcc, 1
	.set _ZN12_GLOBAL__N_127rocblas_gemm_batched_kernelIfLi16ELi16ELi32ELi32ELi8ELi32ELi8ELi8ELi32ELc67ELc84EKfS1_fEEvlllT_PT11_llS4_llS2_PT12_llPT13_lli.uses_flat_scratch, 0
	.set _ZN12_GLOBAL__N_127rocblas_gemm_batched_kernelIfLi16ELi16ELi32ELi32ELi8ELi32ELi8ELi8ELi32ELc67ELc84EKfS1_fEEvlllT_PT11_llS4_llS2_PT12_llPT13_lli.has_dyn_sized_stack, 0
	.set _ZN12_GLOBAL__N_127rocblas_gemm_batched_kernelIfLi16ELi16ELi32ELi32ELi8ELi32ELi8ELi8ELi32ELc67ELc84EKfS1_fEEvlllT_PT11_llS4_llS2_PT12_llPT13_lli.has_recursion, 0
	.set _ZN12_GLOBAL__N_127rocblas_gemm_batched_kernelIfLi16ELi16ELi32ELi32ELi8ELi32ELi8ELi8ELi32ELc67ELc84EKfS1_fEEvlllT_PT11_llS4_llS2_PT12_llPT13_lli.has_indirect_call, 0
	.section	.AMDGPU.csdata,"",@progbits
; Kernel info:
; codeLenInByte = 1392
; TotalNumSgprs: 24
; NumVgprs: 46
; ScratchSize: 0
; MemoryBound: 0
; FloatMode: 240
; IeeeMode: 1
; LDSByteSize: 2048 bytes/workgroup (compile time only)
; SGPRBlocks: 0
; VGPRBlocks: 5
; NumSGPRsForWavesPerEU: 24
; NumVGPRsForWavesPerEU: 46
; Occupancy: 16
; WaveLimiterHint : 0
; COMPUTE_PGM_RSRC2:SCRATCH_EN: 0
; COMPUTE_PGM_RSRC2:USER_SGPR: 6
; COMPUTE_PGM_RSRC2:TRAP_HANDLER: 0
; COMPUTE_PGM_RSRC2:TGID_X_EN: 1
; COMPUTE_PGM_RSRC2:TGID_Y_EN: 1
; COMPUTE_PGM_RSRC2:TGID_Z_EN: 1
; COMPUTE_PGM_RSRC2:TIDIG_COMP_CNT: 1
	.section	.text._ZN12_GLOBAL__N_127rocblas_gemm_batched_kernelIfLi16ELi16ELi32ELi32ELi8ELi32ELi8ELi8ELi32ELc78ELc67EKfS1_fEEvlllT_PT11_llS4_llS2_PT12_llPT13_lli,"axG",@progbits,_ZN12_GLOBAL__N_127rocblas_gemm_batched_kernelIfLi16ELi16ELi32ELi32ELi8ELi32ELi8ELi8ELi32ELc78ELc67EKfS1_fEEvlllT_PT11_llS4_llS2_PT12_llPT13_lli,comdat
	.globl	_ZN12_GLOBAL__N_127rocblas_gemm_batched_kernelIfLi16ELi16ELi32ELi32ELi8ELi32ELi8ELi8ELi32ELc78ELc67EKfS1_fEEvlllT_PT11_llS4_llS2_PT12_llPT13_lli ; -- Begin function _ZN12_GLOBAL__N_127rocblas_gemm_batched_kernelIfLi16ELi16ELi32ELi32ELi8ELi32ELi8ELi8ELi32ELc78ELc67EKfS1_fEEvlllT_PT11_llS4_llS2_PT12_llPT13_lli
	.p2align	8
	.type	_ZN12_GLOBAL__N_127rocblas_gemm_batched_kernelIfLi16ELi16ELi32ELi32ELi8ELi32ELi8ELi8ELi32ELc78ELc67EKfS1_fEEvlllT_PT11_llS4_llS2_PT12_llPT13_lli,@function
_ZN12_GLOBAL__N_127rocblas_gemm_batched_kernelIfLi16ELi16ELi32ELi32ELi8ELi32ELi8ELi8ELi32ELc78ELc67EKfS1_fEEvlllT_PT11_llS4_llS2_PT12_llPT13_lli: ; @_ZN12_GLOBAL__N_127rocblas_gemm_batched_kernelIfLi16ELi16ELi32ELi32ELi8ELi32ELi8ELi8ELi32ELc78ELc67EKfS1_fEEvlllT_PT11_llS4_llS2_PT12_llPT13_lli
; %bb.0:
	s_load_dwordx2 s[20:21], s[4:5], 0x10
	s_mov_b32 s0, s7
	v_mov_b32_e32 v9, 0
	v_mov_b32_e32 v8, 0
	;; [unrolled: 1-line block ×4, first 2 shown]
	s_ashr_i32 s7, s6, 31
	s_ashr_i32 s1, s0, 31
	s_lshl_b64 s[6:7], s[6:7], 5
	s_lshl_b64 s[10:11], s[0:1], 5
	s_waitcnt lgkmcnt(0)
	v_cmp_lt_i64_e64 s2, s[20:21], 1
	s_and_b32 vcc_lo, exec_lo, s2
	s_cbranch_vccnz .LBB323_3
; %bb.1:
	s_clause 0x1
	s_load_dwordx4 s[0:3], s[4:5], 0x40
	s_load_dwordx8 s[12:19], s[4:5], 0x20
	v_lshl_add_u32 v3, v1, 4, v0
	v_and_b32_e32 v8, 7, v0
	v_lshlrev_b32_e32 v10, 2, v0
	v_lshl_add_u32 v11, v1, 5, 0x400
	v_lshrrev_b32_e32 v2, 3, v3
	v_and_b32_e32 v14, 31, v3
	v_lshlrev_b32_e32 v4, 2, v8
	v_lshrrev_b32_e32 v9, 5, v3
	v_mov_b32_e32 v3, 0
	v_lshlrev_b32_e32 v5, 2, v14
	v_lshl_or_b32 v4, v2, 5, v4
	v_lshl_or_b32 v12, v9, 7, v5
	v_add_nc_u32_e32 v13, 0x400, v4
	s_waitcnt lgkmcnt(0)
	v_mad_u64_u32 v[4:5], null, s0, v8, v[2:3]
	v_mad_u64_u32 v[6:7], null, s14, v9, s[6:7]
	s_mul_i32 s3, s3, s8
	s_mul_hi_u32 s9, s2, s8
	s_mul_i32 s2, s2, s8
	s_add_i32 s3, s9, s3
	v_mov_b32_e32 v2, v5
	v_add_co_u32 v4, vcc_lo, v4, s10
	v_mov_b32_e32 v5, v7
	s_lshl_b64 s[2:3], s[2:3], 2
	v_mad_u64_u32 v[7:8], null, s1, v8, v[2:3]
	s_mul_i32 s17, s17, s8
	v_mad_u64_u32 v[8:9], null, s15, v9, v[5:6]
	s_mul_hi_u32 s9, s16, s8
	s_add_u32 s18, s18, s2
	s_mul_i32 s16, s16, s8
	v_add_co_ci_u32_e64 v5, null, s11, v7, vcc_lo
	v_add_co_u32 v6, vcc_lo, v6, v14
	v_add_co_ci_u32_e64 v7, null, 0, v8, vcc_lo
	v_lshlrev_b64 v[4:5], 2, v[4:5]
	s_addc_u32 s19, s19, s3
	s_add_i32 s17, s9, s17
	v_lshlrev_b64 v[6:7], 2, v[6:7]
	s_lshl_b64 s[2:3], s[16:17], 2
	s_lshl_b64 s[0:1], s[0:1], 5
	s_add_u32 s2, s12, s2
	v_add_co_u32 v4, vcc_lo, s18, v4
	v_add_co_ci_u32_e64 v5, null, s19, v5, vcc_lo
	s_addc_u32 s3, s13, s3
	v_add_co_u32 v6, vcc_lo, s2, v6
	v_add_co_ci_u32_e64 v7, null, s3, v7, vcc_lo
	v_mov_b32_e32 v2, v3
	v_mov_b32_e32 v8, v3
	;; [unrolled: 1-line block ×3, first 2 shown]
	s_lshl_b64 s[2:3], s[14:15], 5
	s_mov_b64 s[12:13], 0
.LBB323_2:                              ; =>This Inner Loop Header: Depth=1
	global_load_dword v14, v[6:7], off
	global_load_dword v15, v[4:5], off
	s_add_u32 s12, s12, 8
	s_addc_u32 s13, s13, 0
	v_add_co_u32 v4, vcc_lo, v4, s0
	v_cmp_lt_i64_e64 s9, s[12:13], s[20:21]
	v_add_co_ci_u32_e64 v5, null, s1, v5, vcc_lo
	v_add_co_u32 v6, vcc_lo, v6, s2
	v_add_co_ci_u32_e64 v7, null, s3, v7, vcc_lo
	s_and_b32 vcc_lo, exec_lo, s9
	s_waitcnt vmcnt(1)
	ds_write_b32 v12, v14
	s_waitcnt vmcnt(0)
	ds_write_b32 v13, v15
	s_waitcnt lgkmcnt(0)
	s_barrier
	buffer_gl0_inv
	ds_read_b128 v[14:17], v11
	ds_read2_b32 v[30:31], v10 offset1:16
	ds_read_b128 v[18:21], v11 offset:512
	ds_read2_b32 v[32:33], v10 offset0:32 offset1:48
	ds_read2_b32 v[34:35], v10 offset0:64 offset1:80
	ds_read_b128 v[22:25], v11 offset:16
	ds_read2_b32 v[36:37], v10 offset0:96 offset1:112
	ds_read2_b32 v[38:39], v10 offset0:128 offset1:144
	;; [unrolled: 3-line block ×3, first 2 shown]
	ds_read2_b32 v[44:45], v10 offset0:224 offset1:240
	s_waitcnt lgkmcnt(0)
	s_barrier
	buffer_gl0_inv
	v_fmac_f32_e32 v9, v30, v14
	v_fmac_f32_e32 v8, v31, v14
	;; [unrolled: 1-line block ×32, first 2 shown]
	s_cbranch_vccnz .LBB323_2
.LBB323_3:
	s_clause 0x3
	s_load_dwordx4 s[0:3], s[4:5], 0x78
	s_load_dword s9, s[4:5], 0x50
	s_load_dwordx8 s[12:19], s[4:5], 0x58
	s_load_dword s4, s[4:5], 0x18
	v_add_co_u32 v5, s5, s6, v0
	v_add_co_ci_u32_e64 v6, null, s7, 0, s5
	v_add_co_u32 v4, s5, s10, v1
	v_add_co_ci_u32_e64 v7, null, s11, 0, s5
	v_lshlrev_b64 v[0:1], 2, v[5:6]
	s_waitcnt lgkmcnt(0)
	s_mul_i32 s3, s3, s8
	s_mul_hi_u32 s5, s2, s8
	v_mul_lo_u32 v5, v7, s0
	v_mul_lo_u32 v6, v4, s1
	s_mul_i32 s2, s2, s8
	v_cmp_neq_f32_e64 s6, s9, 0
	s_add_i32 s3, s5, s3
	s_mov_b32 s5, 0
	s_lshl_b64 s[2:3], s[2:3], 2
	s_add_u32 s2, s18, s2
	s_addc_u32 s3, s19, s3
	s_and_b32 vcc_lo, exec_lo, s6
	s_cbranch_vccnz .LBB323_7
; %bb.4:
	v_mad_u64_u32 v[10:11], null, v4, s0, 0
	s_lshl_b64 s[6:7], s[0:1], 6
	v_mul_f32_e32 v14, s4, v9
	v_mul_f32_e32 v15, s4, v8
	;; [unrolled: 1-line block ×4, first 2 shown]
	v_add3_u32 v11, v11, v6, v5
	v_lshlrev_b64 v[10:11], 2, v[10:11]
	v_add_co_u32 v10, vcc_lo, s2, v10
	v_add_co_ci_u32_e64 v11, null, s3, v11, vcc_lo
	v_add_co_u32 v12, vcc_lo, v10, s6
	v_add_co_ci_u32_e64 v13, null, s7, v11, vcc_lo
	;; [unrolled: 2-line block ×4, first 2 shown]
	global_store_dword v[10:11], v14, off
	global_store_dword v[10:11], v15, off offset:64
	global_store_dword v[12:13], v16, off
	global_store_dword v[12:13], v17, off offset:64
	s_andn2_b32 vcc_lo, exec_lo, s5
	s_cbranch_vccnz .LBB323_6
.LBB323_5:
	v_mul_lo_u32 v7, v7, s14
	v_mul_lo_u32 v12, v4, s15
	v_mad_u64_u32 v[10:11], null, v4, s14, 0
	s_mul_i32 s5, s17, s8
	s_mul_hi_u32 s7, s16, s8
	s_mul_i32 s6, s16, s8
	s_add_i32 s7, s7, s5
	s_lshl_b64 s[6:7], s[6:7], 2
	v_add3_u32 v11, v11, v12, v7
	s_add_u32 s5, s12, s6
	s_addc_u32 s6, s13, s7
	v_mad_u64_u32 v[12:13], null, v4, s0, 0
	v_lshlrev_b64 v[10:11], 2, v[10:11]
	s_lshl_b64 s[0:1], s[0:1], 6
	v_add3_u32 v13, v13, v6, v5
	v_add_co_u32 v7, vcc_lo, s5, v10
	v_add_co_ci_u32_e64 v14, null, s6, v11, vcc_lo
	v_lshlrev_b64 v[4:5], 2, v[12:13]
	v_add_co_u32 v10, vcc_lo, v7, v0
	v_add_co_ci_u32_e64 v11, null, v14, v1, vcc_lo
	v_add_co_u32 v12, vcc_lo, s2, v4
	global_load_dword v15, v[10:11], off
	v_add_co_ci_u32_e64 v13, null, s3, v5, vcc_lo
	v_add_co_u32 v4, vcc_lo, v12, v0
	s_lshl_b64 s[2:3], s[14:15], 6
	v_add_co_ci_u32_e64 v5, null, v13, v1, vcc_lo
	s_waitcnt vmcnt(0)
	v_mul_f32_e32 v6, s9, v15
	v_fmac_f32_e32 v6, s4, v9
	global_store_dword v[4:5], v6, off
	global_load_dword v6, v[10:11], off offset:64
	s_waitcnt vmcnt(0)
	v_mul_f32_e32 v9, s9, v6
	v_add_co_u32 v6, vcc_lo, v7, s2
	v_add_co_ci_u32_e64 v7, null, s3, v14, vcc_lo
	v_fmac_f32_e32 v9, s4, v8
	v_add_co_u32 v6, vcc_lo, v6, v0
	v_add_co_ci_u32_e64 v7, null, v7, v1, vcc_lo
	global_store_dword v[4:5], v9, off offset:64
	v_add_co_u32 v5, vcc_lo, v12, s0
	global_load_dword v4, v[6:7], off
	v_add_co_ci_u32_e64 v8, null, s1, v13, vcc_lo
	v_add_co_u32 v0, vcc_lo, v5, v0
	v_add_co_ci_u32_e64 v1, null, v8, v1, vcc_lo
	s_waitcnt vmcnt(0)
	v_mul_f32_e32 v4, s9, v4
	v_fmac_f32_e32 v4, s4, v2
	global_store_dword v[0:1], v4, off
	global_load_dword v2, v[6:7], off offset:64
	s_waitcnt vmcnt(0)
	v_mul_f32_e32 v2, s9, v2
	v_fmac_f32_e32 v2, s4, v3
	global_store_dword v[0:1], v2, off offset:64
.LBB323_6:
	s_endpgm
.LBB323_7:
	s_branch .LBB323_5
	.section	.rodata,"a",@progbits
	.p2align	6, 0x0
	.amdhsa_kernel _ZN12_GLOBAL__N_127rocblas_gemm_batched_kernelIfLi16ELi16ELi32ELi32ELi8ELi32ELi8ELi8ELi32ELc78ELc67EKfS1_fEEvlllT_PT11_llS4_llS2_PT12_llPT13_lli
		.amdhsa_group_segment_fixed_size 2048
		.amdhsa_private_segment_fixed_size 0
		.amdhsa_kernarg_size 140
		.amdhsa_user_sgpr_count 6
		.amdhsa_user_sgpr_private_segment_buffer 1
		.amdhsa_user_sgpr_dispatch_ptr 0
		.amdhsa_user_sgpr_queue_ptr 0
		.amdhsa_user_sgpr_kernarg_segment_ptr 1
		.amdhsa_user_sgpr_dispatch_id 0
		.amdhsa_user_sgpr_flat_scratch_init 0
		.amdhsa_user_sgpr_private_segment_size 0
		.amdhsa_wavefront_size32 1
		.amdhsa_uses_dynamic_stack 0
		.amdhsa_system_sgpr_private_segment_wavefront_offset 0
		.amdhsa_system_sgpr_workgroup_id_x 1
		.amdhsa_system_sgpr_workgroup_id_y 1
		.amdhsa_system_sgpr_workgroup_id_z 1
		.amdhsa_system_sgpr_workgroup_info 0
		.amdhsa_system_vgpr_workitem_id 1
		.amdhsa_next_free_vgpr 46
		.amdhsa_next_free_sgpr 22
		.amdhsa_reserve_vcc 1
		.amdhsa_reserve_flat_scratch 0
		.amdhsa_float_round_mode_32 0
		.amdhsa_float_round_mode_16_64 0
		.amdhsa_float_denorm_mode_32 3
		.amdhsa_float_denorm_mode_16_64 3
		.amdhsa_dx10_clamp 1
		.amdhsa_ieee_mode 1
		.amdhsa_fp16_overflow 0
		.amdhsa_workgroup_processor_mode 1
		.amdhsa_memory_ordered 1
		.amdhsa_forward_progress 1
		.amdhsa_shared_vgpr_count 0
		.amdhsa_exception_fp_ieee_invalid_op 0
		.amdhsa_exception_fp_denorm_src 0
		.amdhsa_exception_fp_ieee_div_zero 0
		.amdhsa_exception_fp_ieee_overflow 0
		.amdhsa_exception_fp_ieee_underflow 0
		.amdhsa_exception_fp_ieee_inexact 0
		.amdhsa_exception_int_div_zero 0
	.end_amdhsa_kernel
	.section	.text._ZN12_GLOBAL__N_127rocblas_gemm_batched_kernelIfLi16ELi16ELi32ELi32ELi8ELi32ELi8ELi8ELi32ELc78ELc67EKfS1_fEEvlllT_PT11_llS4_llS2_PT12_llPT13_lli,"axG",@progbits,_ZN12_GLOBAL__N_127rocblas_gemm_batched_kernelIfLi16ELi16ELi32ELi32ELi8ELi32ELi8ELi8ELi32ELc78ELc67EKfS1_fEEvlllT_PT11_llS4_llS2_PT12_llPT13_lli,comdat
.Lfunc_end323:
	.size	_ZN12_GLOBAL__N_127rocblas_gemm_batched_kernelIfLi16ELi16ELi32ELi32ELi8ELi32ELi8ELi8ELi32ELc78ELc67EKfS1_fEEvlllT_PT11_llS4_llS2_PT12_llPT13_lli, .Lfunc_end323-_ZN12_GLOBAL__N_127rocblas_gemm_batched_kernelIfLi16ELi16ELi32ELi32ELi8ELi32ELi8ELi8ELi32ELc78ELc67EKfS1_fEEvlllT_PT11_llS4_llS2_PT12_llPT13_lli
                                        ; -- End function
	.set _ZN12_GLOBAL__N_127rocblas_gemm_batched_kernelIfLi16ELi16ELi32ELi32ELi8ELi32ELi8ELi8ELi32ELc78ELc67EKfS1_fEEvlllT_PT11_llS4_llS2_PT12_llPT13_lli.num_vgpr, 46
	.set _ZN12_GLOBAL__N_127rocblas_gemm_batched_kernelIfLi16ELi16ELi32ELi32ELi8ELi32ELi8ELi8ELi32ELc78ELc67EKfS1_fEEvlllT_PT11_llS4_llS2_PT12_llPT13_lli.num_agpr, 0
	.set _ZN12_GLOBAL__N_127rocblas_gemm_batched_kernelIfLi16ELi16ELi32ELi32ELi8ELi32ELi8ELi8ELi32ELc78ELc67EKfS1_fEEvlllT_PT11_llS4_llS2_PT12_llPT13_lli.numbered_sgpr, 22
	.set _ZN12_GLOBAL__N_127rocblas_gemm_batched_kernelIfLi16ELi16ELi32ELi32ELi8ELi32ELi8ELi8ELi32ELc78ELc67EKfS1_fEEvlllT_PT11_llS4_llS2_PT12_llPT13_lli.num_named_barrier, 0
	.set _ZN12_GLOBAL__N_127rocblas_gemm_batched_kernelIfLi16ELi16ELi32ELi32ELi8ELi32ELi8ELi8ELi32ELc78ELc67EKfS1_fEEvlllT_PT11_llS4_llS2_PT12_llPT13_lli.private_seg_size, 0
	.set _ZN12_GLOBAL__N_127rocblas_gemm_batched_kernelIfLi16ELi16ELi32ELi32ELi8ELi32ELi8ELi8ELi32ELc78ELc67EKfS1_fEEvlllT_PT11_llS4_llS2_PT12_llPT13_lli.uses_vcc, 1
	.set _ZN12_GLOBAL__N_127rocblas_gemm_batched_kernelIfLi16ELi16ELi32ELi32ELi8ELi32ELi8ELi8ELi32ELc78ELc67EKfS1_fEEvlllT_PT11_llS4_llS2_PT12_llPT13_lli.uses_flat_scratch, 0
	.set _ZN12_GLOBAL__N_127rocblas_gemm_batched_kernelIfLi16ELi16ELi32ELi32ELi8ELi32ELi8ELi8ELi32ELc78ELc67EKfS1_fEEvlllT_PT11_llS4_llS2_PT12_llPT13_lli.has_dyn_sized_stack, 0
	.set _ZN12_GLOBAL__N_127rocblas_gemm_batched_kernelIfLi16ELi16ELi32ELi32ELi8ELi32ELi8ELi8ELi32ELc78ELc67EKfS1_fEEvlllT_PT11_llS4_llS2_PT12_llPT13_lli.has_recursion, 0
	.set _ZN12_GLOBAL__N_127rocblas_gemm_batched_kernelIfLi16ELi16ELi32ELi32ELi8ELi32ELi8ELi8ELi32ELc78ELc67EKfS1_fEEvlllT_PT11_llS4_llS2_PT12_llPT13_lli.has_indirect_call, 0
	.section	.AMDGPU.csdata,"",@progbits
; Kernel info:
; codeLenInByte = 1356
; TotalNumSgprs: 24
; NumVgprs: 46
; ScratchSize: 0
; MemoryBound: 0
; FloatMode: 240
; IeeeMode: 1
; LDSByteSize: 2048 bytes/workgroup (compile time only)
; SGPRBlocks: 0
; VGPRBlocks: 5
; NumSGPRsForWavesPerEU: 24
; NumVGPRsForWavesPerEU: 46
; Occupancy: 16
; WaveLimiterHint : 0
; COMPUTE_PGM_RSRC2:SCRATCH_EN: 0
; COMPUTE_PGM_RSRC2:USER_SGPR: 6
; COMPUTE_PGM_RSRC2:TRAP_HANDLER: 0
; COMPUTE_PGM_RSRC2:TGID_X_EN: 1
; COMPUTE_PGM_RSRC2:TGID_Y_EN: 1
; COMPUTE_PGM_RSRC2:TGID_Z_EN: 1
; COMPUTE_PGM_RSRC2:TIDIG_COMP_CNT: 1
	.section	.text._ZN12_GLOBAL__N_127rocblas_gemm_batched_kernelIfLi16ELi16ELi32ELi32ELi8ELi32ELi8ELi8ELi32ELc84ELc67EKfS1_fEEvlllT_PT11_llS4_llS2_PT12_llPT13_lli,"axG",@progbits,_ZN12_GLOBAL__N_127rocblas_gemm_batched_kernelIfLi16ELi16ELi32ELi32ELi8ELi32ELi8ELi8ELi32ELc84ELc67EKfS1_fEEvlllT_PT11_llS4_llS2_PT12_llPT13_lli,comdat
	.globl	_ZN12_GLOBAL__N_127rocblas_gemm_batched_kernelIfLi16ELi16ELi32ELi32ELi8ELi32ELi8ELi8ELi32ELc84ELc67EKfS1_fEEvlllT_PT11_llS4_llS2_PT12_llPT13_lli ; -- Begin function _ZN12_GLOBAL__N_127rocblas_gemm_batched_kernelIfLi16ELi16ELi32ELi32ELi8ELi32ELi8ELi8ELi32ELc84ELc67EKfS1_fEEvlllT_PT11_llS4_llS2_PT12_llPT13_lli
	.p2align	8
	.type	_ZN12_GLOBAL__N_127rocblas_gemm_batched_kernelIfLi16ELi16ELi32ELi32ELi8ELi32ELi8ELi8ELi32ELc84ELc67EKfS1_fEEvlllT_PT11_llS4_llS2_PT12_llPT13_lli,@function
_ZN12_GLOBAL__N_127rocblas_gemm_batched_kernelIfLi16ELi16ELi32ELi32ELi8ELi32ELi8ELi8ELi32ELc84ELc67EKfS1_fEEvlllT_PT11_llS4_llS2_PT12_llPT13_lli: ; @_ZN12_GLOBAL__N_127rocblas_gemm_batched_kernelIfLi16ELi16ELi32ELi32ELi8ELi32ELi8ELi8ELi32ELc84ELc67EKfS1_fEEvlllT_PT11_llS4_llS2_PT12_llPT13_lli
; %bb.0:
	s_load_dwordx2 s[20:21], s[4:5], 0x10
	s_mov_b32 s0, s7
	v_mov_b32_e32 v9, 0
	v_mov_b32_e32 v8, 0
	;; [unrolled: 1-line block ×4, first 2 shown]
	s_ashr_i32 s7, s6, 31
	s_ashr_i32 s1, s0, 31
	s_lshl_b64 s[6:7], s[6:7], 5
	s_lshl_b64 s[10:11], s[0:1], 5
	s_waitcnt lgkmcnt(0)
	v_cmp_lt_i64_e64 s2, s[20:21], 1
	s_and_b32 vcc_lo, exec_lo, s2
	s_cbranch_vccnz .LBB324_3
; %bb.1:
	s_clause 0x1
	s_load_dwordx8 s[12:19], s[4:5], 0x20
	s_load_dwordx4 s[0:3], s[4:5], 0x40
	v_lshl_add_u32 v4, v1, 4, v0
	v_and_b32_e32 v8, 7, v0
	v_mov_b32_e32 v3, 0
	v_lshlrev_b32_e32 v10, 2, v0
	v_lshl_add_u32 v11, v1, 5, 0x400
	v_and_b32_e32 v5, 31, v4
	v_lshrrev_b32_e32 v2, 3, v4
	v_lshlrev_b32_e32 v6, 2, v8
	v_lshrrev_b32_e32 v14, 5, v4
	v_lshlrev_b32_e32 v4, 2, v5
	v_lshl_or_b32 v9, v2, 5, v6
	v_add_co_u32 v6, s9, s6, v5
	v_add_co_ci_u32_e64 v7, null, s7, 0, s9
	v_lshl_or_b32 v12, v14, 7, v4
	s_waitcnt lgkmcnt(0)
	v_mul_lo_u32 v15, s15, v6
	v_mad_u64_u32 v[4:5], null, s0, v8, v[2:3]
	v_mul_lo_u32 v16, s14, v7
	v_mad_u64_u32 v[6:7], null, s14, v6, 0
	s_mul_i32 s3, s3, s8
	s_mul_hi_u32 s9, s2, s8
	s_mul_i32 s2, s2, s8
	v_mov_b32_e32 v2, v5
	s_add_i32 s3, s9, s3
	v_add_nc_u32_e32 v13, 0x400, v9
	v_add3_u32 v7, v7, v16, v15
	s_lshl_b64 s[2:3], s[2:3], 2
	v_mad_u64_u32 v[8:9], null, s1, v8, v[2:3]
	s_add_u32 s9, s18, s2
	s_addc_u32 s14, s19, s3
	s_mul_i32 s2, s17, s8
	s_mul_hi_u32 s3, s16, s8
	v_lshlrev_b64 v[5:6], 2, v[6:7]
	v_add_co_u32 v7, vcc_lo, v4, s10
	s_add_i32 s3, s3, s2
	s_mul_i32 s2, s16, s8
	v_add_co_ci_u32_e64 v8, null, s11, v8, vcc_lo
	s_lshl_b64 s[2:3], s[2:3], 2
	v_lshlrev_b32_e32 v2, 2, v14
	v_add_co_u32 v9, vcc_lo, v5, s2
	v_add_co_ci_u32_e64 v6, null, s3, v6, vcc_lo
	v_lshlrev_b64 v[4:5], 2, v[7:8]
	v_add_co_u32 v2, vcc_lo, v9, v2
	v_add_co_ci_u32_e64 v7, null, 0, v6, vcc_lo
	v_mov_b32_e32 v8, v3
	v_add_co_u32 v4, vcc_lo, s9, v4
	v_add_co_ci_u32_e64 v5, null, s14, v5, vcc_lo
	v_add_co_u32 v6, vcc_lo, s12, v2
	v_add_co_ci_u32_e64 v7, null, s13, v7, vcc_lo
	v_mov_b32_e32 v2, v3
	v_mov_b32_e32 v9, v3
	s_lshl_b64 s[0:1], s[0:1], 5
	s_mov_b64 s[2:3], 0
.LBB324_2:                              ; =>This Inner Loop Header: Depth=1
	global_load_dword v14, v[6:7], off
	global_load_dword v15, v[4:5], off
	s_add_u32 s2, s2, 8
	s_addc_u32 s3, s3, 0
	v_add_co_u32 v4, vcc_lo, v4, s0
	v_cmp_lt_i64_e64 s9, s[2:3], s[20:21]
	v_add_co_ci_u32_e64 v5, null, s1, v5, vcc_lo
	v_add_co_u32 v6, vcc_lo, v6, 32
	v_add_co_ci_u32_e64 v7, null, 0, v7, vcc_lo
	s_and_b32 vcc_lo, exec_lo, s9
	s_waitcnt vmcnt(1)
	ds_write_b32 v12, v14
	s_waitcnt vmcnt(0)
	ds_write_b32 v13, v15
	s_waitcnt lgkmcnt(0)
	s_barrier
	buffer_gl0_inv
	ds_read_b128 v[14:17], v11
	ds_read2_b32 v[30:31], v10 offset1:16
	ds_read_b128 v[18:21], v11 offset:512
	ds_read2_b32 v[32:33], v10 offset0:32 offset1:48
	ds_read2_b32 v[34:35], v10 offset0:64 offset1:80
	ds_read_b128 v[22:25], v11 offset:16
	ds_read2_b32 v[36:37], v10 offset0:96 offset1:112
	ds_read2_b32 v[38:39], v10 offset0:128 offset1:144
	;; [unrolled: 3-line block ×3, first 2 shown]
	ds_read2_b32 v[44:45], v10 offset0:224 offset1:240
	s_waitcnt lgkmcnt(0)
	s_barrier
	buffer_gl0_inv
	v_fmac_f32_e32 v9, v30, v14
	v_fmac_f32_e32 v8, v31, v14
	;; [unrolled: 1-line block ×32, first 2 shown]
	s_cbranch_vccnz .LBB324_2
.LBB324_3:
	s_clause 0x3
	s_load_dwordx4 s[0:3], s[4:5], 0x78
	s_load_dword s9, s[4:5], 0x50
	s_load_dwordx8 s[12:19], s[4:5], 0x58
	s_load_dword s4, s[4:5], 0x18
	v_add_co_u32 v5, s5, s6, v0
	v_add_co_ci_u32_e64 v6, null, s7, 0, s5
	v_add_co_u32 v4, s5, s10, v1
	v_add_co_ci_u32_e64 v7, null, s11, 0, s5
	v_lshlrev_b64 v[0:1], 2, v[5:6]
	s_waitcnt lgkmcnt(0)
	s_mul_i32 s3, s3, s8
	s_mul_hi_u32 s5, s2, s8
	v_mul_lo_u32 v5, v7, s0
	v_mul_lo_u32 v6, v4, s1
	s_mul_i32 s2, s2, s8
	v_cmp_neq_f32_e64 s6, s9, 0
	s_add_i32 s3, s5, s3
	s_mov_b32 s5, 0
	s_lshl_b64 s[2:3], s[2:3], 2
	s_add_u32 s2, s18, s2
	s_addc_u32 s3, s19, s3
	s_and_b32 vcc_lo, exec_lo, s6
	s_cbranch_vccnz .LBB324_7
; %bb.4:
	v_mad_u64_u32 v[10:11], null, v4, s0, 0
	s_lshl_b64 s[6:7], s[0:1], 6
	v_mul_f32_e32 v14, s4, v9
	v_mul_f32_e32 v15, s4, v8
	v_mul_f32_e32 v16, s4, v2
	v_mul_f32_e32 v17, s4, v3
	v_add3_u32 v11, v11, v6, v5
	v_lshlrev_b64 v[10:11], 2, v[10:11]
	v_add_co_u32 v10, vcc_lo, s2, v10
	v_add_co_ci_u32_e64 v11, null, s3, v11, vcc_lo
	v_add_co_u32 v12, vcc_lo, v10, s6
	v_add_co_ci_u32_e64 v13, null, s7, v11, vcc_lo
	;; [unrolled: 2-line block ×4, first 2 shown]
	global_store_dword v[10:11], v14, off
	global_store_dword v[10:11], v15, off offset:64
	global_store_dword v[12:13], v16, off
	global_store_dword v[12:13], v17, off offset:64
	s_andn2_b32 vcc_lo, exec_lo, s5
	s_cbranch_vccnz .LBB324_6
.LBB324_5:
	v_mul_lo_u32 v7, v7, s14
	v_mul_lo_u32 v12, v4, s15
	v_mad_u64_u32 v[10:11], null, v4, s14, 0
	s_mul_i32 s5, s17, s8
	s_mul_hi_u32 s7, s16, s8
	s_mul_i32 s6, s16, s8
	s_add_i32 s7, s7, s5
	s_lshl_b64 s[6:7], s[6:7], 2
	v_add3_u32 v11, v11, v12, v7
	s_add_u32 s5, s12, s6
	s_addc_u32 s6, s13, s7
	v_mad_u64_u32 v[12:13], null, v4, s0, 0
	v_lshlrev_b64 v[10:11], 2, v[10:11]
	s_lshl_b64 s[0:1], s[0:1], 6
	v_add3_u32 v13, v13, v6, v5
	v_add_co_u32 v7, vcc_lo, s5, v10
	v_add_co_ci_u32_e64 v14, null, s6, v11, vcc_lo
	v_lshlrev_b64 v[4:5], 2, v[12:13]
	v_add_co_u32 v10, vcc_lo, v7, v0
	v_add_co_ci_u32_e64 v11, null, v14, v1, vcc_lo
	v_add_co_u32 v12, vcc_lo, s2, v4
	global_load_dword v15, v[10:11], off
	v_add_co_ci_u32_e64 v13, null, s3, v5, vcc_lo
	v_add_co_u32 v4, vcc_lo, v12, v0
	s_lshl_b64 s[2:3], s[14:15], 6
	v_add_co_ci_u32_e64 v5, null, v13, v1, vcc_lo
	s_waitcnt vmcnt(0)
	v_mul_f32_e32 v6, s9, v15
	v_fmac_f32_e32 v6, s4, v9
	global_store_dword v[4:5], v6, off
	global_load_dword v6, v[10:11], off offset:64
	s_waitcnt vmcnt(0)
	v_mul_f32_e32 v9, s9, v6
	v_add_co_u32 v6, vcc_lo, v7, s2
	v_add_co_ci_u32_e64 v7, null, s3, v14, vcc_lo
	v_fmac_f32_e32 v9, s4, v8
	v_add_co_u32 v6, vcc_lo, v6, v0
	v_add_co_ci_u32_e64 v7, null, v7, v1, vcc_lo
	global_store_dword v[4:5], v9, off offset:64
	v_add_co_u32 v5, vcc_lo, v12, s0
	global_load_dword v4, v[6:7], off
	v_add_co_ci_u32_e64 v8, null, s1, v13, vcc_lo
	v_add_co_u32 v0, vcc_lo, v5, v0
	v_add_co_ci_u32_e64 v1, null, v8, v1, vcc_lo
	s_waitcnt vmcnt(0)
	v_mul_f32_e32 v4, s9, v4
	v_fmac_f32_e32 v4, s4, v2
	global_store_dword v[0:1], v4, off
	global_load_dword v2, v[6:7], off offset:64
	s_waitcnt vmcnt(0)
	v_mul_f32_e32 v2, s9, v2
	v_fmac_f32_e32 v2, s4, v3
	global_store_dword v[0:1], v2, off offset:64
.LBB324_6:
	s_endpgm
.LBB324_7:
	s_branch .LBB324_5
	.section	.rodata,"a",@progbits
	.p2align	6, 0x0
	.amdhsa_kernel _ZN12_GLOBAL__N_127rocblas_gemm_batched_kernelIfLi16ELi16ELi32ELi32ELi8ELi32ELi8ELi8ELi32ELc84ELc67EKfS1_fEEvlllT_PT11_llS4_llS2_PT12_llPT13_lli
		.amdhsa_group_segment_fixed_size 2048
		.amdhsa_private_segment_fixed_size 0
		.amdhsa_kernarg_size 140
		.amdhsa_user_sgpr_count 6
		.amdhsa_user_sgpr_private_segment_buffer 1
		.amdhsa_user_sgpr_dispatch_ptr 0
		.amdhsa_user_sgpr_queue_ptr 0
		.amdhsa_user_sgpr_kernarg_segment_ptr 1
		.amdhsa_user_sgpr_dispatch_id 0
		.amdhsa_user_sgpr_flat_scratch_init 0
		.amdhsa_user_sgpr_private_segment_size 0
		.amdhsa_wavefront_size32 1
		.amdhsa_uses_dynamic_stack 0
		.amdhsa_system_sgpr_private_segment_wavefront_offset 0
		.amdhsa_system_sgpr_workgroup_id_x 1
		.amdhsa_system_sgpr_workgroup_id_y 1
		.amdhsa_system_sgpr_workgroup_id_z 1
		.amdhsa_system_sgpr_workgroup_info 0
		.amdhsa_system_vgpr_workitem_id 1
		.amdhsa_next_free_vgpr 46
		.amdhsa_next_free_sgpr 22
		.amdhsa_reserve_vcc 1
		.amdhsa_reserve_flat_scratch 0
		.amdhsa_float_round_mode_32 0
		.amdhsa_float_round_mode_16_64 0
		.amdhsa_float_denorm_mode_32 3
		.amdhsa_float_denorm_mode_16_64 3
		.amdhsa_dx10_clamp 1
		.amdhsa_ieee_mode 1
		.amdhsa_fp16_overflow 0
		.amdhsa_workgroup_processor_mode 1
		.amdhsa_memory_ordered 1
		.amdhsa_forward_progress 1
		.amdhsa_shared_vgpr_count 0
		.amdhsa_exception_fp_ieee_invalid_op 0
		.amdhsa_exception_fp_denorm_src 0
		.amdhsa_exception_fp_ieee_div_zero 0
		.amdhsa_exception_fp_ieee_overflow 0
		.amdhsa_exception_fp_ieee_underflow 0
		.amdhsa_exception_fp_ieee_inexact 0
		.amdhsa_exception_int_div_zero 0
	.end_amdhsa_kernel
	.section	.text._ZN12_GLOBAL__N_127rocblas_gemm_batched_kernelIfLi16ELi16ELi32ELi32ELi8ELi32ELi8ELi8ELi32ELc84ELc67EKfS1_fEEvlllT_PT11_llS4_llS2_PT12_llPT13_lli,"axG",@progbits,_ZN12_GLOBAL__N_127rocblas_gemm_batched_kernelIfLi16ELi16ELi32ELi32ELi8ELi32ELi8ELi8ELi32ELc84ELc67EKfS1_fEEvlllT_PT11_llS4_llS2_PT12_llPT13_lli,comdat
.Lfunc_end324:
	.size	_ZN12_GLOBAL__N_127rocblas_gemm_batched_kernelIfLi16ELi16ELi32ELi32ELi8ELi32ELi8ELi8ELi32ELc84ELc67EKfS1_fEEvlllT_PT11_llS4_llS2_PT12_llPT13_lli, .Lfunc_end324-_ZN12_GLOBAL__N_127rocblas_gemm_batched_kernelIfLi16ELi16ELi32ELi32ELi8ELi32ELi8ELi8ELi32ELc84ELc67EKfS1_fEEvlllT_PT11_llS4_llS2_PT12_llPT13_lli
                                        ; -- End function
	.set _ZN12_GLOBAL__N_127rocblas_gemm_batched_kernelIfLi16ELi16ELi32ELi32ELi8ELi32ELi8ELi8ELi32ELc84ELc67EKfS1_fEEvlllT_PT11_llS4_llS2_PT12_llPT13_lli.num_vgpr, 46
	.set _ZN12_GLOBAL__N_127rocblas_gemm_batched_kernelIfLi16ELi16ELi32ELi32ELi8ELi32ELi8ELi8ELi32ELc84ELc67EKfS1_fEEvlllT_PT11_llS4_llS2_PT12_llPT13_lli.num_agpr, 0
	.set _ZN12_GLOBAL__N_127rocblas_gemm_batched_kernelIfLi16ELi16ELi32ELi32ELi8ELi32ELi8ELi8ELi32ELc84ELc67EKfS1_fEEvlllT_PT11_llS4_llS2_PT12_llPT13_lli.numbered_sgpr, 22
	.set _ZN12_GLOBAL__N_127rocblas_gemm_batched_kernelIfLi16ELi16ELi32ELi32ELi8ELi32ELi8ELi8ELi32ELc84ELc67EKfS1_fEEvlllT_PT11_llS4_llS2_PT12_llPT13_lli.num_named_barrier, 0
	.set _ZN12_GLOBAL__N_127rocblas_gemm_batched_kernelIfLi16ELi16ELi32ELi32ELi8ELi32ELi8ELi8ELi32ELc84ELc67EKfS1_fEEvlllT_PT11_llS4_llS2_PT12_llPT13_lli.private_seg_size, 0
	.set _ZN12_GLOBAL__N_127rocblas_gemm_batched_kernelIfLi16ELi16ELi32ELi32ELi8ELi32ELi8ELi8ELi32ELc84ELc67EKfS1_fEEvlllT_PT11_llS4_llS2_PT12_llPT13_lli.uses_vcc, 1
	.set _ZN12_GLOBAL__N_127rocblas_gemm_batched_kernelIfLi16ELi16ELi32ELi32ELi8ELi32ELi8ELi8ELi32ELc84ELc67EKfS1_fEEvlllT_PT11_llS4_llS2_PT12_llPT13_lli.uses_flat_scratch, 0
	.set _ZN12_GLOBAL__N_127rocblas_gemm_batched_kernelIfLi16ELi16ELi32ELi32ELi8ELi32ELi8ELi8ELi32ELc84ELc67EKfS1_fEEvlllT_PT11_llS4_llS2_PT12_llPT13_lli.has_dyn_sized_stack, 0
	.set _ZN12_GLOBAL__N_127rocblas_gemm_batched_kernelIfLi16ELi16ELi32ELi32ELi8ELi32ELi8ELi8ELi32ELc84ELc67EKfS1_fEEvlllT_PT11_llS4_llS2_PT12_llPT13_lli.has_recursion, 0
	.set _ZN12_GLOBAL__N_127rocblas_gemm_batched_kernelIfLi16ELi16ELi32ELi32ELi8ELi32ELi8ELi8ELi32ELc84ELc67EKfS1_fEEvlllT_PT11_llS4_llS2_PT12_llPT13_lli.has_indirect_call, 0
	.section	.AMDGPU.csdata,"",@progbits
; Kernel info:
; codeLenInByte = 1392
; TotalNumSgprs: 24
; NumVgprs: 46
; ScratchSize: 0
; MemoryBound: 0
; FloatMode: 240
; IeeeMode: 1
; LDSByteSize: 2048 bytes/workgroup (compile time only)
; SGPRBlocks: 0
; VGPRBlocks: 5
; NumSGPRsForWavesPerEU: 24
; NumVGPRsForWavesPerEU: 46
; Occupancy: 16
; WaveLimiterHint : 0
; COMPUTE_PGM_RSRC2:SCRATCH_EN: 0
; COMPUTE_PGM_RSRC2:USER_SGPR: 6
; COMPUTE_PGM_RSRC2:TRAP_HANDLER: 0
; COMPUTE_PGM_RSRC2:TGID_X_EN: 1
; COMPUTE_PGM_RSRC2:TGID_Y_EN: 1
; COMPUTE_PGM_RSRC2:TGID_Z_EN: 1
; COMPUTE_PGM_RSRC2:TIDIG_COMP_CNT: 1
	.section	.text._ZN12_GLOBAL__N_135rocblas_gemm_batched_general_kernelIfLi16ELi16ELi32ELi32ELi8ELi32ELi8ELi8ELi32ELc78ELc78EKfS1_fEEvlllT_PT11_llS4_llS2_PT12_llPT13_lli,"axG",@progbits,_ZN12_GLOBAL__N_135rocblas_gemm_batched_general_kernelIfLi16ELi16ELi32ELi32ELi8ELi32ELi8ELi8ELi32ELc78ELc78EKfS1_fEEvlllT_PT11_llS4_llS2_PT12_llPT13_lli,comdat
	.globl	_ZN12_GLOBAL__N_135rocblas_gemm_batched_general_kernelIfLi16ELi16ELi32ELi32ELi8ELi32ELi8ELi8ELi32ELc78ELc78EKfS1_fEEvlllT_PT11_llS4_llS2_PT12_llPT13_lli ; -- Begin function _ZN12_GLOBAL__N_135rocblas_gemm_batched_general_kernelIfLi16ELi16ELi32ELi32ELi8ELi32ELi8ELi8ELi32ELc78ELc78EKfS1_fEEvlllT_PT11_llS4_llS2_PT12_llPT13_lli
	.p2align	8
	.type	_ZN12_GLOBAL__N_135rocblas_gemm_batched_general_kernelIfLi16ELi16ELi32ELi32ELi8ELi32ELi8ELi8ELi32ELc78ELc78EKfS1_fEEvlllT_PT11_llS4_llS2_PT12_llPT13_lli,@function
_ZN12_GLOBAL__N_135rocblas_gemm_batched_general_kernelIfLi16ELi16ELi32ELi32ELi8ELi32ELi8ELi8ELi32ELc78ELc78EKfS1_fEEvlllT_PT11_llS4_llS2_PT12_llPT13_lli: ; @_ZN12_GLOBAL__N_135rocblas_gemm_batched_general_kernelIfLi16ELi16ELi32ELi32ELi8ELi32ELi8ELi8ELi32ELc78ELc78EKfS1_fEEvlllT_PT11_llS4_llS2_PT12_llPT13_lli
; %bb.0:
	s_clause 0x1
	s_load_dwordx2 s[28:29], s[4:5], 0x10
	s_load_dwordx4 s[20:23], s[4:5], 0x0
	s_mov_b32 s0, s7
	v_mov_b32_e32 v10, 0
	v_mov_b32_e32 v9, 0
	;; [unrolled: 1-line block ×4, first 2 shown]
	s_ashr_i32 s7, s6, 31
	s_ashr_i32 s1, s0, 31
	s_lshl_b64 s[10:11], s[6:7], 5
	s_waitcnt lgkmcnt(0)
	v_cmp_lt_i64_e64 s2, s[28:29], 1
	s_and_b32 vcc_lo, exec_lo, s2
	s_lshl_b64 s[2:3], s[0:1], 5
	s_cbranch_vccnz .LBB325_7
; %bb.1:
	s_clause 0x1
	s_load_dwordx8 s[12:19], s[4:5], 0x20
	s_load_dwordx4 s[24:27], s[4:5], 0x40
	v_lshl_add_u32 v2, v1, 4, v0
	v_and_b32_e32 v6, 7, v0
	v_mov_b32_e32 v3, s11
	s_lshl_b64 s[6:7], s[6:7], 7
	v_mov_b32_e32 v7, 0
	v_lshrrev_b32_e32 v10, 3, v2
	v_lshrrev_b32_e32 v13, 5, v2
	v_and_b32_e32 v8, 31, v2
	v_lshlrev_b32_e32 v16, 2, v6
	v_lshlrev_b32_e32 v11, 2, v0
	v_add_co_u32 v4, s0, v10, s2
	v_add_co_ci_u32_e64 v5, null, 0, s3, s0
	v_or_b32_e32 v2, s10, v8
	v_lshlrev_b32_e32 v17, 2, v8
	v_lshl_or_b32 v10, v10, 5, v16
	v_cmp_gt_i64_e64 s1, s[22:23], v[4:5]
	s_waitcnt lgkmcnt(0)
	v_mad_u64_u32 v[8:9], null, s14, v13, 0
	v_cmp_gt_i64_e64 s0, s[20:21], v[2:3]
	v_mul_lo_u32 v18, s25, v4
	v_mad_u64_u32 v[3:4], null, s24, v4, 0
	v_mul_lo_u32 v5, s24, v5
	v_add_nc_u32_e32 v15, 0x400, v10
	v_mov_b32_e32 v2, v9
	s_mul_i32 s9, s27, s8
	s_mul_hi_u32 s25, s26, s8
	s_mul_i32 s24, s26, s8
	s_mul_i32 s17, s17, s8
	v_mad_u64_u32 v[9:10], null, s15, v13, v[2:3]
	v_add3_u32 v4, v4, v5, v18
	s_mul_hi_u32 s26, s16, s8
	s_mul_i32 s16, s16, s8
	s_add_i32 s25, s25, s9
	s_add_i32 s17, s26, s17
	v_lshlrev_b64 v[2:3], 2, v[3:4]
	v_lshlrev_b64 v[4:5], 2, v[8:9]
	s_lshl_b64 s[24:25], s[24:25], 2
	s_lshl_b64 s[16:17], s[16:17], 2
	v_lshl_add_u32 v12, v1, 5, 0x400
	s_add_u32 s6, s6, s16
	v_add_co_u32 v2, vcc_lo, v2, s24
	v_add_co_ci_u32_e64 v3, null, s25, v3, vcc_lo
	s_addc_u32 s7, s7, s17
	v_add_co_u32 v4, vcc_lo, s6, v4
	v_add_co_ci_u32_e64 v5, null, s7, v5, vcc_lo
	v_add_co_u32 v2, vcc_lo, v2, v16
	v_add_co_ci_u32_e64 v3, null, 0, v3, vcc_lo
	;; [unrolled: 2-line block ×4, first 2 shown]
	v_add_co_u32 v4, vcc_lo, s12, v4
	v_lshl_or_b32 v14, v13, 7, v17
	v_add_co_ci_u32_e64 v5, null, s13, v5, vcc_lo
	v_mov_b32_e32 v8, 0
	v_mov_b32_e32 v9, 0
	;; [unrolled: 1-line block ×3, first 2 shown]
	s_lshl_b64 s[6:7], s[14:15], 5
	s_mov_b64 s[12:13], 0
	s_branch .LBB325_3
.LBB325_2:                              ;   in Loop: Header=BB325_3 Depth=1
	s_or_b32 exec_lo, exec_lo, s9
	s_waitcnt vmcnt(0)
	ds_write_b32 v15, v17
	s_waitcnt lgkmcnt(0)
	s_barrier
	buffer_gl0_inv
	ds_read_b128 v[16:19], v12
	ds_read2_b32 v[32:33], v11 offset1:16
	ds_read_b128 v[20:23], v12 offset:512
	ds_read2_b32 v[34:35], v11 offset0:32 offset1:48
	ds_read2_b32 v[36:37], v11 offset0:64 offset1:80
	;; [unrolled: 1-line block ×3, first 2 shown]
	ds_read_b128 v[24:27], v12 offset:16
	ds_read2_b32 v[40:41], v11 offset0:128 offset1:144
	ds_read_b128 v[28:31], v12 offset:528
	ds_read2_b32 v[42:43], v11 offset0:160 offset1:176
	s_add_u32 s12, s12, 8
	s_addc_u32 s13, s13, 0
	v_add_co_u32 v2, vcc_lo, v2, 32
	v_cmp_lt_i64_e64 s9, s[12:13], s[28:29]
	v_add_co_ci_u32_e64 v3, null, 0, v3, vcc_lo
	v_add_co_u32 v4, vcc_lo, v4, s6
	v_add_co_ci_u32_e64 v5, null, s7, v5, vcc_lo
	s_waitcnt lgkmcnt(8)
	v_fmac_f32_e32 v10, v32, v16
	v_fmac_f32_e32 v9, v33, v16
	s_waitcnt lgkmcnt(7)
	v_fmac_f32_e32 v8, v32, v20
	v_fmac_f32_e32 v7, v33, v20
	ds_read2_b32 v[32:33], v11 offset0:192 offset1:208
	s_waitcnt lgkmcnt(7)
	v_fmac_f32_e32 v10, v34, v17
	v_fmac_f32_e32 v9, v35, v17
	v_fmac_f32_e32 v8, v34, v21
	v_fmac_f32_e32 v7, v35, v21
	ds_read2_b32 v[16:17], v11 offset0:224 offset1:240
	s_waitcnt lgkmcnt(7)
	v_fmac_f32_e32 v10, v36, v18
	v_fmac_f32_e32 v9, v37, v18
	;; [unrolled: 1-line block ×4, first 2 shown]
	s_and_b32 vcc_lo, exec_lo, s9
	s_waitcnt lgkmcnt(6)
	v_fmac_f32_e32 v10, v38, v19
	v_fmac_f32_e32 v9, v39, v19
	v_fmac_f32_e32 v8, v38, v23
	v_fmac_f32_e32 v7, v39, v23
	s_waitcnt lgkmcnt(0)
	v_fmac_f32_e32 v10, v40, v24
	v_fmac_f32_e32 v9, v41, v24
	;; [unrolled: 1-line block ×4, first 2 shown]
	s_barrier
	v_fmac_f32_e32 v10, v42, v25
	v_fmac_f32_e32 v9, v43, v25
	;; [unrolled: 1-line block ×4, first 2 shown]
	buffer_gl0_inv
	v_fmac_f32_e32 v10, v32, v26
	v_fmac_f32_e32 v9, v33, v26
	;; [unrolled: 1-line block ×8, first 2 shown]
	s_cbranch_vccz .LBB325_7
.LBB325_3:                              ; =>This Inner Loop Header: Depth=1
	v_add_co_u32 v16, s9, v13, s12
	v_add_co_ci_u32_e64 v17, null, 0, s13, s9
	v_cmp_gt_i64_e32 vcc_lo, s[28:29], v[16:17]
	v_mov_b32_e32 v16, 0
	s_and_b32 s14, s0, vcc_lo
	s_and_saveexec_b32 s9, s14
	s_cbranch_execz .LBB325_5
; %bb.4:                                ;   in Loop: Header=BB325_3 Depth=1
	global_load_dword v16, v[4:5], off
.LBB325_5:                              ;   in Loop: Header=BB325_3 Depth=1
	s_or_b32 exec_lo, exec_lo, s9
	v_add_co_u32 v17, s9, v6, s12
	v_add_co_ci_u32_e64 v18, null, 0, s13, s9
	s_waitcnt vmcnt(0)
	ds_write_b32 v14, v16
	v_cmp_gt_i64_e32 vcc_lo, s[28:29], v[17:18]
	v_mov_b32_e32 v17, 0
	s_and_b32 s14, vcc_lo, s1
	s_and_saveexec_b32 s9, s14
	s_cbranch_execz .LBB325_2
; %bb.6:                                ;   in Loop: Header=BB325_3 Depth=1
	global_load_dword v17, v[2:3], off
	s_branch .LBB325_2
.LBB325_7:
	s_clause 0x3
	s_load_dwordx4 s[24:27], s[4:5], 0x78
	s_load_dword s6, s[4:5], 0x50
	s_load_dwordx8 s[12:19], s[4:5], 0x58
	s_load_dword s4, s[4:5], 0x18
	v_add_co_u32 v1, s0, s2, v1
	v_add_co_ci_u32_e64 v2, null, s3, 0, s0
	s_waitcnt lgkmcnt(0)
	s_mul_i32 s1, s27, s8
	s_mul_hi_u32 s2, s26, s8
	s_mul_i32 s0, s26, s8
	s_add_i32 s1, s2, s1
	v_cmp_neq_f32_e64 s2, s6, 0
	s_lshl_b64 s[26:27], s[0:1], 2
	v_cmp_gt_i64_e64 s0, s[22:23], v[1:2]
	s_add_u32 s3, s18, s26
	s_addc_u32 s5, s19, s27
	s_and_b32 vcc_lo, exec_lo, s2
	s_cbranch_vccnz .LBB325_20
; %bb.8:
	s_and_saveexec_b32 s7, s0
	s_cbranch_execz .LBB325_18
; %bb.9:
	v_mul_lo_u32 v5, v2, s24
	v_mul_lo_u32 v6, v1, s25
	v_mad_u64_u32 v[3:4], null, v1, s24, 0
	v_add3_u32 v4, v4, v6, v5
	v_add_co_u32 v5, s1, s10, v0
	v_add_co_ci_u32_e64 v6, null, s11, 0, s1
	v_lshlrev_b64 v[11:12], 2, v[3:4]
	v_cmp_gt_i64_e32 vcc_lo, s[20:21], v[5:6]
	v_lshlrev_b64 v[3:4], 2, v[5:6]
	v_add_co_u32 v11, s1, s3, v11
	v_add_co_ci_u32_e64 v12, null, s5, v12, s1
	s_and_saveexec_b32 s2, vcc_lo
	s_cbranch_execz .LBB325_11
; %bb.10:
	v_add_co_u32 v13, s1, v11, v3
	v_add_co_ci_u32_e64 v14, null, v12, v4, s1
	v_mul_f32_e32 v15, s4, v10
	global_store_dword v[13:14], v15, off
.LBB325_11:
	s_or_b32 exec_lo, exec_lo, s2
	v_add_co_u32 v5, s1, v5, 16
	v_add_co_ci_u32_e64 v6, null, 0, v6, s1
	v_cmp_gt_i64_e64 s1, s[20:21], v[5:6]
	s_and_saveexec_b32 s9, s1
	s_cbranch_execz .LBB325_13
; %bb.12:
	v_add_co_u32 v5, s2, v11, v3
	v_add_co_ci_u32_e64 v6, null, v12, v4, s2
	v_mul_f32_e32 v13, s4, v9
	global_store_dword v[5:6], v13, off offset:64
.LBB325_13:
	s_or_b32 exec_lo, exec_lo, s9
	v_add_co_u32 v5, s2, v1, 16
	v_add_co_ci_u32_e64 v6, null, 0, v2, s2
	v_cmp_gt_i64_e64 s2, s[22:23], v[5:6]
	s_and_b32 exec_lo, exec_lo, s2
	s_cbranch_execz .LBB325_18
; %bb.14:
	s_lshl_b64 s[18:19], s[24:25], 6
	v_add_co_u32 v5, s2, v11, s18
	v_add_co_ci_u32_e64 v6, null, s19, v12, s2
	v_add_co_u32 v3, s2, v5, v3
	v_add_co_ci_u32_e64 v4, null, v6, v4, s2
	s_and_saveexec_b32 s2, vcc_lo
	s_cbranch_execz .LBB325_16
; %bb.15:
	v_mul_f32_e32 v5, s4, v8
	global_store_dword v[3:4], v5, off
.LBB325_16:
	s_or_b32 exec_lo, exec_lo, s2
	s_and_b32 exec_lo, exec_lo, s1
	s_cbranch_execz .LBB325_18
; %bb.17:
	v_mul_f32_e32 v5, s4, v7
	global_store_dword v[3:4], v5, off offset:64
.LBB325_18:
	s_or_b32 exec_lo, exec_lo, s7
	s_cbranch_execz .LBB325_21
.LBB325_19:
	s_endpgm
.LBB325_20:
.LBB325_21:
	s_and_saveexec_b32 s1, s0
	s_cbranch_execz .LBB325_19
; %bb.22:
	v_mul_lo_u32 v5, v2, s14
	v_mul_lo_u32 v6, v1, s15
	v_mad_u64_u32 v[3:4], null, v1, s14, 0
	v_mul_lo_u32 v13, v2, s24
	v_mul_lo_u32 v14, v1, s25
	v_mad_u64_u32 v[11:12], null, v1, s24, 0
	s_mul_i32 s0, s17, s8
	s_mul_hi_u32 s1, s16, s8
	v_add3_u32 v4, v4, v6, v5
	s_add_i32 s1, s1, s0
	s_mul_i32 s0, s16, s8
	v_add_co_u32 v5, s2, s10, v0
	v_add3_u32 v12, v12, v14, v13
	v_lshlrev_b64 v[3:4], 2, v[3:4]
	s_lshl_b64 s[0:1], s[0:1], 2
	v_add_co_ci_u32_e64 v6, null, s11, 0, s2
	v_lshlrev_b64 v[12:13], 2, v[11:12]
	s_add_u32 s0, s12, s0
	s_addc_u32 s1, s13, s1
	v_add_co_u32 v0, s0, s0, v3
	v_add_co_ci_u32_e64 v11, null, s1, v4, s0
	v_add_co_u32 v12, s0, s3, v12
	v_cmp_gt_i64_e32 vcc_lo, s[20:21], v[5:6]
	v_lshlrev_b64 v[3:4], 2, v[5:6]
	v_add_co_ci_u32_e64 v13, null, s5, v13, s0
	s_and_saveexec_b32 s1, vcc_lo
	s_cbranch_execz .LBB325_24
; %bb.23:
	v_add_co_u32 v14, s0, v0, v3
	v_add_co_ci_u32_e64 v15, null, v11, v4, s0
	global_load_dword v14, v[14:15], off
	s_waitcnt vmcnt(0)
	v_mul_f32_e32 v16, s6, v14
	v_add_co_u32 v14, s0, v12, v3
	v_add_co_ci_u32_e64 v15, null, v13, v4, s0
	v_fmac_f32_e32 v16, s4, v10
	global_store_dword v[14:15], v16, off
.LBB325_24:
	s_or_b32 exec_lo, exec_lo, s1
	v_add_co_u32 v5, s0, v5, 16
	v_add_co_ci_u32_e64 v6, null, 0, v6, s0
	v_cmp_gt_i64_e64 s0, s[20:21], v[5:6]
	s_and_saveexec_b32 s2, s0
	s_cbranch_execz .LBB325_26
; %bb.25:
	v_add_co_u32 v5, s1, v0, v3
	v_add_co_ci_u32_e64 v6, null, v11, v4, s1
	global_load_dword v5, v[5:6], off offset:64
	s_waitcnt vmcnt(0)
	v_mul_f32_e32 v10, s6, v5
	v_add_co_u32 v5, s1, v12, v3
	v_add_co_ci_u32_e64 v6, null, v13, v4, s1
	v_fmac_f32_e32 v10, s4, v9
	global_store_dword v[5:6], v10, off offset:64
.LBB325_26:
	s_or_b32 exec_lo, exec_lo, s2
	v_add_co_u32 v1, s1, v1, 16
	v_add_co_ci_u32_e64 v2, null, 0, v2, s1
	v_cmp_gt_i64_e64 s1, s[22:23], v[1:2]
	s_and_b32 exec_lo, exec_lo, s1
	s_cbranch_execz .LBB325_19
; %bb.27:
	s_lshl_b64 s[2:3], s[14:15], 6
	v_add_co_u32 v0, s1, v0, s2
	v_add_co_ci_u32_e64 v1, null, s3, v11, s1
	s_lshl_b64 s[2:3], s[24:25], 6
	v_add_co_u32 v2, s1, v12, s2
	v_add_co_ci_u32_e64 v5, null, s3, v13, s1
	v_add_co_u32 v0, s1, v0, v3
	v_add_co_ci_u32_e64 v1, null, v1, v4, s1
	;; [unrolled: 2-line block ×3, first 2 shown]
	s_and_saveexec_b32 s1, vcc_lo
	s_cbranch_execz .LBB325_29
; %bb.28:
	global_load_dword v4, v[0:1], off
	s_waitcnt vmcnt(0)
	v_mul_f32_e32 v4, s6, v4
	v_fmac_f32_e32 v4, s4, v8
	global_store_dword v[2:3], v4, off
.LBB325_29:
	s_or_b32 exec_lo, exec_lo, s1
	s_and_b32 exec_lo, exec_lo, s0
	s_cbranch_execz .LBB325_19
; %bb.30:
	global_load_dword v0, v[0:1], off offset:64
	s_waitcnt vmcnt(0)
	v_mul_f32_e32 v0, s6, v0
	v_fmac_f32_e32 v0, s4, v7
	global_store_dword v[2:3], v0, off offset:64
	s_endpgm
	.section	.rodata,"a",@progbits
	.p2align	6, 0x0
	.amdhsa_kernel _ZN12_GLOBAL__N_135rocblas_gemm_batched_general_kernelIfLi16ELi16ELi32ELi32ELi8ELi32ELi8ELi8ELi32ELc78ELc78EKfS1_fEEvlllT_PT11_llS4_llS2_PT12_llPT13_lli
		.amdhsa_group_segment_fixed_size 2048
		.amdhsa_private_segment_fixed_size 0
		.amdhsa_kernarg_size 140
		.amdhsa_user_sgpr_count 6
		.amdhsa_user_sgpr_private_segment_buffer 1
		.amdhsa_user_sgpr_dispatch_ptr 0
		.amdhsa_user_sgpr_queue_ptr 0
		.amdhsa_user_sgpr_kernarg_segment_ptr 1
		.amdhsa_user_sgpr_dispatch_id 0
		.amdhsa_user_sgpr_flat_scratch_init 0
		.amdhsa_user_sgpr_private_segment_size 0
		.amdhsa_wavefront_size32 1
		.amdhsa_uses_dynamic_stack 0
		.amdhsa_system_sgpr_private_segment_wavefront_offset 0
		.amdhsa_system_sgpr_workgroup_id_x 1
		.amdhsa_system_sgpr_workgroup_id_y 1
		.amdhsa_system_sgpr_workgroup_id_z 1
		.amdhsa_system_sgpr_workgroup_info 0
		.amdhsa_system_vgpr_workitem_id 1
		.amdhsa_next_free_vgpr 44
		.amdhsa_next_free_sgpr 30
		.amdhsa_reserve_vcc 1
		.amdhsa_reserve_flat_scratch 0
		.amdhsa_float_round_mode_32 0
		.amdhsa_float_round_mode_16_64 0
		.amdhsa_float_denorm_mode_32 3
		.amdhsa_float_denorm_mode_16_64 3
		.amdhsa_dx10_clamp 1
		.amdhsa_ieee_mode 1
		.amdhsa_fp16_overflow 0
		.amdhsa_workgroup_processor_mode 1
		.amdhsa_memory_ordered 1
		.amdhsa_forward_progress 1
		.amdhsa_shared_vgpr_count 0
		.amdhsa_exception_fp_ieee_invalid_op 0
		.amdhsa_exception_fp_denorm_src 0
		.amdhsa_exception_fp_ieee_div_zero 0
		.amdhsa_exception_fp_ieee_overflow 0
		.amdhsa_exception_fp_ieee_underflow 0
		.amdhsa_exception_fp_ieee_inexact 0
		.amdhsa_exception_int_div_zero 0
	.end_amdhsa_kernel
	.section	.text._ZN12_GLOBAL__N_135rocblas_gemm_batched_general_kernelIfLi16ELi16ELi32ELi32ELi8ELi32ELi8ELi8ELi32ELc78ELc78EKfS1_fEEvlllT_PT11_llS4_llS2_PT12_llPT13_lli,"axG",@progbits,_ZN12_GLOBAL__N_135rocblas_gemm_batched_general_kernelIfLi16ELi16ELi32ELi32ELi8ELi32ELi8ELi8ELi32ELc78ELc78EKfS1_fEEvlllT_PT11_llS4_llS2_PT12_llPT13_lli,comdat
.Lfunc_end325:
	.size	_ZN12_GLOBAL__N_135rocblas_gemm_batched_general_kernelIfLi16ELi16ELi32ELi32ELi8ELi32ELi8ELi8ELi32ELc78ELc78EKfS1_fEEvlllT_PT11_llS4_llS2_PT12_llPT13_lli, .Lfunc_end325-_ZN12_GLOBAL__N_135rocblas_gemm_batched_general_kernelIfLi16ELi16ELi32ELi32ELi8ELi32ELi8ELi8ELi32ELc78ELc78EKfS1_fEEvlllT_PT11_llS4_llS2_PT12_llPT13_lli
                                        ; -- End function
	.set _ZN12_GLOBAL__N_135rocblas_gemm_batched_general_kernelIfLi16ELi16ELi32ELi32ELi8ELi32ELi8ELi8ELi32ELc78ELc78EKfS1_fEEvlllT_PT11_llS4_llS2_PT12_llPT13_lli.num_vgpr, 44
	.set _ZN12_GLOBAL__N_135rocblas_gemm_batched_general_kernelIfLi16ELi16ELi32ELi32ELi8ELi32ELi8ELi8ELi32ELc78ELc78EKfS1_fEEvlllT_PT11_llS4_llS2_PT12_llPT13_lli.num_agpr, 0
	.set _ZN12_GLOBAL__N_135rocblas_gemm_batched_general_kernelIfLi16ELi16ELi32ELi32ELi8ELi32ELi8ELi8ELi32ELc78ELc78EKfS1_fEEvlllT_PT11_llS4_llS2_PT12_llPT13_lli.numbered_sgpr, 30
	.set _ZN12_GLOBAL__N_135rocblas_gemm_batched_general_kernelIfLi16ELi16ELi32ELi32ELi8ELi32ELi8ELi8ELi32ELc78ELc78EKfS1_fEEvlllT_PT11_llS4_llS2_PT12_llPT13_lli.num_named_barrier, 0
	.set _ZN12_GLOBAL__N_135rocblas_gemm_batched_general_kernelIfLi16ELi16ELi32ELi32ELi8ELi32ELi8ELi8ELi32ELc78ELc78EKfS1_fEEvlllT_PT11_llS4_llS2_PT12_llPT13_lli.private_seg_size, 0
	.set _ZN12_GLOBAL__N_135rocblas_gemm_batched_general_kernelIfLi16ELi16ELi32ELi32ELi8ELi32ELi8ELi8ELi32ELc78ELc78EKfS1_fEEvlllT_PT11_llS4_llS2_PT12_llPT13_lli.uses_vcc, 1
	.set _ZN12_GLOBAL__N_135rocblas_gemm_batched_general_kernelIfLi16ELi16ELi32ELi32ELi8ELi32ELi8ELi8ELi32ELc78ELc78EKfS1_fEEvlllT_PT11_llS4_llS2_PT12_llPT13_lli.uses_flat_scratch, 0
	.set _ZN12_GLOBAL__N_135rocblas_gemm_batched_general_kernelIfLi16ELi16ELi32ELi32ELi8ELi32ELi8ELi8ELi32ELc78ELc78EKfS1_fEEvlllT_PT11_llS4_llS2_PT12_llPT13_lli.has_dyn_sized_stack, 0
	.set _ZN12_GLOBAL__N_135rocblas_gemm_batched_general_kernelIfLi16ELi16ELi32ELi32ELi8ELi32ELi8ELi8ELi32ELc78ELc78EKfS1_fEEvlllT_PT11_llS4_llS2_PT12_llPT13_lli.has_recursion, 0
	.set _ZN12_GLOBAL__N_135rocblas_gemm_batched_general_kernelIfLi16ELi16ELi32ELi32ELi8ELi32ELi8ELi8ELi32ELc78ELc78EKfS1_fEEvlllT_PT11_llS4_llS2_PT12_llPT13_lli.has_indirect_call, 0
	.section	.AMDGPU.csdata,"",@progbits
; Kernel info:
; codeLenInByte = 1868
; TotalNumSgprs: 32
; NumVgprs: 44
; ScratchSize: 0
; MemoryBound: 0
; FloatMode: 240
; IeeeMode: 1
; LDSByteSize: 2048 bytes/workgroup (compile time only)
; SGPRBlocks: 0
; VGPRBlocks: 5
; NumSGPRsForWavesPerEU: 32
; NumVGPRsForWavesPerEU: 44
; Occupancy: 16
; WaveLimiterHint : 0
; COMPUTE_PGM_RSRC2:SCRATCH_EN: 0
; COMPUTE_PGM_RSRC2:USER_SGPR: 6
; COMPUTE_PGM_RSRC2:TRAP_HANDLER: 0
; COMPUTE_PGM_RSRC2:TGID_X_EN: 1
; COMPUTE_PGM_RSRC2:TGID_Y_EN: 1
; COMPUTE_PGM_RSRC2:TGID_Z_EN: 1
; COMPUTE_PGM_RSRC2:TIDIG_COMP_CNT: 1
	.section	.text._ZN12_GLOBAL__N_135rocblas_gemm_batched_general_kernelIfLi16ELi16ELi32ELi32ELi8ELi32ELi8ELi8ELi32ELc84ELc78EKfS1_fEEvlllT_PT11_llS4_llS2_PT12_llPT13_lli,"axG",@progbits,_ZN12_GLOBAL__N_135rocblas_gemm_batched_general_kernelIfLi16ELi16ELi32ELi32ELi8ELi32ELi8ELi8ELi32ELc84ELc78EKfS1_fEEvlllT_PT11_llS4_llS2_PT12_llPT13_lli,comdat
	.globl	_ZN12_GLOBAL__N_135rocblas_gemm_batched_general_kernelIfLi16ELi16ELi32ELi32ELi8ELi32ELi8ELi8ELi32ELc84ELc78EKfS1_fEEvlllT_PT11_llS4_llS2_PT12_llPT13_lli ; -- Begin function _ZN12_GLOBAL__N_135rocblas_gemm_batched_general_kernelIfLi16ELi16ELi32ELi32ELi8ELi32ELi8ELi8ELi32ELc84ELc78EKfS1_fEEvlllT_PT11_llS4_llS2_PT12_llPT13_lli
	.p2align	8
	.type	_ZN12_GLOBAL__N_135rocblas_gemm_batched_general_kernelIfLi16ELi16ELi32ELi32ELi8ELi32ELi8ELi8ELi32ELc84ELc78EKfS1_fEEvlllT_PT11_llS4_llS2_PT12_llPT13_lli,@function
_ZN12_GLOBAL__N_135rocblas_gemm_batched_general_kernelIfLi16ELi16ELi32ELi32ELi8ELi32ELi8ELi8ELi32ELc84ELc78EKfS1_fEEvlllT_PT11_llS4_llS2_PT12_llPT13_lli: ; @_ZN12_GLOBAL__N_135rocblas_gemm_batched_general_kernelIfLi16ELi16ELi32ELi32ELi8ELi32ELi8ELi8ELi32ELc84ELc78EKfS1_fEEvlllT_PT11_llS4_llS2_PT12_llPT13_lli
; %bb.0:
	s_clause 0x1
	s_load_dwordx2 s[10:11], s[4:5], 0x10
	s_load_dwordx4 s[20:23], s[4:5], 0x0
	s_mov_b32 s0, s7
	v_mov_b32_e32 v10, 0
	v_mov_b32_e32 v9, 0
	;; [unrolled: 1-line block ×4, first 2 shown]
	s_ashr_i32 s7, s6, 31
	s_ashr_i32 s1, s0, 31
	s_lshl_b64 s[6:7], s[6:7], 5
	s_waitcnt lgkmcnt(0)
	v_cmp_lt_i64_e64 s2, s[10:11], 1
	s_and_b32 vcc_lo, exec_lo, s2
	s_lshl_b64 s[2:3], s[0:1], 5
	s_cbranch_vccnz .LBB326_7
; %bb.1:
	s_load_dwordx4 s[24:27], s[4:5], 0x40
	v_lshl_add_u32 v2, v1, 4, v0
	s_load_dwordx8 s[12:19], s[4:5], 0x20
	v_and_b32_e32 v6, 7, v0
	v_mov_b32_e32 v3, s7
	v_mov_b32_e32 v7, 0
	v_lshrrev_b32_e32 v9, 3, v2
	v_and_b32_e32 v8, 31, v2
	v_lshlrev_b32_e32 v10, 2, v6
	v_lshrrev_b32_e32 v11, 5, v2
	v_add_co_u32 v4, s0, v9, s2
	v_or_b32_e32 v2, s6, v8
	v_add_co_ci_u32_e64 v5, null, 0, s3, s0
	v_lshlrev_b32_e32 v12, 2, v8
	v_add_co_u32 v8, s1, s6, v8
	v_lshl_or_b32 v9, v9, 5, v10
	v_add_co_ci_u32_e64 v14, null, s7, 0, s1
	v_cmp_gt_i64_e64 s0, s[20:21], v[2:3]
	s_waitcnt lgkmcnt(0)
	v_mul_lo_u32 v15, s25, v4
	v_mul_lo_u32 v16, s24, v5
	v_mad_u64_u32 v[2:3], null, s24, v4, 0
	v_cmp_gt_i64_e64 s1, s[22:23], v[4:5]
	v_add_nc_u32_e32 v13, 0x400, v9
	v_mul_lo_u32 v9, s15, v8
	v_mul_lo_u32 v17, s14, v14
	v_mad_u64_u32 v[4:5], null, s14, v8, 0
	v_add3_u32 v3, v3, v16, v15
	s_mul_i32 s9, s27, s8
	s_mul_hi_u32 s14, s26, s8
	v_lshlrev_b32_e32 v8, 2, v11
	s_add_i32 s15, s14, s9
	v_lshlrev_b64 v[2:3], 2, v[2:3]
	v_add3_u32 v5, v5, v17, v9
	s_mul_i32 s14, s26, s8
	s_mul_i32 s9, s17, s8
	s_lshl_b64 s[14:15], s[14:15], 2
	s_mul_hi_u32 s17, s16, s8
	v_lshlrev_b64 v[4:5], 2, v[4:5]
	s_add_i32 s17, s17, s9
	s_mul_i32 s16, s16, s8
	v_add_co_u32 v2, vcc_lo, v2, s14
	v_add_co_ci_u32_e64 v3, null, s15, v3, vcc_lo
	s_lshl_b64 s[14:15], s[16:17], 2
	v_lshl_or_b32 v12, v11, 7, v12
	v_add_co_u32 v4, vcc_lo, v4, s14
	v_add_co_ci_u32_e64 v5, null, s15, v5, vcc_lo
	v_add_co_u32 v2, vcc_lo, v2, v10
	v_add_co_ci_u32_e64 v3, null, 0, v3, vcc_lo
	v_add_co_u32 v4, vcc_lo, v4, v8
	v_add_co_ci_u32_e64 v5, null, 0, v5, vcc_lo
	v_add_co_u32 v2, vcc_lo, s18, v2
	v_add_co_ci_u32_e64 v3, null, s19, v3, vcc_lo
	v_add_co_u32 v4, vcc_lo, s12, v4
	v_lshlrev_b32_e32 v14, 2, v0
	v_lshl_add_u32 v15, v1, 5, 0x400
	v_add_co_ci_u32_e64 v5, null, s13, v5, vcc_lo
	v_mov_b32_e32 v8, 0
	v_mov_b32_e32 v9, 0
	v_mov_b32_e32 v10, 0
	s_mov_b64 s[12:13], 0
	s_branch .LBB326_3
.LBB326_2:                              ;   in Loop: Header=BB326_3 Depth=1
	s_or_b32 exec_lo, exec_lo, s9
	s_waitcnt vmcnt(0)
	ds_write_b32 v13, v17
	s_waitcnt lgkmcnt(0)
	s_barrier
	buffer_gl0_inv
	ds_read_b128 v[16:19], v15
	ds_read2_b32 v[32:33], v14 offset1:16
	ds_read_b128 v[20:23], v15 offset:512
	ds_read2_b32 v[34:35], v14 offset0:32 offset1:48
	ds_read2_b32 v[36:37], v14 offset0:64 offset1:80
	;; [unrolled: 1-line block ×3, first 2 shown]
	ds_read_b128 v[24:27], v15 offset:16
	ds_read2_b32 v[40:41], v14 offset0:128 offset1:144
	ds_read_b128 v[28:31], v15 offset:528
	ds_read2_b32 v[42:43], v14 offset0:160 offset1:176
	s_add_u32 s12, s12, 8
	s_addc_u32 s13, s13, 0
	v_add_co_u32 v2, vcc_lo, v2, 32
	v_cmp_lt_i64_e64 s9, s[12:13], s[10:11]
	v_add_co_ci_u32_e64 v3, null, 0, v3, vcc_lo
	v_add_co_u32 v4, vcc_lo, v4, 32
	v_add_co_ci_u32_e64 v5, null, 0, v5, vcc_lo
	s_waitcnt lgkmcnt(8)
	v_fmac_f32_e32 v10, v32, v16
	v_fmac_f32_e32 v9, v33, v16
	s_waitcnt lgkmcnt(7)
	v_fmac_f32_e32 v8, v32, v20
	v_fmac_f32_e32 v7, v33, v20
	ds_read2_b32 v[32:33], v14 offset0:192 offset1:208
	s_waitcnt lgkmcnt(7)
	v_fmac_f32_e32 v10, v34, v17
	v_fmac_f32_e32 v9, v35, v17
	v_fmac_f32_e32 v8, v34, v21
	v_fmac_f32_e32 v7, v35, v21
	ds_read2_b32 v[16:17], v14 offset0:224 offset1:240
	s_waitcnt lgkmcnt(7)
	v_fmac_f32_e32 v10, v36, v18
	v_fmac_f32_e32 v9, v37, v18
	;; [unrolled: 1-line block ×4, first 2 shown]
	s_and_b32 vcc_lo, exec_lo, s9
	s_waitcnt lgkmcnt(6)
	v_fmac_f32_e32 v10, v38, v19
	v_fmac_f32_e32 v9, v39, v19
	;; [unrolled: 1-line block ×4, first 2 shown]
	s_waitcnt lgkmcnt(0)
	v_fmac_f32_e32 v10, v40, v24
	v_fmac_f32_e32 v9, v41, v24
	;; [unrolled: 1-line block ×4, first 2 shown]
	s_barrier
	v_fmac_f32_e32 v10, v42, v25
	v_fmac_f32_e32 v9, v43, v25
	;; [unrolled: 1-line block ×4, first 2 shown]
	buffer_gl0_inv
	v_fmac_f32_e32 v10, v32, v26
	v_fmac_f32_e32 v9, v33, v26
	;; [unrolled: 1-line block ×8, first 2 shown]
	s_cbranch_vccz .LBB326_7
.LBB326_3:                              ; =>This Inner Loop Header: Depth=1
	v_add_co_u32 v16, s9, v11, s12
	v_add_co_ci_u32_e64 v17, null, 0, s13, s9
	v_cmp_gt_i64_e32 vcc_lo, s[10:11], v[16:17]
	v_mov_b32_e32 v16, 0
	s_and_b32 s14, s0, vcc_lo
	s_and_saveexec_b32 s9, s14
	s_cbranch_execz .LBB326_5
; %bb.4:                                ;   in Loop: Header=BB326_3 Depth=1
	global_load_dword v16, v[4:5], off
.LBB326_5:                              ;   in Loop: Header=BB326_3 Depth=1
	s_or_b32 exec_lo, exec_lo, s9
	v_add_co_u32 v17, s9, v6, s12
	v_add_co_ci_u32_e64 v18, null, 0, s13, s9
	s_waitcnt vmcnt(0)
	ds_write_b32 v12, v16
	v_cmp_gt_i64_e32 vcc_lo, s[10:11], v[17:18]
	v_mov_b32_e32 v17, 0
	s_and_b32 s14, vcc_lo, s1
	s_and_saveexec_b32 s9, s14
	s_cbranch_execz .LBB326_2
; %bb.6:                                ;   in Loop: Header=BB326_3 Depth=1
	global_load_dword v17, v[2:3], off
	s_branch .LBB326_2
.LBB326_7:
	s_clause 0x3
	s_load_dwordx4 s[24:27], s[4:5], 0x78
	s_load_dword s9, s[4:5], 0x50
	s_load_dwordx8 s[12:19], s[4:5], 0x58
	s_load_dword s4, s[4:5], 0x18
	v_add_co_u32 v1, s0, s2, v1
	v_add_co_ci_u32_e64 v2, null, s3, 0, s0
	s_waitcnt lgkmcnt(0)
	s_mul_i32 s1, s27, s8
	s_mul_hi_u32 s2, s26, s8
	s_mul_i32 s0, s26, s8
	s_add_i32 s1, s2, s1
	v_cmp_neq_f32_e64 s2, s9, 0
	s_lshl_b64 s[10:11], s[0:1], 2
	v_cmp_gt_i64_e64 s0, s[22:23], v[1:2]
	s_add_u32 s3, s18, s10
	s_addc_u32 s5, s19, s11
	s_and_b32 vcc_lo, exec_lo, s2
	s_cbranch_vccnz .LBB326_20
; %bb.8:
	s_and_saveexec_b32 s10, s0
	s_cbranch_execz .LBB326_18
; %bb.9:
	v_mul_lo_u32 v5, v2, s24
	v_mul_lo_u32 v6, v1, s25
	v_mad_u64_u32 v[3:4], null, v1, s24, 0
	v_add3_u32 v4, v4, v6, v5
	v_add_co_u32 v5, s1, s6, v0
	v_add_co_ci_u32_e64 v6, null, s7, 0, s1
	v_lshlrev_b64 v[11:12], 2, v[3:4]
	v_cmp_gt_i64_e32 vcc_lo, s[20:21], v[5:6]
	v_lshlrev_b64 v[3:4], 2, v[5:6]
	v_add_co_u32 v11, s1, s3, v11
	v_add_co_ci_u32_e64 v12, null, s5, v12, s1
	s_and_saveexec_b32 s2, vcc_lo
	s_cbranch_execz .LBB326_11
; %bb.10:
	v_add_co_u32 v13, s1, v11, v3
	v_add_co_ci_u32_e64 v14, null, v12, v4, s1
	v_mul_f32_e32 v15, s4, v10
	global_store_dword v[13:14], v15, off
.LBB326_11:
	s_or_b32 exec_lo, exec_lo, s2
	v_add_co_u32 v5, s1, v5, 16
	v_add_co_ci_u32_e64 v6, null, 0, v6, s1
	v_cmp_gt_i64_e64 s1, s[20:21], v[5:6]
	s_and_saveexec_b32 s11, s1
	s_cbranch_execz .LBB326_13
; %bb.12:
	v_add_co_u32 v5, s2, v11, v3
	v_add_co_ci_u32_e64 v6, null, v12, v4, s2
	v_mul_f32_e32 v13, s4, v9
	global_store_dword v[5:6], v13, off offset:64
.LBB326_13:
	s_or_b32 exec_lo, exec_lo, s11
	v_add_co_u32 v5, s2, v1, 16
	v_add_co_ci_u32_e64 v6, null, 0, v2, s2
	v_cmp_gt_i64_e64 s2, s[22:23], v[5:6]
	s_and_b32 exec_lo, exec_lo, s2
	s_cbranch_execz .LBB326_18
; %bb.14:
	s_lshl_b64 s[18:19], s[24:25], 6
	v_add_co_u32 v5, s2, v11, s18
	v_add_co_ci_u32_e64 v6, null, s19, v12, s2
	v_add_co_u32 v3, s2, v5, v3
	v_add_co_ci_u32_e64 v4, null, v6, v4, s2
	s_and_saveexec_b32 s2, vcc_lo
	s_cbranch_execz .LBB326_16
; %bb.15:
	v_mul_f32_e32 v5, s4, v8
	global_store_dword v[3:4], v5, off
.LBB326_16:
	s_or_b32 exec_lo, exec_lo, s2
	s_and_b32 exec_lo, exec_lo, s1
	s_cbranch_execz .LBB326_18
; %bb.17:
	v_mul_f32_e32 v5, s4, v7
	global_store_dword v[3:4], v5, off offset:64
.LBB326_18:
	s_or_b32 exec_lo, exec_lo, s10
	s_cbranch_execz .LBB326_21
.LBB326_19:
	s_endpgm
.LBB326_20:
.LBB326_21:
	s_and_saveexec_b32 s1, s0
	s_cbranch_execz .LBB326_19
; %bb.22:
	v_mul_lo_u32 v5, v2, s14
	v_mul_lo_u32 v6, v1, s15
	v_mad_u64_u32 v[3:4], null, v1, s14, 0
	v_mul_lo_u32 v13, v2, s24
	v_mul_lo_u32 v14, v1, s25
	v_mad_u64_u32 v[11:12], null, v1, s24, 0
	s_mul_i32 s0, s17, s8
	s_mul_hi_u32 s1, s16, s8
	v_add3_u32 v4, v4, v6, v5
	s_add_i32 s1, s1, s0
	s_mul_i32 s0, s16, s8
	v_add_co_u32 v5, s2, s6, v0
	v_add3_u32 v12, v12, v14, v13
	v_lshlrev_b64 v[3:4], 2, v[3:4]
	s_lshl_b64 s[0:1], s[0:1], 2
	v_add_co_ci_u32_e64 v6, null, s7, 0, s2
	v_lshlrev_b64 v[12:13], 2, v[11:12]
	s_add_u32 s0, s12, s0
	s_addc_u32 s1, s13, s1
	v_add_co_u32 v0, s0, s0, v3
	v_add_co_ci_u32_e64 v11, null, s1, v4, s0
	v_add_co_u32 v12, s0, s3, v12
	v_cmp_gt_i64_e32 vcc_lo, s[20:21], v[5:6]
	v_lshlrev_b64 v[3:4], 2, v[5:6]
	v_add_co_ci_u32_e64 v13, null, s5, v13, s0
	s_and_saveexec_b32 s1, vcc_lo
	s_cbranch_execz .LBB326_24
; %bb.23:
	v_add_co_u32 v14, s0, v0, v3
	v_add_co_ci_u32_e64 v15, null, v11, v4, s0
	global_load_dword v14, v[14:15], off
	s_waitcnt vmcnt(0)
	v_mul_f32_e32 v16, s9, v14
	v_add_co_u32 v14, s0, v12, v3
	v_add_co_ci_u32_e64 v15, null, v13, v4, s0
	v_fmac_f32_e32 v16, s4, v10
	global_store_dword v[14:15], v16, off
.LBB326_24:
	s_or_b32 exec_lo, exec_lo, s1
	v_add_co_u32 v5, s0, v5, 16
	v_add_co_ci_u32_e64 v6, null, 0, v6, s0
	v_cmp_gt_i64_e64 s0, s[20:21], v[5:6]
	s_and_saveexec_b32 s2, s0
	s_cbranch_execz .LBB326_26
; %bb.25:
	v_add_co_u32 v5, s1, v0, v3
	v_add_co_ci_u32_e64 v6, null, v11, v4, s1
	global_load_dword v5, v[5:6], off offset:64
	s_waitcnt vmcnt(0)
	v_mul_f32_e32 v10, s9, v5
	v_add_co_u32 v5, s1, v12, v3
	v_add_co_ci_u32_e64 v6, null, v13, v4, s1
	v_fmac_f32_e32 v10, s4, v9
	global_store_dword v[5:6], v10, off offset:64
.LBB326_26:
	s_or_b32 exec_lo, exec_lo, s2
	v_add_co_u32 v1, s1, v1, 16
	v_add_co_ci_u32_e64 v2, null, 0, v2, s1
	v_cmp_gt_i64_e64 s1, s[22:23], v[1:2]
	s_and_b32 exec_lo, exec_lo, s1
	s_cbranch_execz .LBB326_19
; %bb.27:
	s_lshl_b64 s[2:3], s[14:15], 6
	v_add_co_u32 v0, s1, v0, s2
	v_add_co_ci_u32_e64 v1, null, s3, v11, s1
	s_lshl_b64 s[2:3], s[24:25], 6
	v_add_co_u32 v2, s1, v12, s2
	v_add_co_ci_u32_e64 v5, null, s3, v13, s1
	v_add_co_u32 v0, s1, v0, v3
	v_add_co_ci_u32_e64 v1, null, v1, v4, s1
	;; [unrolled: 2-line block ×3, first 2 shown]
	s_and_saveexec_b32 s1, vcc_lo
	s_cbranch_execz .LBB326_29
; %bb.28:
	global_load_dword v4, v[0:1], off
	s_waitcnt vmcnt(0)
	v_mul_f32_e32 v4, s9, v4
	v_fmac_f32_e32 v4, s4, v8
	global_store_dword v[2:3], v4, off
.LBB326_29:
	s_or_b32 exec_lo, exec_lo, s1
	s_and_b32 exec_lo, exec_lo, s0
	s_cbranch_execz .LBB326_19
; %bb.30:
	global_load_dword v0, v[0:1], off offset:64
	s_waitcnt vmcnt(0)
	v_mul_f32_e32 v0, s9, v0
	v_fmac_f32_e32 v0, s4, v7
	global_store_dword v[2:3], v0, off offset:64
	s_endpgm
	.section	.rodata,"a",@progbits
	.p2align	6, 0x0
	.amdhsa_kernel _ZN12_GLOBAL__N_135rocblas_gemm_batched_general_kernelIfLi16ELi16ELi32ELi32ELi8ELi32ELi8ELi8ELi32ELc84ELc78EKfS1_fEEvlllT_PT11_llS4_llS2_PT12_llPT13_lli
		.amdhsa_group_segment_fixed_size 2048
		.amdhsa_private_segment_fixed_size 0
		.amdhsa_kernarg_size 140
		.amdhsa_user_sgpr_count 6
		.amdhsa_user_sgpr_private_segment_buffer 1
		.amdhsa_user_sgpr_dispatch_ptr 0
		.amdhsa_user_sgpr_queue_ptr 0
		.amdhsa_user_sgpr_kernarg_segment_ptr 1
		.amdhsa_user_sgpr_dispatch_id 0
		.amdhsa_user_sgpr_flat_scratch_init 0
		.amdhsa_user_sgpr_private_segment_size 0
		.amdhsa_wavefront_size32 1
		.amdhsa_uses_dynamic_stack 0
		.amdhsa_system_sgpr_private_segment_wavefront_offset 0
		.amdhsa_system_sgpr_workgroup_id_x 1
		.amdhsa_system_sgpr_workgroup_id_y 1
		.amdhsa_system_sgpr_workgroup_id_z 1
		.amdhsa_system_sgpr_workgroup_info 0
		.amdhsa_system_vgpr_workitem_id 1
		.amdhsa_next_free_vgpr 44
		.amdhsa_next_free_sgpr 28
		.amdhsa_reserve_vcc 1
		.amdhsa_reserve_flat_scratch 0
		.amdhsa_float_round_mode_32 0
		.amdhsa_float_round_mode_16_64 0
		.amdhsa_float_denorm_mode_32 3
		.amdhsa_float_denorm_mode_16_64 3
		.amdhsa_dx10_clamp 1
		.amdhsa_ieee_mode 1
		.amdhsa_fp16_overflow 0
		.amdhsa_workgroup_processor_mode 1
		.amdhsa_memory_ordered 1
		.amdhsa_forward_progress 1
		.amdhsa_shared_vgpr_count 0
		.amdhsa_exception_fp_ieee_invalid_op 0
		.amdhsa_exception_fp_denorm_src 0
		.amdhsa_exception_fp_ieee_div_zero 0
		.amdhsa_exception_fp_ieee_overflow 0
		.amdhsa_exception_fp_ieee_underflow 0
		.amdhsa_exception_fp_ieee_inexact 0
		.amdhsa_exception_int_div_zero 0
	.end_amdhsa_kernel
	.section	.text._ZN12_GLOBAL__N_135rocblas_gemm_batched_general_kernelIfLi16ELi16ELi32ELi32ELi8ELi32ELi8ELi8ELi32ELc84ELc78EKfS1_fEEvlllT_PT11_llS4_llS2_PT12_llPT13_lli,"axG",@progbits,_ZN12_GLOBAL__N_135rocblas_gemm_batched_general_kernelIfLi16ELi16ELi32ELi32ELi8ELi32ELi8ELi8ELi32ELc84ELc78EKfS1_fEEvlllT_PT11_llS4_llS2_PT12_llPT13_lli,comdat
.Lfunc_end326:
	.size	_ZN12_GLOBAL__N_135rocblas_gemm_batched_general_kernelIfLi16ELi16ELi32ELi32ELi8ELi32ELi8ELi8ELi32ELc84ELc78EKfS1_fEEvlllT_PT11_llS4_llS2_PT12_llPT13_lli, .Lfunc_end326-_ZN12_GLOBAL__N_135rocblas_gemm_batched_general_kernelIfLi16ELi16ELi32ELi32ELi8ELi32ELi8ELi8ELi32ELc84ELc78EKfS1_fEEvlllT_PT11_llS4_llS2_PT12_llPT13_lli
                                        ; -- End function
	.set _ZN12_GLOBAL__N_135rocblas_gemm_batched_general_kernelIfLi16ELi16ELi32ELi32ELi8ELi32ELi8ELi8ELi32ELc84ELc78EKfS1_fEEvlllT_PT11_llS4_llS2_PT12_llPT13_lli.num_vgpr, 44
	.set _ZN12_GLOBAL__N_135rocblas_gemm_batched_general_kernelIfLi16ELi16ELi32ELi32ELi8ELi32ELi8ELi8ELi32ELc84ELc78EKfS1_fEEvlllT_PT11_llS4_llS2_PT12_llPT13_lli.num_agpr, 0
	.set _ZN12_GLOBAL__N_135rocblas_gemm_batched_general_kernelIfLi16ELi16ELi32ELi32ELi8ELi32ELi8ELi8ELi32ELc84ELc78EKfS1_fEEvlllT_PT11_llS4_llS2_PT12_llPT13_lli.numbered_sgpr, 28
	.set _ZN12_GLOBAL__N_135rocblas_gemm_batched_general_kernelIfLi16ELi16ELi32ELi32ELi8ELi32ELi8ELi8ELi32ELc84ELc78EKfS1_fEEvlllT_PT11_llS4_llS2_PT12_llPT13_lli.num_named_barrier, 0
	.set _ZN12_GLOBAL__N_135rocblas_gemm_batched_general_kernelIfLi16ELi16ELi32ELi32ELi8ELi32ELi8ELi8ELi32ELc84ELc78EKfS1_fEEvlllT_PT11_llS4_llS2_PT12_llPT13_lli.private_seg_size, 0
	.set _ZN12_GLOBAL__N_135rocblas_gemm_batched_general_kernelIfLi16ELi16ELi32ELi32ELi8ELi32ELi8ELi8ELi32ELc84ELc78EKfS1_fEEvlllT_PT11_llS4_llS2_PT12_llPT13_lli.uses_vcc, 1
	.set _ZN12_GLOBAL__N_135rocblas_gemm_batched_general_kernelIfLi16ELi16ELi32ELi32ELi8ELi32ELi8ELi8ELi32ELc84ELc78EKfS1_fEEvlllT_PT11_llS4_llS2_PT12_llPT13_lli.uses_flat_scratch, 0
	.set _ZN12_GLOBAL__N_135rocblas_gemm_batched_general_kernelIfLi16ELi16ELi32ELi32ELi8ELi32ELi8ELi8ELi32ELc84ELc78EKfS1_fEEvlllT_PT11_llS4_llS2_PT12_llPT13_lli.has_dyn_sized_stack, 0
	.set _ZN12_GLOBAL__N_135rocblas_gemm_batched_general_kernelIfLi16ELi16ELi32ELi32ELi8ELi32ELi8ELi8ELi32ELc84ELc78EKfS1_fEEvlllT_PT11_llS4_llS2_PT12_llPT13_lli.has_recursion, 0
	.set _ZN12_GLOBAL__N_135rocblas_gemm_batched_general_kernelIfLi16ELi16ELi32ELi32ELi8ELi32ELi8ELi8ELi32ELc84ELc78EKfS1_fEEvlllT_PT11_llS4_llS2_PT12_llPT13_lli.has_indirect_call, 0
	.section	.AMDGPU.csdata,"",@progbits
; Kernel info:
; codeLenInByte = 1880
; TotalNumSgprs: 30
; NumVgprs: 44
; ScratchSize: 0
; MemoryBound: 0
; FloatMode: 240
; IeeeMode: 1
; LDSByteSize: 2048 bytes/workgroup (compile time only)
; SGPRBlocks: 0
; VGPRBlocks: 5
; NumSGPRsForWavesPerEU: 30
; NumVGPRsForWavesPerEU: 44
; Occupancy: 16
; WaveLimiterHint : 0
; COMPUTE_PGM_RSRC2:SCRATCH_EN: 0
; COMPUTE_PGM_RSRC2:USER_SGPR: 6
; COMPUTE_PGM_RSRC2:TRAP_HANDLER: 0
; COMPUTE_PGM_RSRC2:TGID_X_EN: 1
; COMPUTE_PGM_RSRC2:TGID_Y_EN: 1
; COMPUTE_PGM_RSRC2:TGID_Z_EN: 1
; COMPUTE_PGM_RSRC2:TIDIG_COMP_CNT: 1
	.section	.text._ZN12_GLOBAL__N_135rocblas_gemm_batched_general_kernelIfLi16ELi16ELi32ELi32ELi8ELi32ELi8ELi8ELi32ELc78ELc84EKfS1_fEEvlllT_PT11_llS4_llS2_PT12_llPT13_lli,"axG",@progbits,_ZN12_GLOBAL__N_135rocblas_gemm_batched_general_kernelIfLi16ELi16ELi32ELi32ELi8ELi32ELi8ELi8ELi32ELc78ELc84EKfS1_fEEvlllT_PT11_llS4_llS2_PT12_llPT13_lli,comdat
	.globl	_ZN12_GLOBAL__N_135rocblas_gemm_batched_general_kernelIfLi16ELi16ELi32ELi32ELi8ELi32ELi8ELi8ELi32ELc78ELc84EKfS1_fEEvlllT_PT11_llS4_llS2_PT12_llPT13_lli ; -- Begin function _ZN12_GLOBAL__N_135rocblas_gemm_batched_general_kernelIfLi16ELi16ELi32ELi32ELi8ELi32ELi8ELi8ELi32ELc78ELc84EKfS1_fEEvlllT_PT11_llS4_llS2_PT12_llPT13_lli
	.p2align	8
	.type	_ZN12_GLOBAL__N_135rocblas_gemm_batched_general_kernelIfLi16ELi16ELi32ELi32ELi8ELi32ELi8ELi8ELi32ELc78ELc84EKfS1_fEEvlllT_PT11_llS4_llS2_PT12_llPT13_lli,@function
_ZN12_GLOBAL__N_135rocblas_gemm_batched_general_kernelIfLi16ELi16ELi32ELi32ELi8ELi32ELi8ELi8ELi32ELc78ELc84EKfS1_fEEvlllT_PT11_llS4_llS2_PT12_llPT13_lli: ; @_ZN12_GLOBAL__N_135rocblas_gemm_batched_general_kernelIfLi16ELi16ELi32ELi32ELi8ELi32ELi8ELi8ELi32ELc78ELc84EKfS1_fEEvlllT_PT11_llS4_llS2_PT12_llPT13_lli
; %bb.0:
	s_clause 0x1
	s_load_dwordx2 s[28:29], s[4:5], 0x10
	s_load_dwordx4 s[20:23], s[4:5], 0x0
	s_mov_b32 s0, s7
	v_mov_b32_e32 v10, 0
	v_mov_b32_e32 v9, 0
	;; [unrolled: 1-line block ×4, first 2 shown]
	s_ashr_i32 s7, s6, 31
	s_ashr_i32 s1, s0, 31
	s_lshl_b64 s[10:11], s[6:7], 5
	s_waitcnt lgkmcnt(0)
	v_cmp_lt_i64_e64 s2, s[28:29], 1
	s_and_b32 vcc_lo, exec_lo, s2
	s_lshl_b64 s[2:3], s[0:1], 5
	s_cbranch_vccnz .LBB327_7
; %bb.1:
	s_clause 0x1
	s_load_dwordx4 s[24:27], s[4:5], 0x40
	s_load_dwordx8 s[12:19], s[4:5], 0x20
	v_lshl_add_u32 v2, v1, 4, v0
	v_and_b32_e32 v6, 7, v0
	v_mov_b32_e32 v3, s11
	s_lshl_b64 s[30:31], s[0:1], 7
	v_mov_b32_e32 v7, 0
	v_and_b32_e32 v4, 31, v2
	v_lshrrev_b32_e32 v13, 5, v2
	v_lshrrev_b32_e32 v10, 3, v2
	v_lshlrev_b32_e32 v14, 2, v6
	v_lshlrev_b32_e32 v11, 2, v0
	v_or_b32_e32 v2, s10, v4
	v_lshlrev_b32_e32 v18, 2, v4
	v_add_co_u32 v8, s0, v10, s2
	v_add_co_ci_u32_e64 v9, null, 0, s3, s0
	v_cmp_gt_i64_e64 s0, s[20:21], v[2:3]
	v_lshl_or_b32 v15, v10, 5, v14
	s_waitcnt lgkmcnt(0)
	v_mad_u64_u32 v[4:5], null, s24, v6, 0
	v_mad_u64_u32 v[16:17], null, s14, v13, 0
	s_mul_i32 s9, s27, s8
	s_mul_hi_u32 s27, s26, s8
	s_mul_i32 s26, s26, s8
	s_add_i32 s27, s27, s9
	v_mov_b32_e32 v2, v5
	s_lshl_b64 s[26:27], s[26:27], 2
	s_mul_i32 s17, s17, s8
	s_mul_hi_u32 s33, s16, s8
	s_add_u32 s9, s30, s26
	v_mad_u64_u32 v[2:3], null, s25, v6, v[2:3]
	v_mov_b32_e32 v3, v17
	s_mul_i32 s16, s16, s8
	s_addc_u32 s26, s31, s27
	s_add_i32 s17, s33, s17
	v_lshlrev_b32_e32 v10, 2, v10
	s_lshl_b64 s[16:17], s[16:17], 2
	v_mov_b32_e32 v5, v2
	v_mad_u64_u32 v[2:3], null, s15, v13, v[3:4]
	v_cmp_gt_i64_e64 s1, s[22:23], v[8:9]
	v_lshl_add_u32 v12, v1, 5, 0x400
	v_lshlrev_b64 v[3:4], 2, v[4:5]
	v_lshl_or_b32 v14, v13, 7, v18
	v_add_nc_u32_e32 v15, 0x400, v15
	v_mov_b32_e32 v17, v2
	v_add_co_u32 v5, vcc_lo, s9, v3
	v_add_co_ci_u32_e64 v4, null, s26, v4, vcc_lo
	v_lshlrev_b64 v[2:3], 2, v[16:17]
	s_lshl_b64 s[26:27], s[6:7], 7
	s_lshl_b64 s[6:7], s[24:25], 5
	s_add_u32 s9, s26, s16
	s_addc_u32 s16, s27, s17
	v_add_co_u32 v2, vcc_lo, s9, v2
	v_add_co_ci_u32_e64 v3, null, s16, v3, vcc_lo
	v_add_co_u32 v5, vcc_lo, v5, v10
	v_add_co_ci_u32_e64 v4, null, 0, v4, vcc_lo
	;; [unrolled: 2-line block ×5, first 2 shown]
	v_mov_b32_e32 v8, 0
	v_mov_b32_e32 v9, 0
	;; [unrolled: 1-line block ×3, first 2 shown]
	s_lshl_b64 s[12:13], s[14:15], 5
	s_mov_b64 s[14:15], 0
	s_branch .LBB327_3
.LBB327_2:                              ;   in Loop: Header=BB327_3 Depth=1
	s_or_b32 exec_lo, exec_lo, s9
	s_waitcnt vmcnt(0)
	ds_write_b32 v15, v17
	s_waitcnt lgkmcnt(0)
	s_barrier
	buffer_gl0_inv
	ds_read_b128 v[16:19], v12
	ds_read2_b32 v[32:33], v11 offset1:16
	ds_read_b128 v[20:23], v12 offset:512
	ds_read2_b32 v[34:35], v11 offset0:32 offset1:48
	ds_read2_b32 v[36:37], v11 offset0:64 offset1:80
	;; [unrolled: 1-line block ×3, first 2 shown]
	ds_read_b128 v[24:27], v12 offset:16
	ds_read2_b32 v[40:41], v11 offset0:128 offset1:144
	ds_read_b128 v[28:31], v12 offset:528
	ds_read2_b32 v[42:43], v11 offset0:160 offset1:176
	s_add_u32 s14, s14, 8
	s_addc_u32 s15, s15, 0
	v_add_co_u32 v2, vcc_lo, v2, s6
	v_cmp_lt_i64_e64 s9, s[14:15], s[28:29]
	v_add_co_ci_u32_e64 v3, null, s7, v3, vcc_lo
	v_add_co_u32 v4, vcc_lo, v4, s12
	v_add_co_ci_u32_e64 v5, null, s13, v5, vcc_lo
	s_waitcnt lgkmcnt(8)
	v_fmac_f32_e32 v10, v32, v16
	v_fmac_f32_e32 v9, v33, v16
	s_waitcnt lgkmcnt(7)
	v_fmac_f32_e32 v8, v32, v20
	v_fmac_f32_e32 v7, v33, v20
	ds_read2_b32 v[32:33], v11 offset0:192 offset1:208
	s_waitcnt lgkmcnt(7)
	v_fmac_f32_e32 v10, v34, v17
	v_fmac_f32_e32 v9, v35, v17
	;; [unrolled: 1-line block ×4, first 2 shown]
	ds_read2_b32 v[16:17], v11 offset0:224 offset1:240
	s_waitcnt lgkmcnt(7)
	v_fmac_f32_e32 v10, v36, v18
	v_fmac_f32_e32 v9, v37, v18
	;; [unrolled: 1-line block ×4, first 2 shown]
	s_and_b32 vcc_lo, exec_lo, s9
	s_waitcnt lgkmcnt(6)
	v_fmac_f32_e32 v10, v38, v19
	v_fmac_f32_e32 v9, v39, v19
	;; [unrolled: 1-line block ×4, first 2 shown]
	s_waitcnt lgkmcnt(0)
	v_fmac_f32_e32 v10, v40, v24
	v_fmac_f32_e32 v9, v41, v24
	;; [unrolled: 1-line block ×4, first 2 shown]
	s_barrier
	v_fmac_f32_e32 v10, v42, v25
	v_fmac_f32_e32 v9, v43, v25
	;; [unrolled: 1-line block ×4, first 2 shown]
	buffer_gl0_inv
	v_fmac_f32_e32 v10, v32, v26
	v_fmac_f32_e32 v9, v33, v26
	;; [unrolled: 1-line block ×8, first 2 shown]
	s_cbranch_vccz .LBB327_7
.LBB327_3:                              ; =>This Inner Loop Header: Depth=1
	v_add_co_u32 v16, s9, v13, s14
	v_add_co_ci_u32_e64 v17, null, 0, s15, s9
	v_cmp_gt_i64_e32 vcc_lo, s[28:29], v[16:17]
	v_mov_b32_e32 v16, 0
	s_and_b32 s16, s0, vcc_lo
	s_and_saveexec_b32 s9, s16
	s_cbranch_execz .LBB327_5
; %bb.4:                                ;   in Loop: Header=BB327_3 Depth=1
	global_load_dword v16, v[4:5], off
.LBB327_5:                              ;   in Loop: Header=BB327_3 Depth=1
	s_or_b32 exec_lo, exec_lo, s9
	v_add_co_u32 v17, s9, v6, s14
	v_add_co_ci_u32_e64 v18, null, 0, s15, s9
	s_waitcnt vmcnt(0)
	ds_write_b32 v14, v16
	v_cmp_gt_i64_e32 vcc_lo, s[28:29], v[17:18]
	v_mov_b32_e32 v17, 0
	s_and_b32 s16, vcc_lo, s1
	s_and_saveexec_b32 s9, s16
	s_cbranch_execz .LBB327_2
; %bb.6:                                ;   in Loop: Header=BB327_3 Depth=1
	global_load_dword v17, v[2:3], off
	s_branch .LBB327_2
.LBB327_7:
	s_clause 0x3
	s_load_dwordx4 s[24:27], s[4:5], 0x78
	s_load_dword s6, s[4:5], 0x50
	s_load_dwordx8 s[12:19], s[4:5], 0x58
	s_load_dword s4, s[4:5], 0x18
	v_add_co_u32 v1, s0, s2, v1
	v_add_co_ci_u32_e64 v2, null, s3, 0, s0
	s_waitcnt lgkmcnt(0)
	s_mul_i32 s1, s27, s8
	s_mul_hi_u32 s2, s26, s8
	s_mul_i32 s0, s26, s8
	s_add_i32 s1, s2, s1
	v_cmp_neq_f32_e64 s2, s6, 0
	s_lshl_b64 s[26:27], s[0:1], 2
	v_cmp_gt_i64_e64 s0, s[22:23], v[1:2]
	s_add_u32 s3, s18, s26
	s_addc_u32 s5, s19, s27
	s_and_b32 vcc_lo, exec_lo, s2
	s_cbranch_vccnz .LBB327_20
; %bb.8:
	s_and_saveexec_b32 s7, s0
	s_cbranch_execz .LBB327_18
; %bb.9:
	v_mul_lo_u32 v5, v2, s24
	v_mul_lo_u32 v6, v1, s25
	v_mad_u64_u32 v[3:4], null, v1, s24, 0
	v_add3_u32 v4, v4, v6, v5
	v_add_co_u32 v5, s1, s10, v0
	v_add_co_ci_u32_e64 v6, null, s11, 0, s1
	v_lshlrev_b64 v[11:12], 2, v[3:4]
	v_cmp_gt_i64_e32 vcc_lo, s[20:21], v[5:6]
	v_lshlrev_b64 v[3:4], 2, v[5:6]
	v_add_co_u32 v11, s1, s3, v11
	v_add_co_ci_u32_e64 v12, null, s5, v12, s1
	s_and_saveexec_b32 s2, vcc_lo
	s_cbranch_execz .LBB327_11
; %bb.10:
	v_add_co_u32 v13, s1, v11, v3
	v_add_co_ci_u32_e64 v14, null, v12, v4, s1
	v_mul_f32_e32 v15, s4, v10
	global_store_dword v[13:14], v15, off
.LBB327_11:
	s_or_b32 exec_lo, exec_lo, s2
	v_add_co_u32 v5, s1, v5, 16
	v_add_co_ci_u32_e64 v6, null, 0, v6, s1
	v_cmp_gt_i64_e64 s1, s[20:21], v[5:6]
	s_and_saveexec_b32 s9, s1
	s_cbranch_execz .LBB327_13
; %bb.12:
	v_add_co_u32 v5, s2, v11, v3
	v_add_co_ci_u32_e64 v6, null, v12, v4, s2
	v_mul_f32_e32 v13, s4, v9
	global_store_dword v[5:6], v13, off offset:64
.LBB327_13:
	s_or_b32 exec_lo, exec_lo, s9
	v_add_co_u32 v5, s2, v1, 16
	v_add_co_ci_u32_e64 v6, null, 0, v2, s2
	v_cmp_gt_i64_e64 s2, s[22:23], v[5:6]
	s_and_b32 exec_lo, exec_lo, s2
	s_cbranch_execz .LBB327_18
; %bb.14:
	s_lshl_b64 s[18:19], s[24:25], 6
	v_add_co_u32 v5, s2, v11, s18
	v_add_co_ci_u32_e64 v6, null, s19, v12, s2
	v_add_co_u32 v3, s2, v5, v3
	v_add_co_ci_u32_e64 v4, null, v6, v4, s2
	s_and_saveexec_b32 s2, vcc_lo
	s_cbranch_execz .LBB327_16
; %bb.15:
	v_mul_f32_e32 v5, s4, v8
	global_store_dword v[3:4], v5, off
.LBB327_16:
	s_or_b32 exec_lo, exec_lo, s2
	s_and_b32 exec_lo, exec_lo, s1
	s_cbranch_execz .LBB327_18
; %bb.17:
	v_mul_f32_e32 v5, s4, v7
	global_store_dword v[3:4], v5, off offset:64
.LBB327_18:
	s_or_b32 exec_lo, exec_lo, s7
	s_cbranch_execz .LBB327_21
.LBB327_19:
	s_endpgm
.LBB327_20:
.LBB327_21:
	s_and_saveexec_b32 s1, s0
	s_cbranch_execz .LBB327_19
; %bb.22:
	v_mul_lo_u32 v5, v2, s14
	v_mul_lo_u32 v6, v1, s15
	v_mad_u64_u32 v[3:4], null, v1, s14, 0
	v_mul_lo_u32 v13, v2, s24
	v_mul_lo_u32 v14, v1, s25
	v_mad_u64_u32 v[11:12], null, v1, s24, 0
	s_mul_i32 s0, s17, s8
	s_mul_hi_u32 s1, s16, s8
	v_add3_u32 v4, v4, v6, v5
	s_add_i32 s1, s1, s0
	s_mul_i32 s0, s16, s8
	v_add_co_u32 v5, s2, s10, v0
	v_add3_u32 v12, v12, v14, v13
	v_lshlrev_b64 v[3:4], 2, v[3:4]
	s_lshl_b64 s[0:1], s[0:1], 2
	v_add_co_ci_u32_e64 v6, null, s11, 0, s2
	v_lshlrev_b64 v[12:13], 2, v[11:12]
	s_add_u32 s0, s12, s0
	s_addc_u32 s1, s13, s1
	v_add_co_u32 v0, s0, s0, v3
	v_add_co_ci_u32_e64 v11, null, s1, v4, s0
	v_add_co_u32 v12, s0, s3, v12
	v_cmp_gt_i64_e32 vcc_lo, s[20:21], v[5:6]
	v_lshlrev_b64 v[3:4], 2, v[5:6]
	v_add_co_ci_u32_e64 v13, null, s5, v13, s0
	s_and_saveexec_b32 s1, vcc_lo
	s_cbranch_execz .LBB327_24
; %bb.23:
	v_add_co_u32 v14, s0, v0, v3
	v_add_co_ci_u32_e64 v15, null, v11, v4, s0
	global_load_dword v14, v[14:15], off
	s_waitcnt vmcnt(0)
	v_mul_f32_e32 v16, s6, v14
	v_add_co_u32 v14, s0, v12, v3
	v_add_co_ci_u32_e64 v15, null, v13, v4, s0
	v_fmac_f32_e32 v16, s4, v10
	global_store_dword v[14:15], v16, off
.LBB327_24:
	s_or_b32 exec_lo, exec_lo, s1
	v_add_co_u32 v5, s0, v5, 16
	v_add_co_ci_u32_e64 v6, null, 0, v6, s0
	v_cmp_gt_i64_e64 s0, s[20:21], v[5:6]
	s_and_saveexec_b32 s2, s0
	s_cbranch_execz .LBB327_26
; %bb.25:
	v_add_co_u32 v5, s1, v0, v3
	v_add_co_ci_u32_e64 v6, null, v11, v4, s1
	global_load_dword v5, v[5:6], off offset:64
	s_waitcnt vmcnt(0)
	v_mul_f32_e32 v10, s6, v5
	v_add_co_u32 v5, s1, v12, v3
	v_add_co_ci_u32_e64 v6, null, v13, v4, s1
	v_fmac_f32_e32 v10, s4, v9
	global_store_dword v[5:6], v10, off offset:64
.LBB327_26:
	s_or_b32 exec_lo, exec_lo, s2
	v_add_co_u32 v1, s1, v1, 16
	v_add_co_ci_u32_e64 v2, null, 0, v2, s1
	v_cmp_gt_i64_e64 s1, s[22:23], v[1:2]
	s_and_b32 exec_lo, exec_lo, s1
	s_cbranch_execz .LBB327_19
; %bb.27:
	s_lshl_b64 s[2:3], s[14:15], 6
	v_add_co_u32 v0, s1, v0, s2
	v_add_co_ci_u32_e64 v1, null, s3, v11, s1
	s_lshl_b64 s[2:3], s[24:25], 6
	v_add_co_u32 v2, s1, v12, s2
	v_add_co_ci_u32_e64 v5, null, s3, v13, s1
	v_add_co_u32 v0, s1, v0, v3
	v_add_co_ci_u32_e64 v1, null, v1, v4, s1
	;; [unrolled: 2-line block ×3, first 2 shown]
	s_and_saveexec_b32 s1, vcc_lo
	s_cbranch_execz .LBB327_29
; %bb.28:
	global_load_dword v4, v[0:1], off
	s_waitcnt vmcnt(0)
	v_mul_f32_e32 v4, s6, v4
	v_fmac_f32_e32 v4, s4, v8
	global_store_dword v[2:3], v4, off
.LBB327_29:
	s_or_b32 exec_lo, exec_lo, s1
	s_and_b32 exec_lo, exec_lo, s0
	s_cbranch_execz .LBB327_19
; %bb.30:
	global_load_dword v0, v[0:1], off offset:64
	s_waitcnt vmcnt(0)
	v_mul_f32_e32 v0, s6, v0
	v_fmac_f32_e32 v0, s4, v7
	global_store_dword v[2:3], v0, off offset:64
	s_endpgm
	.section	.rodata,"a",@progbits
	.p2align	6, 0x0
	.amdhsa_kernel _ZN12_GLOBAL__N_135rocblas_gemm_batched_general_kernelIfLi16ELi16ELi32ELi32ELi8ELi32ELi8ELi8ELi32ELc78ELc84EKfS1_fEEvlllT_PT11_llS4_llS2_PT12_llPT13_lli
		.amdhsa_group_segment_fixed_size 2048
		.amdhsa_private_segment_fixed_size 0
		.amdhsa_kernarg_size 140
		.amdhsa_user_sgpr_count 6
		.amdhsa_user_sgpr_private_segment_buffer 1
		.amdhsa_user_sgpr_dispatch_ptr 0
		.amdhsa_user_sgpr_queue_ptr 0
		.amdhsa_user_sgpr_kernarg_segment_ptr 1
		.amdhsa_user_sgpr_dispatch_id 0
		.amdhsa_user_sgpr_flat_scratch_init 0
		.amdhsa_user_sgpr_private_segment_size 0
		.amdhsa_wavefront_size32 1
		.amdhsa_uses_dynamic_stack 0
		.amdhsa_system_sgpr_private_segment_wavefront_offset 0
		.amdhsa_system_sgpr_workgroup_id_x 1
		.amdhsa_system_sgpr_workgroup_id_y 1
		.amdhsa_system_sgpr_workgroup_id_z 1
		.amdhsa_system_sgpr_workgroup_info 0
		.amdhsa_system_vgpr_workitem_id 1
		.amdhsa_next_free_vgpr 44
		.amdhsa_next_free_sgpr 34
		.amdhsa_reserve_vcc 1
		.amdhsa_reserve_flat_scratch 0
		.amdhsa_float_round_mode_32 0
		.amdhsa_float_round_mode_16_64 0
		.amdhsa_float_denorm_mode_32 3
		.amdhsa_float_denorm_mode_16_64 3
		.amdhsa_dx10_clamp 1
		.amdhsa_ieee_mode 1
		.amdhsa_fp16_overflow 0
		.amdhsa_workgroup_processor_mode 1
		.amdhsa_memory_ordered 1
		.amdhsa_forward_progress 1
		.amdhsa_shared_vgpr_count 0
		.amdhsa_exception_fp_ieee_invalid_op 0
		.amdhsa_exception_fp_denorm_src 0
		.amdhsa_exception_fp_ieee_div_zero 0
		.amdhsa_exception_fp_ieee_overflow 0
		.amdhsa_exception_fp_ieee_underflow 0
		.amdhsa_exception_fp_ieee_inexact 0
		.amdhsa_exception_int_div_zero 0
	.end_amdhsa_kernel
	.section	.text._ZN12_GLOBAL__N_135rocblas_gemm_batched_general_kernelIfLi16ELi16ELi32ELi32ELi8ELi32ELi8ELi8ELi32ELc78ELc84EKfS1_fEEvlllT_PT11_llS4_llS2_PT12_llPT13_lli,"axG",@progbits,_ZN12_GLOBAL__N_135rocblas_gemm_batched_general_kernelIfLi16ELi16ELi32ELi32ELi8ELi32ELi8ELi8ELi32ELc78ELc84EKfS1_fEEvlllT_PT11_llS4_llS2_PT12_llPT13_lli,comdat
.Lfunc_end327:
	.size	_ZN12_GLOBAL__N_135rocblas_gemm_batched_general_kernelIfLi16ELi16ELi32ELi32ELi8ELi32ELi8ELi8ELi32ELc78ELc84EKfS1_fEEvlllT_PT11_llS4_llS2_PT12_llPT13_lli, .Lfunc_end327-_ZN12_GLOBAL__N_135rocblas_gemm_batched_general_kernelIfLi16ELi16ELi32ELi32ELi8ELi32ELi8ELi8ELi32ELc78ELc84EKfS1_fEEvlllT_PT11_llS4_llS2_PT12_llPT13_lli
                                        ; -- End function
	.set _ZN12_GLOBAL__N_135rocblas_gemm_batched_general_kernelIfLi16ELi16ELi32ELi32ELi8ELi32ELi8ELi8ELi32ELc78ELc84EKfS1_fEEvlllT_PT11_llS4_llS2_PT12_llPT13_lli.num_vgpr, 44
	.set _ZN12_GLOBAL__N_135rocblas_gemm_batched_general_kernelIfLi16ELi16ELi32ELi32ELi8ELi32ELi8ELi8ELi32ELc78ELc84EKfS1_fEEvlllT_PT11_llS4_llS2_PT12_llPT13_lli.num_agpr, 0
	.set _ZN12_GLOBAL__N_135rocblas_gemm_batched_general_kernelIfLi16ELi16ELi32ELi32ELi8ELi32ELi8ELi8ELi32ELc78ELc84EKfS1_fEEvlllT_PT11_llS4_llS2_PT12_llPT13_lli.numbered_sgpr, 34
	.set _ZN12_GLOBAL__N_135rocblas_gemm_batched_general_kernelIfLi16ELi16ELi32ELi32ELi8ELi32ELi8ELi8ELi32ELc78ELc84EKfS1_fEEvlllT_PT11_llS4_llS2_PT12_llPT13_lli.num_named_barrier, 0
	.set _ZN12_GLOBAL__N_135rocblas_gemm_batched_general_kernelIfLi16ELi16ELi32ELi32ELi8ELi32ELi8ELi8ELi32ELc78ELc84EKfS1_fEEvlllT_PT11_llS4_llS2_PT12_llPT13_lli.private_seg_size, 0
	.set _ZN12_GLOBAL__N_135rocblas_gemm_batched_general_kernelIfLi16ELi16ELi32ELi32ELi8ELi32ELi8ELi8ELi32ELc78ELc84EKfS1_fEEvlllT_PT11_llS4_llS2_PT12_llPT13_lli.uses_vcc, 1
	.set _ZN12_GLOBAL__N_135rocblas_gemm_batched_general_kernelIfLi16ELi16ELi32ELi32ELi8ELi32ELi8ELi8ELi32ELc78ELc84EKfS1_fEEvlllT_PT11_llS4_llS2_PT12_llPT13_lli.uses_flat_scratch, 0
	.set _ZN12_GLOBAL__N_135rocblas_gemm_batched_general_kernelIfLi16ELi16ELi32ELi32ELi8ELi32ELi8ELi8ELi32ELc78ELc84EKfS1_fEEvlllT_PT11_llS4_llS2_PT12_llPT13_lli.has_dyn_sized_stack, 0
	.set _ZN12_GLOBAL__N_135rocblas_gemm_batched_general_kernelIfLi16ELi16ELi32ELi32ELi8ELi32ELi8ELi8ELi32ELc78ELc84EKfS1_fEEvlllT_PT11_llS4_llS2_PT12_llPT13_lli.has_recursion, 0
	.set _ZN12_GLOBAL__N_135rocblas_gemm_batched_general_kernelIfLi16ELi16ELi32ELi32ELi8ELi32ELi8ELi8ELi32ELc78ELc84EKfS1_fEEvlllT_PT11_llS4_llS2_PT12_llPT13_lli.has_indirect_call, 0
	.section	.AMDGPU.csdata,"",@progbits
; Kernel info:
; codeLenInByte = 1884
; TotalNumSgprs: 36
; NumVgprs: 44
; ScratchSize: 0
; MemoryBound: 0
; FloatMode: 240
; IeeeMode: 1
; LDSByteSize: 2048 bytes/workgroup (compile time only)
; SGPRBlocks: 0
; VGPRBlocks: 5
; NumSGPRsForWavesPerEU: 36
; NumVGPRsForWavesPerEU: 44
; Occupancy: 16
; WaveLimiterHint : 0
; COMPUTE_PGM_RSRC2:SCRATCH_EN: 0
; COMPUTE_PGM_RSRC2:USER_SGPR: 6
; COMPUTE_PGM_RSRC2:TRAP_HANDLER: 0
; COMPUTE_PGM_RSRC2:TGID_X_EN: 1
; COMPUTE_PGM_RSRC2:TGID_Y_EN: 1
; COMPUTE_PGM_RSRC2:TGID_Z_EN: 1
; COMPUTE_PGM_RSRC2:TIDIG_COMP_CNT: 1
	.section	.text._ZN12_GLOBAL__N_135rocblas_gemm_batched_general_kernelIfLi16ELi16ELi32ELi32ELi8ELi32ELi8ELi8ELi32ELc84ELc84EKfS1_fEEvlllT_PT11_llS4_llS2_PT12_llPT13_lli,"axG",@progbits,_ZN12_GLOBAL__N_135rocblas_gemm_batched_general_kernelIfLi16ELi16ELi32ELi32ELi8ELi32ELi8ELi8ELi32ELc84ELc84EKfS1_fEEvlllT_PT11_llS4_llS2_PT12_llPT13_lli,comdat
	.globl	_ZN12_GLOBAL__N_135rocblas_gemm_batched_general_kernelIfLi16ELi16ELi32ELi32ELi8ELi32ELi8ELi8ELi32ELc84ELc84EKfS1_fEEvlllT_PT11_llS4_llS2_PT12_llPT13_lli ; -- Begin function _ZN12_GLOBAL__N_135rocblas_gemm_batched_general_kernelIfLi16ELi16ELi32ELi32ELi8ELi32ELi8ELi8ELi32ELc84ELc84EKfS1_fEEvlllT_PT11_llS4_llS2_PT12_llPT13_lli
	.p2align	8
	.type	_ZN12_GLOBAL__N_135rocblas_gemm_batched_general_kernelIfLi16ELi16ELi32ELi32ELi8ELi32ELi8ELi8ELi32ELc84ELc84EKfS1_fEEvlllT_PT11_llS4_llS2_PT12_llPT13_lli,@function
_ZN12_GLOBAL__N_135rocblas_gemm_batched_general_kernelIfLi16ELi16ELi32ELi32ELi8ELi32ELi8ELi8ELi32ELc84ELc84EKfS1_fEEvlllT_PT11_llS4_llS2_PT12_llPT13_lli: ; @_ZN12_GLOBAL__N_135rocblas_gemm_batched_general_kernelIfLi16ELi16ELi32ELi32ELi8ELi32ELi8ELi8ELi32ELc84ELc84EKfS1_fEEvlllT_PT11_llS4_llS2_PT12_llPT13_lli
; %bb.0:
	s_clause 0x1
	s_load_dwordx2 s[10:11], s[4:5], 0x10
	s_load_dwordx4 s[20:23], s[4:5], 0x0
	s_mov_b32 s0, s7
	v_mov_b32_e32 v10, 0
	v_mov_b32_e32 v9, 0
	;; [unrolled: 1-line block ×4, first 2 shown]
	s_ashr_i32 s7, s6, 31
	s_ashr_i32 s1, s0, 31
	s_lshl_b64 s[6:7], s[6:7], 5
	s_waitcnt lgkmcnt(0)
	v_cmp_lt_i64_e64 s2, s[10:11], 1
	s_and_b32 vcc_lo, exec_lo, s2
	s_lshl_b64 s[2:3], s[0:1], 5
	s_cbranch_vccnz .LBB328_7
; %bb.1:
	s_clause 0x1
	s_load_dwordx4 s[24:27], s[4:5], 0x40
	s_load_dwordx8 s[12:19], s[4:5], 0x20
	v_lshl_add_u32 v2, v1, 4, v0
	v_and_b32_e32 v6, 7, v0
	v_mov_b32_e32 v3, s7
	s_lshl_b64 s[28:29], s[0:1], 7
	v_mov_b32_e32 v7, 0
	v_and_b32_e32 v14, 31, v2
	v_lshrrev_b32_e32 v10, 3, v2
	v_lshrrev_b32_e32 v13, 5, v2
	v_lshlrev_b32_e32 v15, 2, v6
	v_lshlrev_b32_e32 v11, 2, v0
	v_or_b32_e32 v2, s6, v14
	v_add_co_u32 v8, s0, v10, s2
	v_add_co_ci_u32_e64 v9, null, 0, s3, s0
	v_add_co_u32 v17, s0, s6, v14
	v_add_co_ci_u32_e64 v18, null, s7, 0, s0
	s_waitcnt lgkmcnt(0)
	v_mad_u64_u32 v[4:5], null, s24, v6, 0
	v_cmp_gt_i64_e64 s0, s[20:21], v[2:3]
	v_cmp_gt_i64_e64 s1, s[22:23], v[8:9]
	v_mul_lo_u32 v8, s15, v17
	v_mul_lo_u32 v9, s14, v18
	s_mul_i32 s9, s27, s8
	s_mul_hi_u32 s27, s26, s8
	v_mad_u64_u32 v[2:3], null, s25, v6, v[5:6]
	s_mul_i32 s26, s26, s8
	s_add_i32 s27, s27, s9
	s_mul_i32 s9, s17, s8
	s_mul_hi_u32 s17, s16, s8
	v_lshlrev_b32_e32 v16, 2, v14
	v_lshl_or_b32 v15, v10, 5, v15
	v_mov_b32_e32 v5, v2
	v_mad_u64_u32 v[2:3], null, s14, v17, 0
	s_lshl_b64 s[14:15], s[26:27], 2
	v_lshl_add_u32 v12, v1, 5, 0x400
	v_lshlrev_b64 v[4:5], 2, v[4:5]
	s_add_u32 s14, s28, s14
	s_addc_u32 s15, s29, s15
	v_lshl_or_b32 v14, v13, 7, v16
	v_add3_u32 v3, v3, v9, v8
	v_lshlrev_b32_e32 v8, 2, v10
	v_add_co_u32 v4, vcc_lo, s14, v4
	v_add_co_ci_u32_e64 v5, null, s15, v5, vcc_lo
	v_lshlrev_b64 v[2:3], 2, v[2:3]
	s_add_i32 s15, s17, s9
	s_mul_i32 s14, s16, s8
	v_lshlrev_b32_e32 v9, 2, v13
	s_lshl_b64 s[14:15], s[14:15], 2
	v_add_nc_u32_e32 v15, 0x400, v15
	v_add_co_u32 v2, vcc_lo, v2, s14
	v_add_co_ci_u32_e64 v3, null, s15, v3, vcc_lo
	v_add_co_u32 v4, vcc_lo, v4, v8
	v_add_co_ci_u32_e64 v5, null, 0, v5, vcc_lo
	;; [unrolled: 2-line block ×5, first 2 shown]
	v_mov_b32_e32 v8, 0
	v_mov_b32_e32 v9, 0
	;; [unrolled: 1-line block ×3, first 2 shown]
	s_lshl_b64 s[12:13], s[24:25], 5
	s_mov_b64 s[14:15], 0
	s_branch .LBB328_3
.LBB328_2:                              ;   in Loop: Header=BB328_3 Depth=1
	s_or_b32 exec_lo, exec_lo, s9
	s_waitcnt vmcnt(0)
	ds_write_b32 v15, v17
	s_waitcnt lgkmcnt(0)
	s_barrier
	buffer_gl0_inv
	ds_read_b128 v[16:19], v12
	ds_read2_b32 v[32:33], v11 offset1:16
	ds_read_b128 v[20:23], v12 offset:512
	ds_read2_b32 v[34:35], v11 offset0:32 offset1:48
	ds_read2_b32 v[36:37], v11 offset0:64 offset1:80
	;; [unrolled: 1-line block ×3, first 2 shown]
	ds_read_b128 v[24:27], v12 offset:16
	ds_read2_b32 v[40:41], v11 offset0:128 offset1:144
	ds_read_b128 v[28:31], v12 offset:528
	ds_read2_b32 v[42:43], v11 offset0:160 offset1:176
	s_add_u32 s14, s14, 8
	s_addc_u32 s15, s15, 0
	v_add_co_u32 v2, vcc_lo, v2, s12
	v_cmp_lt_i64_e64 s9, s[14:15], s[10:11]
	v_add_co_ci_u32_e64 v3, null, s13, v3, vcc_lo
	v_add_co_u32 v4, vcc_lo, v4, 32
	v_add_co_ci_u32_e64 v5, null, 0, v5, vcc_lo
	s_waitcnt lgkmcnt(8)
	v_fmac_f32_e32 v10, v32, v16
	v_fmac_f32_e32 v9, v33, v16
	s_waitcnt lgkmcnt(7)
	v_fmac_f32_e32 v8, v32, v20
	v_fmac_f32_e32 v7, v33, v20
	ds_read2_b32 v[32:33], v11 offset0:192 offset1:208
	s_waitcnt lgkmcnt(7)
	v_fmac_f32_e32 v10, v34, v17
	v_fmac_f32_e32 v9, v35, v17
	;; [unrolled: 1-line block ×4, first 2 shown]
	ds_read2_b32 v[16:17], v11 offset0:224 offset1:240
	s_waitcnt lgkmcnt(7)
	v_fmac_f32_e32 v10, v36, v18
	v_fmac_f32_e32 v9, v37, v18
	;; [unrolled: 1-line block ×4, first 2 shown]
	s_and_b32 vcc_lo, exec_lo, s9
	s_waitcnt lgkmcnt(6)
	v_fmac_f32_e32 v10, v38, v19
	v_fmac_f32_e32 v9, v39, v19
	;; [unrolled: 1-line block ×4, first 2 shown]
	s_waitcnt lgkmcnt(0)
	v_fmac_f32_e32 v10, v40, v24
	v_fmac_f32_e32 v9, v41, v24
	;; [unrolled: 1-line block ×4, first 2 shown]
	s_barrier
	v_fmac_f32_e32 v10, v42, v25
	v_fmac_f32_e32 v9, v43, v25
	;; [unrolled: 1-line block ×4, first 2 shown]
	buffer_gl0_inv
	v_fmac_f32_e32 v10, v32, v26
	v_fmac_f32_e32 v9, v33, v26
	;; [unrolled: 1-line block ×8, first 2 shown]
	s_cbranch_vccz .LBB328_7
.LBB328_3:                              ; =>This Inner Loop Header: Depth=1
	v_add_co_u32 v16, s9, v13, s14
	v_add_co_ci_u32_e64 v17, null, 0, s15, s9
	v_cmp_gt_i64_e32 vcc_lo, s[10:11], v[16:17]
	v_mov_b32_e32 v16, 0
	s_and_b32 s16, s0, vcc_lo
	s_and_saveexec_b32 s9, s16
	s_cbranch_execz .LBB328_5
; %bb.4:                                ;   in Loop: Header=BB328_3 Depth=1
	global_load_dword v16, v[4:5], off
.LBB328_5:                              ;   in Loop: Header=BB328_3 Depth=1
	s_or_b32 exec_lo, exec_lo, s9
	v_add_co_u32 v17, s9, v6, s14
	v_add_co_ci_u32_e64 v18, null, 0, s15, s9
	s_waitcnt vmcnt(0)
	ds_write_b32 v14, v16
	v_cmp_gt_i64_e32 vcc_lo, s[10:11], v[17:18]
	v_mov_b32_e32 v17, 0
	s_and_b32 s16, vcc_lo, s1
	s_and_saveexec_b32 s9, s16
	s_cbranch_execz .LBB328_2
; %bb.6:                                ;   in Loop: Header=BB328_3 Depth=1
	global_load_dword v17, v[2:3], off
	s_branch .LBB328_2
.LBB328_7:
	s_clause 0x3
	s_load_dwordx4 s[24:27], s[4:5], 0x78
	s_load_dword s9, s[4:5], 0x50
	s_load_dwordx8 s[12:19], s[4:5], 0x58
	s_load_dword s4, s[4:5], 0x18
	v_add_co_u32 v1, s0, s2, v1
	v_add_co_ci_u32_e64 v2, null, s3, 0, s0
	s_waitcnt lgkmcnt(0)
	s_mul_i32 s1, s27, s8
	s_mul_hi_u32 s2, s26, s8
	s_mul_i32 s0, s26, s8
	s_add_i32 s1, s2, s1
	v_cmp_neq_f32_e64 s2, s9, 0
	s_lshl_b64 s[10:11], s[0:1], 2
	v_cmp_gt_i64_e64 s0, s[22:23], v[1:2]
	s_add_u32 s3, s18, s10
	s_addc_u32 s5, s19, s11
	s_and_b32 vcc_lo, exec_lo, s2
	s_cbranch_vccnz .LBB328_20
; %bb.8:
	s_and_saveexec_b32 s10, s0
	s_cbranch_execz .LBB328_18
; %bb.9:
	v_mul_lo_u32 v5, v2, s24
	v_mul_lo_u32 v6, v1, s25
	v_mad_u64_u32 v[3:4], null, v1, s24, 0
	v_add3_u32 v4, v4, v6, v5
	v_add_co_u32 v5, s1, s6, v0
	v_add_co_ci_u32_e64 v6, null, s7, 0, s1
	v_lshlrev_b64 v[11:12], 2, v[3:4]
	v_cmp_gt_i64_e32 vcc_lo, s[20:21], v[5:6]
	v_lshlrev_b64 v[3:4], 2, v[5:6]
	v_add_co_u32 v11, s1, s3, v11
	v_add_co_ci_u32_e64 v12, null, s5, v12, s1
	s_and_saveexec_b32 s2, vcc_lo
	s_cbranch_execz .LBB328_11
; %bb.10:
	v_add_co_u32 v13, s1, v11, v3
	v_add_co_ci_u32_e64 v14, null, v12, v4, s1
	v_mul_f32_e32 v15, s4, v10
	global_store_dword v[13:14], v15, off
.LBB328_11:
	s_or_b32 exec_lo, exec_lo, s2
	v_add_co_u32 v5, s1, v5, 16
	v_add_co_ci_u32_e64 v6, null, 0, v6, s1
	v_cmp_gt_i64_e64 s1, s[20:21], v[5:6]
	s_and_saveexec_b32 s11, s1
	s_cbranch_execz .LBB328_13
; %bb.12:
	v_add_co_u32 v5, s2, v11, v3
	v_add_co_ci_u32_e64 v6, null, v12, v4, s2
	v_mul_f32_e32 v13, s4, v9
	global_store_dword v[5:6], v13, off offset:64
.LBB328_13:
	s_or_b32 exec_lo, exec_lo, s11
	v_add_co_u32 v5, s2, v1, 16
	v_add_co_ci_u32_e64 v6, null, 0, v2, s2
	v_cmp_gt_i64_e64 s2, s[22:23], v[5:6]
	s_and_b32 exec_lo, exec_lo, s2
	s_cbranch_execz .LBB328_18
; %bb.14:
	s_lshl_b64 s[18:19], s[24:25], 6
	v_add_co_u32 v5, s2, v11, s18
	v_add_co_ci_u32_e64 v6, null, s19, v12, s2
	v_add_co_u32 v3, s2, v5, v3
	v_add_co_ci_u32_e64 v4, null, v6, v4, s2
	s_and_saveexec_b32 s2, vcc_lo
	s_cbranch_execz .LBB328_16
; %bb.15:
	v_mul_f32_e32 v5, s4, v8
	global_store_dword v[3:4], v5, off
.LBB328_16:
	s_or_b32 exec_lo, exec_lo, s2
	s_and_b32 exec_lo, exec_lo, s1
	s_cbranch_execz .LBB328_18
; %bb.17:
	v_mul_f32_e32 v5, s4, v7
	global_store_dword v[3:4], v5, off offset:64
.LBB328_18:
	s_or_b32 exec_lo, exec_lo, s10
	s_cbranch_execz .LBB328_21
.LBB328_19:
	s_endpgm
.LBB328_20:
.LBB328_21:
	s_and_saveexec_b32 s1, s0
	s_cbranch_execz .LBB328_19
; %bb.22:
	v_mul_lo_u32 v5, v2, s14
	v_mul_lo_u32 v6, v1, s15
	v_mad_u64_u32 v[3:4], null, v1, s14, 0
	v_mul_lo_u32 v13, v2, s24
	v_mul_lo_u32 v14, v1, s25
	v_mad_u64_u32 v[11:12], null, v1, s24, 0
	s_mul_i32 s0, s17, s8
	s_mul_hi_u32 s1, s16, s8
	v_add3_u32 v4, v4, v6, v5
	s_add_i32 s1, s1, s0
	s_mul_i32 s0, s16, s8
	v_add_co_u32 v5, s2, s6, v0
	v_add3_u32 v12, v12, v14, v13
	v_lshlrev_b64 v[3:4], 2, v[3:4]
	s_lshl_b64 s[0:1], s[0:1], 2
	v_add_co_ci_u32_e64 v6, null, s7, 0, s2
	v_lshlrev_b64 v[12:13], 2, v[11:12]
	s_add_u32 s0, s12, s0
	s_addc_u32 s1, s13, s1
	v_add_co_u32 v0, s0, s0, v3
	v_add_co_ci_u32_e64 v11, null, s1, v4, s0
	v_add_co_u32 v12, s0, s3, v12
	v_cmp_gt_i64_e32 vcc_lo, s[20:21], v[5:6]
	v_lshlrev_b64 v[3:4], 2, v[5:6]
	v_add_co_ci_u32_e64 v13, null, s5, v13, s0
	s_and_saveexec_b32 s1, vcc_lo
	s_cbranch_execz .LBB328_24
; %bb.23:
	v_add_co_u32 v14, s0, v0, v3
	v_add_co_ci_u32_e64 v15, null, v11, v4, s0
	global_load_dword v14, v[14:15], off
	s_waitcnt vmcnt(0)
	v_mul_f32_e32 v16, s9, v14
	v_add_co_u32 v14, s0, v12, v3
	v_add_co_ci_u32_e64 v15, null, v13, v4, s0
	v_fmac_f32_e32 v16, s4, v10
	global_store_dword v[14:15], v16, off
.LBB328_24:
	s_or_b32 exec_lo, exec_lo, s1
	v_add_co_u32 v5, s0, v5, 16
	v_add_co_ci_u32_e64 v6, null, 0, v6, s0
	v_cmp_gt_i64_e64 s0, s[20:21], v[5:6]
	s_and_saveexec_b32 s2, s0
	s_cbranch_execz .LBB328_26
; %bb.25:
	v_add_co_u32 v5, s1, v0, v3
	v_add_co_ci_u32_e64 v6, null, v11, v4, s1
	global_load_dword v5, v[5:6], off offset:64
	s_waitcnt vmcnt(0)
	v_mul_f32_e32 v10, s9, v5
	v_add_co_u32 v5, s1, v12, v3
	v_add_co_ci_u32_e64 v6, null, v13, v4, s1
	v_fmac_f32_e32 v10, s4, v9
	global_store_dword v[5:6], v10, off offset:64
.LBB328_26:
	s_or_b32 exec_lo, exec_lo, s2
	v_add_co_u32 v1, s1, v1, 16
	v_add_co_ci_u32_e64 v2, null, 0, v2, s1
	v_cmp_gt_i64_e64 s1, s[22:23], v[1:2]
	s_and_b32 exec_lo, exec_lo, s1
	s_cbranch_execz .LBB328_19
; %bb.27:
	s_lshl_b64 s[2:3], s[14:15], 6
	v_add_co_u32 v0, s1, v0, s2
	v_add_co_ci_u32_e64 v1, null, s3, v11, s1
	s_lshl_b64 s[2:3], s[24:25], 6
	v_add_co_u32 v2, s1, v12, s2
	v_add_co_ci_u32_e64 v5, null, s3, v13, s1
	v_add_co_u32 v0, s1, v0, v3
	v_add_co_ci_u32_e64 v1, null, v1, v4, s1
	;; [unrolled: 2-line block ×3, first 2 shown]
	s_and_saveexec_b32 s1, vcc_lo
	s_cbranch_execz .LBB328_29
; %bb.28:
	global_load_dword v4, v[0:1], off
	s_waitcnt vmcnt(0)
	v_mul_f32_e32 v4, s9, v4
	v_fmac_f32_e32 v4, s4, v8
	global_store_dword v[2:3], v4, off
.LBB328_29:
	s_or_b32 exec_lo, exec_lo, s1
	s_and_b32 exec_lo, exec_lo, s0
	s_cbranch_execz .LBB328_19
; %bb.30:
	global_load_dword v0, v[0:1], off offset:64
	s_waitcnt vmcnt(0)
	v_mul_f32_e32 v0, s9, v0
	v_fmac_f32_e32 v0, s4, v7
	global_store_dword v[2:3], v0, off offset:64
	s_endpgm
	.section	.rodata,"a",@progbits
	.p2align	6, 0x0
	.amdhsa_kernel _ZN12_GLOBAL__N_135rocblas_gemm_batched_general_kernelIfLi16ELi16ELi32ELi32ELi8ELi32ELi8ELi8ELi32ELc84ELc84EKfS1_fEEvlllT_PT11_llS4_llS2_PT12_llPT13_lli
		.amdhsa_group_segment_fixed_size 2048
		.amdhsa_private_segment_fixed_size 0
		.amdhsa_kernarg_size 140
		.amdhsa_user_sgpr_count 6
		.amdhsa_user_sgpr_private_segment_buffer 1
		.amdhsa_user_sgpr_dispatch_ptr 0
		.amdhsa_user_sgpr_queue_ptr 0
		.amdhsa_user_sgpr_kernarg_segment_ptr 1
		.amdhsa_user_sgpr_dispatch_id 0
		.amdhsa_user_sgpr_flat_scratch_init 0
		.amdhsa_user_sgpr_private_segment_size 0
		.amdhsa_wavefront_size32 1
		.amdhsa_uses_dynamic_stack 0
		.amdhsa_system_sgpr_private_segment_wavefront_offset 0
		.amdhsa_system_sgpr_workgroup_id_x 1
		.amdhsa_system_sgpr_workgroup_id_y 1
		.amdhsa_system_sgpr_workgroup_id_z 1
		.amdhsa_system_sgpr_workgroup_info 0
		.amdhsa_system_vgpr_workitem_id 1
		.amdhsa_next_free_vgpr 44
		.amdhsa_next_free_sgpr 30
		.amdhsa_reserve_vcc 1
		.amdhsa_reserve_flat_scratch 0
		.amdhsa_float_round_mode_32 0
		.amdhsa_float_round_mode_16_64 0
		.amdhsa_float_denorm_mode_32 3
		.amdhsa_float_denorm_mode_16_64 3
		.amdhsa_dx10_clamp 1
		.amdhsa_ieee_mode 1
		.amdhsa_fp16_overflow 0
		.amdhsa_workgroup_processor_mode 1
		.amdhsa_memory_ordered 1
		.amdhsa_forward_progress 1
		.amdhsa_shared_vgpr_count 0
		.amdhsa_exception_fp_ieee_invalid_op 0
		.amdhsa_exception_fp_denorm_src 0
		.amdhsa_exception_fp_ieee_div_zero 0
		.amdhsa_exception_fp_ieee_overflow 0
		.amdhsa_exception_fp_ieee_underflow 0
		.amdhsa_exception_fp_ieee_inexact 0
		.amdhsa_exception_int_div_zero 0
	.end_amdhsa_kernel
	.section	.text._ZN12_GLOBAL__N_135rocblas_gemm_batched_general_kernelIfLi16ELi16ELi32ELi32ELi8ELi32ELi8ELi8ELi32ELc84ELc84EKfS1_fEEvlllT_PT11_llS4_llS2_PT12_llPT13_lli,"axG",@progbits,_ZN12_GLOBAL__N_135rocblas_gemm_batched_general_kernelIfLi16ELi16ELi32ELi32ELi8ELi32ELi8ELi8ELi32ELc84ELc84EKfS1_fEEvlllT_PT11_llS4_llS2_PT12_llPT13_lli,comdat
.Lfunc_end328:
	.size	_ZN12_GLOBAL__N_135rocblas_gemm_batched_general_kernelIfLi16ELi16ELi32ELi32ELi8ELi32ELi8ELi8ELi32ELc84ELc84EKfS1_fEEvlllT_PT11_llS4_llS2_PT12_llPT13_lli, .Lfunc_end328-_ZN12_GLOBAL__N_135rocblas_gemm_batched_general_kernelIfLi16ELi16ELi32ELi32ELi8ELi32ELi8ELi8ELi32ELc84ELc84EKfS1_fEEvlllT_PT11_llS4_llS2_PT12_llPT13_lli
                                        ; -- End function
	.set _ZN12_GLOBAL__N_135rocblas_gemm_batched_general_kernelIfLi16ELi16ELi32ELi32ELi8ELi32ELi8ELi8ELi32ELc84ELc84EKfS1_fEEvlllT_PT11_llS4_llS2_PT12_llPT13_lli.num_vgpr, 44
	.set _ZN12_GLOBAL__N_135rocblas_gemm_batched_general_kernelIfLi16ELi16ELi32ELi32ELi8ELi32ELi8ELi8ELi32ELc84ELc84EKfS1_fEEvlllT_PT11_llS4_llS2_PT12_llPT13_lli.num_agpr, 0
	.set _ZN12_GLOBAL__N_135rocblas_gemm_batched_general_kernelIfLi16ELi16ELi32ELi32ELi8ELi32ELi8ELi8ELi32ELc84ELc84EKfS1_fEEvlllT_PT11_llS4_llS2_PT12_llPT13_lli.numbered_sgpr, 30
	.set _ZN12_GLOBAL__N_135rocblas_gemm_batched_general_kernelIfLi16ELi16ELi32ELi32ELi8ELi32ELi8ELi8ELi32ELc84ELc84EKfS1_fEEvlllT_PT11_llS4_llS2_PT12_llPT13_lli.num_named_barrier, 0
	.set _ZN12_GLOBAL__N_135rocblas_gemm_batched_general_kernelIfLi16ELi16ELi32ELi32ELi8ELi32ELi8ELi8ELi32ELc84ELc84EKfS1_fEEvlllT_PT11_llS4_llS2_PT12_llPT13_lli.private_seg_size, 0
	.set _ZN12_GLOBAL__N_135rocblas_gemm_batched_general_kernelIfLi16ELi16ELi32ELi32ELi8ELi32ELi8ELi8ELi32ELc84ELc84EKfS1_fEEvlllT_PT11_llS4_llS2_PT12_llPT13_lli.uses_vcc, 1
	.set _ZN12_GLOBAL__N_135rocblas_gemm_batched_general_kernelIfLi16ELi16ELi32ELi32ELi8ELi32ELi8ELi8ELi32ELc84ELc84EKfS1_fEEvlllT_PT11_llS4_llS2_PT12_llPT13_lli.uses_flat_scratch, 0
	.set _ZN12_GLOBAL__N_135rocblas_gemm_batched_general_kernelIfLi16ELi16ELi32ELi32ELi8ELi32ELi8ELi8ELi32ELc84ELc84EKfS1_fEEvlllT_PT11_llS4_llS2_PT12_llPT13_lli.has_dyn_sized_stack, 0
	.set _ZN12_GLOBAL__N_135rocblas_gemm_batched_general_kernelIfLi16ELi16ELi32ELi32ELi8ELi32ELi8ELi8ELi32ELc84ELc84EKfS1_fEEvlllT_PT11_llS4_llS2_PT12_llPT13_lli.has_recursion, 0
	.set _ZN12_GLOBAL__N_135rocblas_gemm_batched_general_kernelIfLi16ELi16ELi32ELi32ELi8ELi32ELi8ELi8ELi32ELc84ELc84EKfS1_fEEvlllT_PT11_llS4_llS2_PT12_llPT13_lli.has_indirect_call, 0
	.section	.AMDGPU.csdata,"",@progbits
; Kernel info:
; codeLenInByte = 1892
; TotalNumSgprs: 32
; NumVgprs: 44
; ScratchSize: 0
; MemoryBound: 0
; FloatMode: 240
; IeeeMode: 1
; LDSByteSize: 2048 bytes/workgroup (compile time only)
; SGPRBlocks: 0
; VGPRBlocks: 5
; NumSGPRsForWavesPerEU: 32
; NumVGPRsForWavesPerEU: 44
; Occupancy: 16
; WaveLimiterHint : 0
; COMPUTE_PGM_RSRC2:SCRATCH_EN: 0
; COMPUTE_PGM_RSRC2:USER_SGPR: 6
; COMPUTE_PGM_RSRC2:TRAP_HANDLER: 0
; COMPUTE_PGM_RSRC2:TGID_X_EN: 1
; COMPUTE_PGM_RSRC2:TGID_Y_EN: 1
; COMPUTE_PGM_RSRC2:TGID_Z_EN: 1
; COMPUTE_PGM_RSRC2:TIDIG_COMP_CNT: 1
	.section	.text._ZN12_GLOBAL__N_135rocblas_gemm_batched_general_kernelIfLi16ELi16ELi32ELi32ELi8ELi32ELi8ELi8ELi32ELc67ELc67EKfS1_fEEvlllT_PT11_llS4_llS2_PT12_llPT13_lli,"axG",@progbits,_ZN12_GLOBAL__N_135rocblas_gemm_batched_general_kernelIfLi16ELi16ELi32ELi32ELi8ELi32ELi8ELi8ELi32ELc67ELc67EKfS1_fEEvlllT_PT11_llS4_llS2_PT12_llPT13_lli,comdat
	.globl	_ZN12_GLOBAL__N_135rocblas_gemm_batched_general_kernelIfLi16ELi16ELi32ELi32ELi8ELi32ELi8ELi8ELi32ELc67ELc67EKfS1_fEEvlllT_PT11_llS4_llS2_PT12_llPT13_lli ; -- Begin function _ZN12_GLOBAL__N_135rocblas_gemm_batched_general_kernelIfLi16ELi16ELi32ELi32ELi8ELi32ELi8ELi8ELi32ELc67ELc67EKfS1_fEEvlllT_PT11_llS4_llS2_PT12_llPT13_lli
	.p2align	8
	.type	_ZN12_GLOBAL__N_135rocblas_gemm_batched_general_kernelIfLi16ELi16ELi32ELi32ELi8ELi32ELi8ELi8ELi32ELc67ELc67EKfS1_fEEvlllT_PT11_llS4_llS2_PT12_llPT13_lli,@function
_ZN12_GLOBAL__N_135rocblas_gemm_batched_general_kernelIfLi16ELi16ELi32ELi32ELi8ELi32ELi8ELi8ELi32ELc67ELc67EKfS1_fEEvlllT_PT11_llS4_llS2_PT12_llPT13_lli: ; @_ZN12_GLOBAL__N_135rocblas_gemm_batched_general_kernelIfLi16ELi16ELi32ELi32ELi8ELi32ELi8ELi8ELi32ELc67ELc67EKfS1_fEEvlllT_PT11_llS4_llS2_PT12_llPT13_lli
; %bb.0:
	s_clause 0x1
	s_load_dwordx2 s[10:11], s[4:5], 0x10
	s_load_dwordx4 s[20:23], s[4:5], 0x0
	s_mov_b32 s0, s7
	v_mov_b32_e32 v10, 0
	v_mov_b32_e32 v9, 0
	v_mov_b32_e32 v8, 0
	v_mov_b32_e32 v7, 0
	s_ashr_i32 s7, s6, 31
	s_ashr_i32 s1, s0, 31
	s_lshl_b64 s[6:7], s[6:7], 5
	s_waitcnt lgkmcnt(0)
	v_cmp_lt_i64_e64 s2, s[10:11], 1
	s_and_b32 vcc_lo, exec_lo, s2
	s_lshl_b64 s[2:3], s[0:1], 5
	s_cbranch_vccnz .LBB329_7
; %bb.1:
	s_clause 0x1
	s_load_dwordx4 s[24:27], s[4:5], 0x40
	s_load_dwordx8 s[12:19], s[4:5], 0x20
	v_lshl_add_u32 v2, v1, 4, v0
	v_and_b32_e32 v6, 7, v0
	v_mov_b32_e32 v3, s7
	s_lshl_b64 s[28:29], s[0:1], 7
	v_mov_b32_e32 v7, 0
	v_and_b32_e32 v14, 31, v2
	v_lshrrev_b32_e32 v10, 3, v2
	v_lshrrev_b32_e32 v13, 5, v2
	v_lshlrev_b32_e32 v15, 2, v6
	v_lshlrev_b32_e32 v11, 2, v0
	v_or_b32_e32 v2, s6, v14
	v_add_co_u32 v8, s0, v10, s2
	v_add_co_ci_u32_e64 v9, null, 0, s3, s0
	v_add_co_u32 v17, s0, s6, v14
	v_add_co_ci_u32_e64 v18, null, s7, 0, s0
	s_waitcnt lgkmcnt(0)
	v_mad_u64_u32 v[4:5], null, s24, v6, 0
	v_cmp_gt_i64_e64 s0, s[20:21], v[2:3]
	v_cmp_gt_i64_e64 s1, s[22:23], v[8:9]
	v_mul_lo_u32 v8, s15, v17
	v_mul_lo_u32 v9, s14, v18
	s_mul_i32 s9, s27, s8
	s_mul_hi_u32 s27, s26, s8
	v_mad_u64_u32 v[2:3], null, s25, v6, v[5:6]
	s_mul_i32 s26, s26, s8
	s_add_i32 s27, s27, s9
	s_mul_i32 s9, s17, s8
	s_mul_hi_u32 s17, s16, s8
	v_lshlrev_b32_e32 v16, 2, v14
	v_lshl_or_b32 v15, v10, 5, v15
	v_mov_b32_e32 v5, v2
	v_mad_u64_u32 v[2:3], null, s14, v17, 0
	s_lshl_b64 s[14:15], s[26:27], 2
	v_lshl_add_u32 v12, v1, 5, 0x400
	v_lshlrev_b64 v[4:5], 2, v[4:5]
	s_add_u32 s14, s28, s14
	s_addc_u32 s15, s29, s15
	v_lshl_or_b32 v14, v13, 7, v16
	v_add3_u32 v3, v3, v9, v8
	v_lshlrev_b32_e32 v8, 2, v10
	v_add_co_u32 v4, vcc_lo, s14, v4
	v_add_co_ci_u32_e64 v5, null, s15, v5, vcc_lo
	v_lshlrev_b64 v[2:3], 2, v[2:3]
	s_add_i32 s15, s17, s9
	s_mul_i32 s14, s16, s8
	v_lshlrev_b32_e32 v9, 2, v13
	s_lshl_b64 s[14:15], s[14:15], 2
	v_add_nc_u32_e32 v15, 0x400, v15
	v_add_co_u32 v2, vcc_lo, v2, s14
	v_add_co_ci_u32_e64 v3, null, s15, v3, vcc_lo
	v_add_co_u32 v4, vcc_lo, v4, v8
	v_add_co_ci_u32_e64 v5, null, 0, v5, vcc_lo
	;; [unrolled: 2-line block ×5, first 2 shown]
	v_mov_b32_e32 v8, 0
	v_mov_b32_e32 v9, 0
	;; [unrolled: 1-line block ×3, first 2 shown]
	s_lshl_b64 s[12:13], s[24:25], 5
	s_mov_b64 s[14:15], 0
	s_branch .LBB329_3
.LBB329_2:                              ;   in Loop: Header=BB329_3 Depth=1
	s_or_b32 exec_lo, exec_lo, s9
	s_waitcnt vmcnt(0)
	ds_write_b32 v15, v17
	s_waitcnt lgkmcnt(0)
	s_barrier
	buffer_gl0_inv
	ds_read_b128 v[16:19], v12
	ds_read2_b32 v[32:33], v11 offset1:16
	ds_read_b128 v[20:23], v12 offset:512
	ds_read2_b32 v[34:35], v11 offset0:32 offset1:48
	ds_read2_b32 v[36:37], v11 offset0:64 offset1:80
	;; [unrolled: 1-line block ×3, first 2 shown]
	ds_read_b128 v[24:27], v12 offset:16
	ds_read2_b32 v[40:41], v11 offset0:128 offset1:144
	ds_read_b128 v[28:31], v12 offset:528
	ds_read2_b32 v[42:43], v11 offset0:160 offset1:176
	s_add_u32 s14, s14, 8
	s_addc_u32 s15, s15, 0
	v_add_co_u32 v2, vcc_lo, v2, s12
	v_cmp_lt_i64_e64 s9, s[14:15], s[10:11]
	v_add_co_ci_u32_e64 v3, null, s13, v3, vcc_lo
	v_add_co_u32 v4, vcc_lo, v4, 32
	v_add_co_ci_u32_e64 v5, null, 0, v5, vcc_lo
	s_waitcnt lgkmcnt(8)
	v_fmac_f32_e32 v10, v32, v16
	v_fmac_f32_e32 v9, v33, v16
	s_waitcnt lgkmcnt(7)
	v_fmac_f32_e32 v8, v32, v20
	v_fmac_f32_e32 v7, v33, v20
	ds_read2_b32 v[32:33], v11 offset0:192 offset1:208
	s_waitcnt lgkmcnt(7)
	v_fmac_f32_e32 v10, v34, v17
	v_fmac_f32_e32 v9, v35, v17
	;; [unrolled: 1-line block ×4, first 2 shown]
	ds_read2_b32 v[16:17], v11 offset0:224 offset1:240
	s_waitcnt lgkmcnt(7)
	v_fmac_f32_e32 v10, v36, v18
	v_fmac_f32_e32 v9, v37, v18
	;; [unrolled: 1-line block ×4, first 2 shown]
	s_and_b32 vcc_lo, exec_lo, s9
	s_waitcnt lgkmcnt(6)
	v_fmac_f32_e32 v10, v38, v19
	v_fmac_f32_e32 v9, v39, v19
	;; [unrolled: 1-line block ×4, first 2 shown]
	s_waitcnt lgkmcnt(0)
	v_fmac_f32_e32 v10, v40, v24
	v_fmac_f32_e32 v9, v41, v24
	;; [unrolled: 1-line block ×4, first 2 shown]
	s_barrier
	v_fmac_f32_e32 v10, v42, v25
	v_fmac_f32_e32 v9, v43, v25
	;; [unrolled: 1-line block ×4, first 2 shown]
	buffer_gl0_inv
	v_fmac_f32_e32 v10, v32, v26
	v_fmac_f32_e32 v9, v33, v26
	;; [unrolled: 1-line block ×8, first 2 shown]
	s_cbranch_vccz .LBB329_7
.LBB329_3:                              ; =>This Inner Loop Header: Depth=1
	v_add_co_u32 v16, s9, v13, s14
	v_add_co_ci_u32_e64 v17, null, 0, s15, s9
	v_cmp_gt_i64_e32 vcc_lo, s[10:11], v[16:17]
	v_mov_b32_e32 v16, 0
	s_and_b32 s16, s0, vcc_lo
	s_and_saveexec_b32 s9, s16
	s_cbranch_execz .LBB329_5
; %bb.4:                                ;   in Loop: Header=BB329_3 Depth=1
	global_load_dword v16, v[4:5], off
.LBB329_5:                              ;   in Loop: Header=BB329_3 Depth=1
	s_or_b32 exec_lo, exec_lo, s9
	v_add_co_u32 v17, s9, v6, s14
	v_add_co_ci_u32_e64 v18, null, 0, s15, s9
	s_waitcnt vmcnt(0)
	ds_write_b32 v14, v16
	v_cmp_gt_i64_e32 vcc_lo, s[10:11], v[17:18]
	v_mov_b32_e32 v17, 0
	s_and_b32 s16, vcc_lo, s1
	s_and_saveexec_b32 s9, s16
	s_cbranch_execz .LBB329_2
; %bb.6:                                ;   in Loop: Header=BB329_3 Depth=1
	global_load_dword v17, v[2:3], off
	s_branch .LBB329_2
.LBB329_7:
	s_clause 0x3
	s_load_dwordx4 s[24:27], s[4:5], 0x78
	s_load_dword s9, s[4:5], 0x50
	s_load_dwordx8 s[12:19], s[4:5], 0x58
	s_load_dword s4, s[4:5], 0x18
	v_add_co_u32 v1, s0, s2, v1
	v_add_co_ci_u32_e64 v2, null, s3, 0, s0
	s_waitcnt lgkmcnt(0)
	s_mul_i32 s1, s27, s8
	s_mul_hi_u32 s2, s26, s8
	s_mul_i32 s0, s26, s8
	s_add_i32 s1, s2, s1
	v_cmp_neq_f32_e64 s2, s9, 0
	s_lshl_b64 s[10:11], s[0:1], 2
	v_cmp_gt_i64_e64 s0, s[22:23], v[1:2]
	s_add_u32 s3, s18, s10
	s_addc_u32 s5, s19, s11
	s_and_b32 vcc_lo, exec_lo, s2
	s_cbranch_vccnz .LBB329_20
; %bb.8:
	s_and_saveexec_b32 s10, s0
	s_cbranch_execz .LBB329_18
; %bb.9:
	v_mul_lo_u32 v5, v2, s24
	v_mul_lo_u32 v6, v1, s25
	v_mad_u64_u32 v[3:4], null, v1, s24, 0
	v_add3_u32 v4, v4, v6, v5
	v_add_co_u32 v5, s1, s6, v0
	v_add_co_ci_u32_e64 v6, null, s7, 0, s1
	v_lshlrev_b64 v[11:12], 2, v[3:4]
	v_cmp_gt_i64_e32 vcc_lo, s[20:21], v[5:6]
	v_lshlrev_b64 v[3:4], 2, v[5:6]
	v_add_co_u32 v11, s1, s3, v11
	v_add_co_ci_u32_e64 v12, null, s5, v12, s1
	s_and_saveexec_b32 s2, vcc_lo
	s_cbranch_execz .LBB329_11
; %bb.10:
	v_add_co_u32 v13, s1, v11, v3
	v_add_co_ci_u32_e64 v14, null, v12, v4, s1
	v_mul_f32_e32 v15, s4, v10
	global_store_dword v[13:14], v15, off
.LBB329_11:
	s_or_b32 exec_lo, exec_lo, s2
	v_add_co_u32 v5, s1, v5, 16
	v_add_co_ci_u32_e64 v6, null, 0, v6, s1
	v_cmp_gt_i64_e64 s1, s[20:21], v[5:6]
	s_and_saveexec_b32 s11, s1
	s_cbranch_execz .LBB329_13
; %bb.12:
	v_add_co_u32 v5, s2, v11, v3
	v_add_co_ci_u32_e64 v6, null, v12, v4, s2
	v_mul_f32_e32 v13, s4, v9
	global_store_dword v[5:6], v13, off offset:64
.LBB329_13:
	s_or_b32 exec_lo, exec_lo, s11
	v_add_co_u32 v5, s2, v1, 16
	v_add_co_ci_u32_e64 v6, null, 0, v2, s2
	v_cmp_gt_i64_e64 s2, s[22:23], v[5:6]
	s_and_b32 exec_lo, exec_lo, s2
	s_cbranch_execz .LBB329_18
; %bb.14:
	s_lshl_b64 s[18:19], s[24:25], 6
	v_add_co_u32 v5, s2, v11, s18
	v_add_co_ci_u32_e64 v6, null, s19, v12, s2
	v_add_co_u32 v3, s2, v5, v3
	v_add_co_ci_u32_e64 v4, null, v6, v4, s2
	s_and_saveexec_b32 s2, vcc_lo
	s_cbranch_execz .LBB329_16
; %bb.15:
	v_mul_f32_e32 v5, s4, v8
	global_store_dword v[3:4], v5, off
.LBB329_16:
	s_or_b32 exec_lo, exec_lo, s2
	s_and_b32 exec_lo, exec_lo, s1
	s_cbranch_execz .LBB329_18
; %bb.17:
	v_mul_f32_e32 v5, s4, v7
	global_store_dword v[3:4], v5, off offset:64
.LBB329_18:
	s_or_b32 exec_lo, exec_lo, s10
	s_cbranch_execz .LBB329_21
.LBB329_19:
	s_endpgm
.LBB329_20:
.LBB329_21:
	s_and_saveexec_b32 s1, s0
	s_cbranch_execz .LBB329_19
; %bb.22:
	v_mul_lo_u32 v5, v2, s14
	v_mul_lo_u32 v6, v1, s15
	v_mad_u64_u32 v[3:4], null, v1, s14, 0
	v_mul_lo_u32 v13, v2, s24
	v_mul_lo_u32 v14, v1, s25
	v_mad_u64_u32 v[11:12], null, v1, s24, 0
	s_mul_i32 s0, s17, s8
	s_mul_hi_u32 s1, s16, s8
	v_add3_u32 v4, v4, v6, v5
	s_add_i32 s1, s1, s0
	s_mul_i32 s0, s16, s8
	v_add_co_u32 v5, s2, s6, v0
	v_add3_u32 v12, v12, v14, v13
	v_lshlrev_b64 v[3:4], 2, v[3:4]
	s_lshl_b64 s[0:1], s[0:1], 2
	v_add_co_ci_u32_e64 v6, null, s7, 0, s2
	v_lshlrev_b64 v[12:13], 2, v[11:12]
	s_add_u32 s0, s12, s0
	s_addc_u32 s1, s13, s1
	v_add_co_u32 v0, s0, s0, v3
	v_add_co_ci_u32_e64 v11, null, s1, v4, s0
	v_add_co_u32 v12, s0, s3, v12
	v_cmp_gt_i64_e32 vcc_lo, s[20:21], v[5:6]
	v_lshlrev_b64 v[3:4], 2, v[5:6]
	v_add_co_ci_u32_e64 v13, null, s5, v13, s0
	s_and_saveexec_b32 s1, vcc_lo
	s_cbranch_execz .LBB329_24
; %bb.23:
	v_add_co_u32 v14, s0, v0, v3
	v_add_co_ci_u32_e64 v15, null, v11, v4, s0
	global_load_dword v14, v[14:15], off
	s_waitcnt vmcnt(0)
	v_mul_f32_e32 v16, s9, v14
	v_add_co_u32 v14, s0, v12, v3
	v_add_co_ci_u32_e64 v15, null, v13, v4, s0
	v_fmac_f32_e32 v16, s4, v10
	global_store_dword v[14:15], v16, off
.LBB329_24:
	s_or_b32 exec_lo, exec_lo, s1
	v_add_co_u32 v5, s0, v5, 16
	v_add_co_ci_u32_e64 v6, null, 0, v6, s0
	v_cmp_gt_i64_e64 s0, s[20:21], v[5:6]
	s_and_saveexec_b32 s2, s0
	s_cbranch_execz .LBB329_26
; %bb.25:
	v_add_co_u32 v5, s1, v0, v3
	v_add_co_ci_u32_e64 v6, null, v11, v4, s1
	global_load_dword v5, v[5:6], off offset:64
	s_waitcnt vmcnt(0)
	v_mul_f32_e32 v10, s9, v5
	v_add_co_u32 v5, s1, v12, v3
	v_add_co_ci_u32_e64 v6, null, v13, v4, s1
	v_fmac_f32_e32 v10, s4, v9
	global_store_dword v[5:6], v10, off offset:64
.LBB329_26:
	s_or_b32 exec_lo, exec_lo, s2
	v_add_co_u32 v1, s1, v1, 16
	v_add_co_ci_u32_e64 v2, null, 0, v2, s1
	v_cmp_gt_i64_e64 s1, s[22:23], v[1:2]
	s_and_b32 exec_lo, exec_lo, s1
	s_cbranch_execz .LBB329_19
; %bb.27:
	s_lshl_b64 s[2:3], s[14:15], 6
	v_add_co_u32 v0, s1, v0, s2
	v_add_co_ci_u32_e64 v1, null, s3, v11, s1
	s_lshl_b64 s[2:3], s[24:25], 6
	v_add_co_u32 v2, s1, v12, s2
	v_add_co_ci_u32_e64 v5, null, s3, v13, s1
	v_add_co_u32 v0, s1, v0, v3
	v_add_co_ci_u32_e64 v1, null, v1, v4, s1
	;; [unrolled: 2-line block ×3, first 2 shown]
	s_and_saveexec_b32 s1, vcc_lo
	s_cbranch_execz .LBB329_29
; %bb.28:
	global_load_dword v4, v[0:1], off
	s_waitcnt vmcnt(0)
	v_mul_f32_e32 v4, s9, v4
	v_fmac_f32_e32 v4, s4, v8
	global_store_dword v[2:3], v4, off
.LBB329_29:
	s_or_b32 exec_lo, exec_lo, s1
	s_and_b32 exec_lo, exec_lo, s0
	s_cbranch_execz .LBB329_19
; %bb.30:
	global_load_dword v0, v[0:1], off offset:64
	s_waitcnt vmcnt(0)
	v_mul_f32_e32 v0, s9, v0
	v_fmac_f32_e32 v0, s4, v7
	global_store_dword v[2:3], v0, off offset:64
	s_endpgm
	.section	.rodata,"a",@progbits
	.p2align	6, 0x0
	.amdhsa_kernel _ZN12_GLOBAL__N_135rocblas_gemm_batched_general_kernelIfLi16ELi16ELi32ELi32ELi8ELi32ELi8ELi8ELi32ELc67ELc67EKfS1_fEEvlllT_PT11_llS4_llS2_PT12_llPT13_lli
		.amdhsa_group_segment_fixed_size 2048
		.amdhsa_private_segment_fixed_size 0
		.amdhsa_kernarg_size 140
		.amdhsa_user_sgpr_count 6
		.amdhsa_user_sgpr_private_segment_buffer 1
		.amdhsa_user_sgpr_dispatch_ptr 0
		.amdhsa_user_sgpr_queue_ptr 0
		.amdhsa_user_sgpr_kernarg_segment_ptr 1
		.amdhsa_user_sgpr_dispatch_id 0
		.amdhsa_user_sgpr_flat_scratch_init 0
		.amdhsa_user_sgpr_private_segment_size 0
		.amdhsa_wavefront_size32 1
		.amdhsa_uses_dynamic_stack 0
		.amdhsa_system_sgpr_private_segment_wavefront_offset 0
		.amdhsa_system_sgpr_workgroup_id_x 1
		.amdhsa_system_sgpr_workgroup_id_y 1
		.amdhsa_system_sgpr_workgroup_id_z 1
		.amdhsa_system_sgpr_workgroup_info 0
		.amdhsa_system_vgpr_workitem_id 1
		.amdhsa_next_free_vgpr 44
		.amdhsa_next_free_sgpr 30
		.amdhsa_reserve_vcc 1
		.amdhsa_reserve_flat_scratch 0
		.amdhsa_float_round_mode_32 0
		.amdhsa_float_round_mode_16_64 0
		.amdhsa_float_denorm_mode_32 3
		.amdhsa_float_denorm_mode_16_64 3
		.amdhsa_dx10_clamp 1
		.amdhsa_ieee_mode 1
		.amdhsa_fp16_overflow 0
		.amdhsa_workgroup_processor_mode 1
		.amdhsa_memory_ordered 1
		.amdhsa_forward_progress 1
		.amdhsa_shared_vgpr_count 0
		.amdhsa_exception_fp_ieee_invalid_op 0
		.amdhsa_exception_fp_denorm_src 0
		.amdhsa_exception_fp_ieee_div_zero 0
		.amdhsa_exception_fp_ieee_overflow 0
		.amdhsa_exception_fp_ieee_underflow 0
		.amdhsa_exception_fp_ieee_inexact 0
		.amdhsa_exception_int_div_zero 0
	.end_amdhsa_kernel
	.section	.text._ZN12_GLOBAL__N_135rocblas_gemm_batched_general_kernelIfLi16ELi16ELi32ELi32ELi8ELi32ELi8ELi8ELi32ELc67ELc67EKfS1_fEEvlllT_PT11_llS4_llS2_PT12_llPT13_lli,"axG",@progbits,_ZN12_GLOBAL__N_135rocblas_gemm_batched_general_kernelIfLi16ELi16ELi32ELi32ELi8ELi32ELi8ELi8ELi32ELc67ELc67EKfS1_fEEvlllT_PT11_llS4_llS2_PT12_llPT13_lli,comdat
.Lfunc_end329:
	.size	_ZN12_GLOBAL__N_135rocblas_gemm_batched_general_kernelIfLi16ELi16ELi32ELi32ELi8ELi32ELi8ELi8ELi32ELc67ELc67EKfS1_fEEvlllT_PT11_llS4_llS2_PT12_llPT13_lli, .Lfunc_end329-_ZN12_GLOBAL__N_135rocblas_gemm_batched_general_kernelIfLi16ELi16ELi32ELi32ELi8ELi32ELi8ELi8ELi32ELc67ELc67EKfS1_fEEvlllT_PT11_llS4_llS2_PT12_llPT13_lli
                                        ; -- End function
	.set _ZN12_GLOBAL__N_135rocblas_gemm_batched_general_kernelIfLi16ELi16ELi32ELi32ELi8ELi32ELi8ELi8ELi32ELc67ELc67EKfS1_fEEvlllT_PT11_llS4_llS2_PT12_llPT13_lli.num_vgpr, 44
	.set _ZN12_GLOBAL__N_135rocblas_gemm_batched_general_kernelIfLi16ELi16ELi32ELi32ELi8ELi32ELi8ELi8ELi32ELc67ELc67EKfS1_fEEvlllT_PT11_llS4_llS2_PT12_llPT13_lli.num_agpr, 0
	.set _ZN12_GLOBAL__N_135rocblas_gemm_batched_general_kernelIfLi16ELi16ELi32ELi32ELi8ELi32ELi8ELi8ELi32ELc67ELc67EKfS1_fEEvlllT_PT11_llS4_llS2_PT12_llPT13_lli.numbered_sgpr, 30
	.set _ZN12_GLOBAL__N_135rocblas_gemm_batched_general_kernelIfLi16ELi16ELi32ELi32ELi8ELi32ELi8ELi8ELi32ELc67ELc67EKfS1_fEEvlllT_PT11_llS4_llS2_PT12_llPT13_lli.num_named_barrier, 0
	.set _ZN12_GLOBAL__N_135rocblas_gemm_batched_general_kernelIfLi16ELi16ELi32ELi32ELi8ELi32ELi8ELi8ELi32ELc67ELc67EKfS1_fEEvlllT_PT11_llS4_llS2_PT12_llPT13_lli.private_seg_size, 0
	.set _ZN12_GLOBAL__N_135rocblas_gemm_batched_general_kernelIfLi16ELi16ELi32ELi32ELi8ELi32ELi8ELi8ELi32ELc67ELc67EKfS1_fEEvlllT_PT11_llS4_llS2_PT12_llPT13_lli.uses_vcc, 1
	.set _ZN12_GLOBAL__N_135rocblas_gemm_batched_general_kernelIfLi16ELi16ELi32ELi32ELi8ELi32ELi8ELi8ELi32ELc67ELc67EKfS1_fEEvlllT_PT11_llS4_llS2_PT12_llPT13_lli.uses_flat_scratch, 0
	.set _ZN12_GLOBAL__N_135rocblas_gemm_batched_general_kernelIfLi16ELi16ELi32ELi32ELi8ELi32ELi8ELi8ELi32ELc67ELc67EKfS1_fEEvlllT_PT11_llS4_llS2_PT12_llPT13_lli.has_dyn_sized_stack, 0
	.set _ZN12_GLOBAL__N_135rocblas_gemm_batched_general_kernelIfLi16ELi16ELi32ELi32ELi8ELi32ELi8ELi8ELi32ELc67ELc67EKfS1_fEEvlllT_PT11_llS4_llS2_PT12_llPT13_lli.has_recursion, 0
	.set _ZN12_GLOBAL__N_135rocblas_gemm_batched_general_kernelIfLi16ELi16ELi32ELi32ELi8ELi32ELi8ELi8ELi32ELc67ELc67EKfS1_fEEvlllT_PT11_llS4_llS2_PT12_llPT13_lli.has_indirect_call, 0
	.section	.AMDGPU.csdata,"",@progbits
; Kernel info:
; codeLenInByte = 1892
; TotalNumSgprs: 32
; NumVgprs: 44
; ScratchSize: 0
; MemoryBound: 0
; FloatMode: 240
; IeeeMode: 1
; LDSByteSize: 2048 bytes/workgroup (compile time only)
; SGPRBlocks: 0
; VGPRBlocks: 5
; NumSGPRsForWavesPerEU: 32
; NumVGPRsForWavesPerEU: 44
; Occupancy: 16
; WaveLimiterHint : 0
; COMPUTE_PGM_RSRC2:SCRATCH_EN: 0
; COMPUTE_PGM_RSRC2:USER_SGPR: 6
; COMPUTE_PGM_RSRC2:TRAP_HANDLER: 0
; COMPUTE_PGM_RSRC2:TGID_X_EN: 1
; COMPUTE_PGM_RSRC2:TGID_Y_EN: 1
; COMPUTE_PGM_RSRC2:TGID_Z_EN: 1
; COMPUTE_PGM_RSRC2:TIDIG_COMP_CNT: 1
	.section	.text._ZN12_GLOBAL__N_135rocblas_gemm_batched_general_kernelIfLi16ELi16ELi32ELi32ELi8ELi32ELi8ELi8ELi32ELc67ELc78EKfS1_fEEvlllT_PT11_llS4_llS2_PT12_llPT13_lli,"axG",@progbits,_ZN12_GLOBAL__N_135rocblas_gemm_batched_general_kernelIfLi16ELi16ELi32ELi32ELi8ELi32ELi8ELi8ELi32ELc67ELc78EKfS1_fEEvlllT_PT11_llS4_llS2_PT12_llPT13_lli,comdat
	.globl	_ZN12_GLOBAL__N_135rocblas_gemm_batched_general_kernelIfLi16ELi16ELi32ELi32ELi8ELi32ELi8ELi8ELi32ELc67ELc78EKfS1_fEEvlllT_PT11_llS4_llS2_PT12_llPT13_lli ; -- Begin function _ZN12_GLOBAL__N_135rocblas_gemm_batched_general_kernelIfLi16ELi16ELi32ELi32ELi8ELi32ELi8ELi8ELi32ELc67ELc78EKfS1_fEEvlllT_PT11_llS4_llS2_PT12_llPT13_lli
	.p2align	8
	.type	_ZN12_GLOBAL__N_135rocblas_gemm_batched_general_kernelIfLi16ELi16ELi32ELi32ELi8ELi32ELi8ELi8ELi32ELc67ELc78EKfS1_fEEvlllT_PT11_llS4_llS2_PT12_llPT13_lli,@function
_ZN12_GLOBAL__N_135rocblas_gemm_batched_general_kernelIfLi16ELi16ELi32ELi32ELi8ELi32ELi8ELi8ELi32ELc67ELc78EKfS1_fEEvlllT_PT11_llS4_llS2_PT12_llPT13_lli: ; @_ZN12_GLOBAL__N_135rocblas_gemm_batched_general_kernelIfLi16ELi16ELi32ELi32ELi8ELi32ELi8ELi8ELi32ELc67ELc78EKfS1_fEEvlllT_PT11_llS4_llS2_PT12_llPT13_lli
; %bb.0:
	s_clause 0x1
	s_load_dwordx2 s[10:11], s[4:5], 0x10
	s_load_dwordx4 s[20:23], s[4:5], 0x0
	s_mov_b32 s0, s7
	v_mov_b32_e32 v10, 0
	v_mov_b32_e32 v9, 0
	;; [unrolled: 1-line block ×4, first 2 shown]
	s_ashr_i32 s7, s6, 31
	s_ashr_i32 s1, s0, 31
	s_lshl_b64 s[6:7], s[6:7], 5
	s_waitcnt lgkmcnt(0)
	v_cmp_lt_i64_e64 s2, s[10:11], 1
	s_and_b32 vcc_lo, exec_lo, s2
	s_lshl_b64 s[2:3], s[0:1], 5
	s_cbranch_vccnz .LBB330_7
; %bb.1:
	s_load_dwordx4 s[24:27], s[4:5], 0x40
	v_lshl_add_u32 v2, v1, 4, v0
	s_load_dwordx8 s[12:19], s[4:5], 0x20
	v_and_b32_e32 v6, 7, v0
	v_mov_b32_e32 v3, s7
	v_mov_b32_e32 v7, 0
	v_lshrrev_b32_e32 v9, 3, v2
	v_and_b32_e32 v8, 31, v2
	v_lshlrev_b32_e32 v10, 2, v6
	v_lshrrev_b32_e32 v11, 5, v2
	v_add_co_u32 v4, s0, v9, s2
	v_or_b32_e32 v2, s6, v8
	v_add_co_ci_u32_e64 v5, null, 0, s3, s0
	v_lshlrev_b32_e32 v12, 2, v8
	v_add_co_u32 v8, s1, s6, v8
	v_lshl_or_b32 v9, v9, 5, v10
	v_add_co_ci_u32_e64 v14, null, s7, 0, s1
	v_cmp_gt_i64_e64 s0, s[20:21], v[2:3]
	s_waitcnt lgkmcnt(0)
	v_mul_lo_u32 v15, s25, v4
	v_mul_lo_u32 v16, s24, v5
	v_mad_u64_u32 v[2:3], null, s24, v4, 0
	v_cmp_gt_i64_e64 s1, s[22:23], v[4:5]
	v_add_nc_u32_e32 v13, 0x400, v9
	v_mul_lo_u32 v9, s15, v8
	v_mul_lo_u32 v17, s14, v14
	v_mad_u64_u32 v[4:5], null, s14, v8, 0
	v_add3_u32 v3, v3, v16, v15
	s_mul_i32 s9, s27, s8
	s_mul_hi_u32 s14, s26, s8
	v_lshlrev_b32_e32 v8, 2, v11
	s_add_i32 s15, s14, s9
	v_lshlrev_b64 v[2:3], 2, v[2:3]
	v_add3_u32 v5, v5, v17, v9
	s_mul_i32 s14, s26, s8
	s_mul_i32 s9, s17, s8
	s_lshl_b64 s[14:15], s[14:15], 2
	s_mul_hi_u32 s17, s16, s8
	v_lshlrev_b64 v[4:5], 2, v[4:5]
	s_add_i32 s17, s17, s9
	s_mul_i32 s16, s16, s8
	v_add_co_u32 v2, vcc_lo, v2, s14
	v_add_co_ci_u32_e64 v3, null, s15, v3, vcc_lo
	s_lshl_b64 s[14:15], s[16:17], 2
	v_lshl_or_b32 v12, v11, 7, v12
	v_add_co_u32 v4, vcc_lo, v4, s14
	v_add_co_ci_u32_e64 v5, null, s15, v5, vcc_lo
	v_add_co_u32 v2, vcc_lo, v2, v10
	v_add_co_ci_u32_e64 v3, null, 0, v3, vcc_lo
	;; [unrolled: 2-line block ×4, first 2 shown]
	v_add_co_u32 v4, vcc_lo, s12, v4
	v_lshlrev_b32_e32 v14, 2, v0
	v_lshl_add_u32 v15, v1, 5, 0x400
	v_add_co_ci_u32_e64 v5, null, s13, v5, vcc_lo
	v_mov_b32_e32 v8, 0
	v_mov_b32_e32 v9, 0
	;; [unrolled: 1-line block ×3, first 2 shown]
	s_mov_b64 s[12:13], 0
	s_branch .LBB330_3
.LBB330_2:                              ;   in Loop: Header=BB330_3 Depth=1
	s_or_b32 exec_lo, exec_lo, s9
	s_waitcnt vmcnt(0)
	ds_write_b32 v13, v17
	s_waitcnt lgkmcnt(0)
	s_barrier
	buffer_gl0_inv
	ds_read_b128 v[16:19], v15
	ds_read2_b32 v[32:33], v14 offset1:16
	ds_read_b128 v[20:23], v15 offset:512
	ds_read2_b32 v[34:35], v14 offset0:32 offset1:48
	ds_read2_b32 v[36:37], v14 offset0:64 offset1:80
	;; [unrolled: 1-line block ×3, first 2 shown]
	ds_read_b128 v[24:27], v15 offset:16
	ds_read2_b32 v[40:41], v14 offset0:128 offset1:144
	ds_read_b128 v[28:31], v15 offset:528
	ds_read2_b32 v[42:43], v14 offset0:160 offset1:176
	s_add_u32 s12, s12, 8
	s_addc_u32 s13, s13, 0
	v_add_co_u32 v2, vcc_lo, v2, 32
	v_cmp_lt_i64_e64 s9, s[12:13], s[10:11]
	v_add_co_ci_u32_e64 v3, null, 0, v3, vcc_lo
	v_add_co_u32 v4, vcc_lo, v4, 32
	v_add_co_ci_u32_e64 v5, null, 0, v5, vcc_lo
	s_waitcnt lgkmcnt(8)
	v_fmac_f32_e32 v10, v32, v16
	v_fmac_f32_e32 v9, v33, v16
	s_waitcnt lgkmcnt(7)
	v_fmac_f32_e32 v8, v32, v20
	v_fmac_f32_e32 v7, v33, v20
	ds_read2_b32 v[32:33], v14 offset0:192 offset1:208
	s_waitcnt lgkmcnt(7)
	v_fmac_f32_e32 v10, v34, v17
	v_fmac_f32_e32 v9, v35, v17
	;; [unrolled: 1-line block ×4, first 2 shown]
	ds_read2_b32 v[16:17], v14 offset0:224 offset1:240
	s_waitcnt lgkmcnt(7)
	v_fmac_f32_e32 v10, v36, v18
	v_fmac_f32_e32 v9, v37, v18
	;; [unrolled: 1-line block ×4, first 2 shown]
	s_and_b32 vcc_lo, exec_lo, s9
	s_waitcnt lgkmcnt(6)
	v_fmac_f32_e32 v10, v38, v19
	v_fmac_f32_e32 v9, v39, v19
	;; [unrolled: 1-line block ×4, first 2 shown]
	s_waitcnt lgkmcnt(0)
	v_fmac_f32_e32 v10, v40, v24
	v_fmac_f32_e32 v9, v41, v24
	;; [unrolled: 1-line block ×4, first 2 shown]
	s_barrier
	v_fmac_f32_e32 v10, v42, v25
	v_fmac_f32_e32 v9, v43, v25
	;; [unrolled: 1-line block ×4, first 2 shown]
	buffer_gl0_inv
	v_fmac_f32_e32 v10, v32, v26
	v_fmac_f32_e32 v9, v33, v26
	;; [unrolled: 1-line block ×8, first 2 shown]
	s_cbranch_vccz .LBB330_7
.LBB330_3:                              ; =>This Inner Loop Header: Depth=1
	v_add_co_u32 v16, s9, v11, s12
	v_add_co_ci_u32_e64 v17, null, 0, s13, s9
	v_cmp_gt_i64_e32 vcc_lo, s[10:11], v[16:17]
	v_mov_b32_e32 v16, 0
	s_and_b32 s14, s0, vcc_lo
	s_and_saveexec_b32 s9, s14
	s_cbranch_execz .LBB330_5
; %bb.4:                                ;   in Loop: Header=BB330_3 Depth=1
	global_load_dword v16, v[4:5], off
.LBB330_5:                              ;   in Loop: Header=BB330_3 Depth=1
	s_or_b32 exec_lo, exec_lo, s9
	v_add_co_u32 v17, s9, v6, s12
	v_add_co_ci_u32_e64 v18, null, 0, s13, s9
	s_waitcnt vmcnt(0)
	ds_write_b32 v12, v16
	v_cmp_gt_i64_e32 vcc_lo, s[10:11], v[17:18]
	v_mov_b32_e32 v17, 0
	s_and_b32 s14, vcc_lo, s1
	s_and_saveexec_b32 s9, s14
	s_cbranch_execz .LBB330_2
; %bb.6:                                ;   in Loop: Header=BB330_3 Depth=1
	global_load_dword v17, v[2:3], off
	s_branch .LBB330_2
.LBB330_7:
	s_clause 0x3
	s_load_dwordx4 s[24:27], s[4:5], 0x78
	s_load_dword s9, s[4:5], 0x50
	s_load_dwordx8 s[12:19], s[4:5], 0x58
	s_load_dword s4, s[4:5], 0x18
	v_add_co_u32 v1, s0, s2, v1
	v_add_co_ci_u32_e64 v2, null, s3, 0, s0
	s_waitcnt lgkmcnt(0)
	s_mul_i32 s1, s27, s8
	s_mul_hi_u32 s2, s26, s8
	s_mul_i32 s0, s26, s8
	s_add_i32 s1, s2, s1
	v_cmp_neq_f32_e64 s2, s9, 0
	s_lshl_b64 s[10:11], s[0:1], 2
	v_cmp_gt_i64_e64 s0, s[22:23], v[1:2]
	s_add_u32 s3, s18, s10
	s_addc_u32 s5, s19, s11
	s_and_b32 vcc_lo, exec_lo, s2
	s_cbranch_vccnz .LBB330_20
; %bb.8:
	s_and_saveexec_b32 s10, s0
	s_cbranch_execz .LBB330_18
; %bb.9:
	v_mul_lo_u32 v5, v2, s24
	v_mul_lo_u32 v6, v1, s25
	v_mad_u64_u32 v[3:4], null, v1, s24, 0
	v_add3_u32 v4, v4, v6, v5
	v_add_co_u32 v5, s1, s6, v0
	v_add_co_ci_u32_e64 v6, null, s7, 0, s1
	v_lshlrev_b64 v[11:12], 2, v[3:4]
	v_cmp_gt_i64_e32 vcc_lo, s[20:21], v[5:6]
	v_lshlrev_b64 v[3:4], 2, v[5:6]
	v_add_co_u32 v11, s1, s3, v11
	v_add_co_ci_u32_e64 v12, null, s5, v12, s1
	s_and_saveexec_b32 s2, vcc_lo
	s_cbranch_execz .LBB330_11
; %bb.10:
	v_add_co_u32 v13, s1, v11, v3
	v_add_co_ci_u32_e64 v14, null, v12, v4, s1
	v_mul_f32_e32 v15, s4, v10
	global_store_dword v[13:14], v15, off
.LBB330_11:
	s_or_b32 exec_lo, exec_lo, s2
	v_add_co_u32 v5, s1, v5, 16
	v_add_co_ci_u32_e64 v6, null, 0, v6, s1
	v_cmp_gt_i64_e64 s1, s[20:21], v[5:6]
	s_and_saveexec_b32 s11, s1
	s_cbranch_execz .LBB330_13
; %bb.12:
	v_add_co_u32 v5, s2, v11, v3
	v_add_co_ci_u32_e64 v6, null, v12, v4, s2
	v_mul_f32_e32 v13, s4, v9
	global_store_dword v[5:6], v13, off offset:64
.LBB330_13:
	s_or_b32 exec_lo, exec_lo, s11
	v_add_co_u32 v5, s2, v1, 16
	v_add_co_ci_u32_e64 v6, null, 0, v2, s2
	v_cmp_gt_i64_e64 s2, s[22:23], v[5:6]
	s_and_b32 exec_lo, exec_lo, s2
	s_cbranch_execz .LBB330_18
; %bb.14:
	s_lshl_b64 s[18:19], s[24:25], 6
	v_add_co_u32 v5, s2, v11, s18
	v_add_co_ci_u32_e64 v6, null, s19, v12, s2
	v_add_co_u32 v3, s2, v5, v3
	v_add_co_ci_u32_e64 v4, null, v6, v4, s2
	s_and_saveexec_b32 s2, vcc_lo
	s_cbranch_execz .LBB330_16
; %bb.15:
	v_mul_f32_e32 v5, s4, v8
	global_store_dword v[3:4], v5, off
.LBB330_16:
	s_or_b32 exec_lo, exec_lo, s2
	s_and_b32 exec_lo, exec_lo, s1
	s_cbranch_execz .LBB330_18
; %bb.17:
	v_mul_f32_e32 v5, s4, v7
	global_store_dword v[3:4], v5, off offset:64
.LBB330_18:
	s_or_b32 exec_lo, exec_lo, s10
	s_cbranch_execz .LBB330_21
.LBB330_19:
	s_endpgm
.LBB330_20:
.LBB330_21:
	s_and_saveexec_b32 s1, s0
	s_cbranch_execz .LBB330_19
; %bb.22:
	v_mul_lo_u32 v5, v2, s14
	v_mul_lo_u32 v6, v1, s15
	v_mad_u64_u32 v[3:4], null, v1, s14, 0
	v_mul_lo_u32 v13, v2, s24
	v_mul_lo_u32 v14, v1, s25
	v_mad_u64_u32 v[11:12], null, v1, s24, 0
	s_mul_i32 s0, s17, s8
	s_mul_hi_u32 s1, s16, s8
	v_add3_u32 v4, v4, v6, v5
	s_add_i32 s1, s1, s0
	s_mul_i32 s0, s16, s8
	v_add_co_u32 v5, s2, s6, v0
	v_add3_u32 v12, v12, v14, v13
	v_lshlrev_b64 v[3:4], 2, v[3:4]
	s_lshl_b64 s[0:1], s[0:1], 2
	v_add_co_ci_u32_e64 v6, null, s7, 0, s2
	v_lshlrev_b64 v[12:13], 2, v[11:12]
	s_add_u32 s0, s12, s0
	s_addc_u32 s1, s13, s1
	v_add_co_u32 v0, s0, s0, v3
	v_add_co_ci_u32_e64 v11, null, s1, v4, s0
	v_add_co_u32 v12, s0, s3, v12
	v_cmp_gt_i64_e32 vcc_lo, s[20:21], v[5:6]
	v_lshlrev_b64 v[3:4], 2, v[5:6]
	v_add_co_ci_u32_e64 v13, null, s5, v13, s0
	s_and_saveexec_b32 s1, vcc_lo
	s_cbranch_execz .LBB330_24
; %bb.23:
	v_add_co_u32 v14, s0, v0, v3
	v_add_co_ci_u32_e64 v15, null, v11, v4, s0
	global_load_dword v14, v[14:15], off
	s_waitcnt vmcnt(0)
	v_mul_f32_e32 v16, s9, v14
	v_add_co_u32 v14, s0, v12, v3
	v_add_co_ci_u32_e64 v15, null, v13, v4, s0
	v_fmac_f32_e32 v16, s4, v10
	global_store_dword v[14:15], v16, off
.LBB330_24:
	s_or_b32 exec_lo, exec_lo, s1
	v_add_co_u32 v5, s0, v5, 16
	v_add_co_ci_u32_e64 v6, null, 0, v6, s0
	v_cmp_gt_i64_e64 s0, s[20:21], v[5:6]
	s_and_saveexec_b32 s2, s0
	s_cbranch_execz .LBB330_26
; %bb.25:
	v_add_co_u32 v5, s1, v0, v3
	v_add_co_ci_u32_e64 v6, null, v11, v4, s1
	global_load_dword v5, v[5:6], off offset:64
	s_waitcnt vmcnt(0)
	v_mul_f32_e32 v10, s9, v5
	v_add_co_u32 v5, s1, v12, v3
	v_add_co_ci_u32_e64 v6, null, v13, v4, s1
	v_fmac_f32_e32 v10, s4, v9
	global_store_dword v[5:6], v10, off offset:64
.LBB330_26:
	s_or_b32 exec_lo, exec_lo, s2
	v_add_co_u32 v1, s1, v1, 16
	v_add_co_ci_u32_e64 v2, null, 0, v2, s1
	v_cmp_gt_i64_e64 s1, s[22:23], v[1:2]
	s_and_b32 exec_lo, exec_lo, s1
	s_cbranch_execz .LBB330_19
; %bb.27:
	s_lshl_b64 s[2:3], s[14:15], 6
	v_add_co_u32 v0, s1, v0, s2
	v_add_co_ci_u32_e64 v1, null, s3, v11, s1
	s_lshl_b64 s[2:3], s[24:25], 6
	v_add_co_u32 v2, s1, v12, s2
	v_add_co_ci_u32_e64 v5, null, s3, v13, s1
	v_add_co_u32 v0, s1, v0, v3
	v_add_co_ci_u32_e64 v1, null, v1, v4, s1
	;; [unrolled: 2-line block ×3, first 2 shown]
	s_and_saveexec_b32 s1, vcc_lo
	s_cbranch_execz .LBB330_29
; %bb.28:
	global_load_dword v4, v[0:1], off
	s_waitcnt vmcnt(0)
	v_mul_f32_e32 v4, s9, v4
	v_fmac_f32_e32 v4, s4, v8
	global_store_dword v[2:3], v4, off
.LBB330_29:
	s_or_b32 exec_lo, exec_lo, s1
	s_and_b32 exec_lo, exec_lo, s0
	s_cbranch_execz .LBB330_19
; %bb.30:
	global_load_dword v0, v[0:1], off offset:64
	s_waitcnt vmcnt(0)
	v_mul_f32_e32 v0, s9, v0
	v_fmac_f32_e32 v0, s4, v7
	global_store_dword v[2:3], v0, off offset:64
	s_endpgm
	.section	.rodata,"a",@progbits
	.p2align	6, 0x0
	.amdhsa_kernel _ZN12_GLOBAL__N_135rocblas_gemm_batched_general_kernelIfLi16ELi16ELi32ELi32ELi8ELi32ELi8ELi8ELi32ELc67ELc78EKfS1_fEEvlllT_PT11_llS4_llS2_PT12_llPT13_lli
		.amdhsa_group_segment_fixed_size 2048
		.amdhsa_private_segment_fixed_size 0
		.amdhsa_kernarg_size 140
		.amdhsa_user_sgpr_count 6
		.amdhsa_user_sgpr_private_segment_buffer 1
		.amdhsa_user_sgpr_dispatch_ptr 0
		.amdhsa_user_sgpr_queue_ptr 0
		.amdhsa_user_sgpr_kernarg_segment_ptr 1
		.amdhsa_user_sgpr_dispatch_id 0
		.amdhsa_user_sgpr_flat_scratch_init 0
		.amdhsa_user_sgpr_private_segment_size 0
		.amdhsa_wavefront_size32 1
		.amdhsa_uses_dynamic_stack 0
		.amdhsa_system_sgpr_private_segment_wavefront_offset 0
		.amdhsa_system_sgpr_workgroup_id_x 1
		.amdhsa_system_sgpr_workgroup_id_y 1
		.amdhsa_system_sgpr_workgroup_id_z 1
		.amdhsa_system_sgpr_workgroup_info 0
		.amdhsa_system_vgpr_workitem_id 1
		.amdhsa_next_free_vgpr 44
		.amdhsa_next_free_sgpr 28
		.amdhsa_reserve_vcc 1
		.amdhsa_reserve_flat_scratch 0
		.amdhsa_float_round_mode_32 0
		.amdhsa_float_round_mode_16_64 0
		.amdhsa_float_denorm_mode_32 3
		.amdhsa_float_denorm_mode_16_64 3
		.amdhsa_dx10_clamp 1
		.amdhsa_ieee_mode 1
		.amdhsa_fp16_overflow 0
		.amdhsa_workgroup_processor_mode 1
		.amdhsa_memory_ordered 1
		.amdhsa_forward_progress 1
		.amdhsa_shared_vgpr_count 0
		.amdhsa_exception_fp_ieee_invalid_op 0
		.amdhsa_exception_fp_denorm_src 0
		.amdhsa_exception_fp_ieee_div_zero 0
		.amdhsa_exception_fp_ieee_overflow 0
		.amdhsa_exception_fp_ieee_underflow 0
		.amdhsa_exception_fp_ieee_inexact 0
		.amdhsa_exception_int_div_zero 0
	.end_amdhsa_kernel
	.section	.text._ZN12_GLOBAL__N_135rocblas_gemm_batched_general_kernelIfLi16ELi16ELi32ELi32ELi8ELi32ELi8ELi8ELi32ELc67ELc78EKfS1_fEEvlllT_PT11_llS4_llS2_PT12_llPT13_lli,"axG",@progbits,_ZN12_GLOBAL__N_135rocblas_gemm_batched_general_kernelIfLi16ELi16ELi32ELi32ELi8ELi32ELi8ELi8ELi32ELc67ELc78EKfS1_fEEvlllT_PT11_llS4_llS2_PT12_llPT13_lli,comdat
.Lfunc_end330:
	.size	_ZN12_GLOBAL__N_135rocblas_gemm_batched_general_kernelIfLi16ELi16ELi32ELi32ELi8ELi32ELi8ELi8ELi32ELc67ELc78EKfS1_fEEvlllT_PT11_llS4_llS2_PT12_llPT13_lli, .Lfunc_end330-_ZN12_GLOBAL__N_135rocblas_gemm_batched_general_kernelIfLi16ELi16ELi32ELi32ELi8ELi32ELi8ELi8ELi32ELc67ELc78EKfS1_fEEvlllT_PT11_llS4_llS2_PT12_llPT13_lli
                                        ; -- End function
	.set _ZN12_GLOBAL__N_135rocblas_gemm_batched_general_kernelIfLi16ELi16ELi32ELi32ELi8ELi32ELi8ELi8ELi32ELc67ELc78EKfS1_fEEvlllT_PT11_llS4_llS2_PT12_llPT13_lli.num_vgpr, 44
	.set _ZN12_GLOBAL__N_135rocblas_gemm_batched_general_kernelIfLi16ELi16ELi32ELi32ELi8ELi32ELi8ELi8ELi32ELc67ELc78EKfS1_fEEvlllT_PT11_llS4_llS2_PT12_llPT13_lli.num_agpr, 0
	.set _ZN12_GLOBAL__N_135rocblas_gemm_batched_general_kernelIfLi16ELi16ELi32ELi32ELi8ELi32ELi8ELi8ELi32ELc67ELc78EKfS1_fEEvlllT_PT11_llS4_llS2_PT12_llPT13_lli.numbered_sgpr, 28
	.set _ZN12_GLOBAL__N_135rocblas_gemm_batched_general_kernelIfLi16ELi16ELi32ELi32ELi8ELi32ELi8ELi8ELi32ELc67ELc78EKfS1_fEEvlllT_PT11_llS4_llS2_PT12_llPT13_lli.num_named_barrier, 0
	.set _ZN12_GLOBAL__N_135rocblas_gemm_batched_general_kernelIfLi16ELi16ELi32ELi32ELi8ELi32ELi8ELi8ELi32ELc67ELc78EKfS1_fEEvlllT_PT11_llS4_llS2_PT12_llPT13_lli.private_seg_size, 0
	.set _ZN12_GLOBAL__N_135rocblas_gemm_batched_general_kernelIfLi16ELi16ELi32ELi32ELi8ELi32ELi8ELi8ELi32ELc67ELc78EKfS1_fEEvlllT_PT11_llS4_llS2_PT12_llPT13_lli.uses_vcc, 1
	.set _ZN12_GLOBAL__N_135rocblas_gemm_batched_general_kernelIfLi16ELi16ELi32ELi32ELi8ELi32ELi8ELi8ELi32ELc67ELc78EKfS1_fEEvlllT_PT11_llS4_llS2_PT12_llPT13_lli.uses_flat_scratch, 0
	.set _ZN12_GLOBAL__N_135rocblas_gemm_batched_general_kernelIfLi16ELi16ELi32ELi32ELi8ELi32ELi8ELi8ELi32ELc67ELc78EKfS1_fEEvlllT_PT11_llS4_llS2_PT12_llPT13_lli.has_dyn_sized_stack, 0
	.set _ZN12_GLOBAL__N_135rocblas_gemm_batched_general_kernelIfLi16ELi16ELi32ELi32ELi8ELi32ELi8ELi8ELi32ELc67ELc78EKfS1_fEEvlllT_PT11_llS4_llS2_PT12_llPT13_lli.has_recursion, 0
	.set _ZN12_GLOBAL__N_135rocblas_gemm_batched_general_kernelIfLi16ELi16ELi32ELi32ELi8ELi32ELi8ELi8ELi32ELc67ELc78EKfS1_fEEvlllT_PT11_llS4_llS2_PT12_llPT13_lli.has_indirect_call, 0
	.section	.AMDGPU.csdata,"",@progbits
; Kernel info:
; codeLenInByte = 1880
; TotalNumSgprs: 30
; NumVgprs: 44
; ScratchSize: 0
; MemoryBound: 0
; FloatMode: 240
; IeeeMode: 1
; LDSByteSize: 2048 bytes/workgroup (compile time only)
; SGPRBlocks: 0
; VGPRBlocks: 5
; NumSGPRsForWavesPerEU: 30
; NumVGPRsForWavesPerEU: 44
; Occupancy: 16
; WaveLimiterHint : 0
; COMPUTE_PGM_RSRC2:SCRATCH_EN: 0
; COMPUTE_PGM_RSRC2:USER_SGPR: 6
; COMPUTE_PGM_RSRC2:TRAP_HANDLER: 0
; COMPUTE_PGM_RSRC2:TGID_X_EN: 1
; COMPUTE_PGM_RSRC2:TGID_Y_EN: 1
; COMPUTE_PGM_RSRC2:TGID_Z_EN: 1
; COMPUTE_PGM_RSRC2:TIDIG_COMP_CNT: 1
	.section	.text._ZN12_GLOBAL__N_135rocblas_gemm_batched_general_kernelIfLi16ELi16ELi32ELi32ELi8ELi32ELi8ELi8ELi32ELc67ELc84EKfS1_fEEvlllT_PT11_llS4_llS2_PT12_llPT13_lli,"axG",@progbits,_ZN12_GLOBAL__N_135rocblas_gemm_batched_general_kernelIfLi16ELi16ELi32ELi32ELi8ELi32ELi8ELi8ELi32ELc67ELc84EKfS1_fEEvlllT_PT11_llS4_llS2_PT12_llPT13_lli,comdat
	.globl	_ZN12_GLOBAL__N_135rocblas_gemm_batched_general_kernelIfLi16ELi16ELi32ELi32ELi8ELi32ELi8ELi8ELi32ELc67ELc84EKfS1_fEEvlllT_PT11_llS4_llS2_PT12_llPT13_lli ; -- Begin function _ZN12_GLOBAL__N_135rocblas_gemm_batched_general_kernelIfLi16ELi16ELi32ELi32ELi8ELi32ELi8ELi8ELi32ELc67ELc84EKfS1_fEEvlllT_PT11_llS4_llS2_PT12_llPT13_lli
	.p2align	8
	.type	_ZN12_GLOBAL__N_135rocblas_gemm_batched_general_kernelIfLi16ELi16ELi32ELi32ELi8ELi32ELi8ELi8ELi32ELc67ELc84EKfS1_fEEvlllT_PT11_llS4_llS2_PT12_llPT13_lli,@function
_ZN12_GLOBAL__N_135rocblas_gemm_batched_general_kernelIfLi16ELi16ELi32ELi32ELi8ELi32ELi8ELi8ELi32ELc67ELc84EKfS1_fEEvlllT_PT11_llS4_llS2_PT12_llPT13_lli: ; @_ZN12_GLOBAL__N_135rocblas_gemm_batched_general_kernelIfLi16ELi16ELi32ELi32ELi8ELi32ELi8ELi8ELi32ELc67ELc84EKfS1_fEEvlllT_PT11_llS4_llS2_PT12_llPT13_lli
; %bb.0:
	s_clause 0x1
	s_load_dwordx2 s[10:11], s[4:5], 0x10
	s_load_dwordx4 s[20:23], s[4:5], 0x0
	s_mov_b32 s0, s7
	v_mov_b32_e32 v10, 0
	v_mov_b32_e32 v9, 0
	;; [unrolled: 1-line block ×4, first 2 shown]
	s_ashr_i32 s7, s6, 31
	s_ashr_i32 s1, s0, 31
	s_lshl_b64 s[6:7], s[6:7], 5
	s_waitcnt lgkmcnt(0)
	v_cmp_lt_i64_e64 s2, s[10:11], 1
	s_and_b32 vcc_lo, exec_lo, s2
	s_lshl_b64 s[2:3], s[0:1], 5
	s_cbranch_vccnz .LBB331_7
; %bb.1:
	s_clause 0x1
	s_load_dwordx4 s[24:27], s[4:5], 0x40
	s_load_dwordx8 s[12:19], s[4:5], 0x20
	v_lshl_add_u32 v2, v1, 4, v0
	v_and_b32_e32 v6, 7, v0
	v_mov_b32_e32 v3, s7
	s_lshl_b64 s[28:29], s[0:1], 7
	v_mov_b32_e32 v7, 0
	v_and_b32_e32 v14, 31, v2
	v_lshrrev_b32_e32 v10, 3, v2
	v_lshrrev_b32_e32 v13, 5, v2
	v_lshlrev_b32_e32 v15, 2, v6
	v_lshlrev_b32_e32 v11, 2, v0
	v_or_b32_e32 v2, s6, v14
	v_add_co_u32 v8, s0, v10, s2
	v_add_co_ci_u32_e64 v9, null, 0, s3, s0
	v_add_co_u32 v17, s0, s6, v14
	v_add_co_ci_u32_e64 v18, null, s7, 0, s0
	s_waitcnt lgkmcnt(0)
	v_mad_u64_u32 v[4:5], null, s24, v6, 0
	v_cmp_gt_i64_e64 s0, s[20:21], v[2:3]
	v_cmp_gt_i64_e64 s1, s[22:23], v[8:9]
	v_mul_lo_u32 v8, s15, v17
	v_mul_lo_u32 v9, s14, v18
	s_mul_i32 s9, s27, s8
	s_mul_hi_u32 s27, s26, s8
	v_mad_u64_u32 v[2:3], null, s25, v6, v[5:6]
	s_mul_i32 s26, s26, s8
	s_add_i32 s27, s27, s9
	s_mul_i32 s9, s17, s8
	s_mul_hi_u32 s17, s16, s8
	v_lshlrev_b32_e32 v16, 2, v14
	v_lshl_or_b32 v15, v10, 5, v15
	v_mov_b32_e32 v5, v2
	v_mad_u64_u32 v[2:3], null, s14, v17, 0
	s_lshl_b64 s[14:15], s[26:27], 2
	v_lshl_add_u32 v12, v1, 5, 0x400
	v_lshlrev_b64 v[4:5], 2, v[4:5]
	s_add_u32 s14, s28, s14
	s_addc_u32 s15, s29, s15
	v_lshl_or_b32 v14, v13, 7, v16
	v_add3_u32 v3, v3, v9, v8
	v_lshlrev_b32_e32 v8, 2, v10
	v_add_co_u32 v4, vcc_lo, s14, v4
	v_add_co_ci_u32_e64 v5, null, s15, v5, vcc_lo
	v_lshlrev_b64 v[2:3], 2, v[2:3]
	s_add_i32 s15, s17, s9
	s_mul_i32 s14, s16, s8
	v_lshlrev_b32_e32 v9, 2, v13
	s_lshl_b64 s[14:15], s[14:15], 2
	v_add_nc_u32_e32 v15, 0x400, v15
	v_add_co_u32 v2, vcc_lo, v2, s14
	v_add_co_ci_u32_e64 v3, null, s15, v3, vcc_lo
	v_add_co_u32 v4, vcc_lo, v4, v8
	v_add_co_ci_u32_e64 v5, null, 0, v5, vcc_lo
	;; [unrolled: 2-line block ×5, first 2 shown]
	v_mov_b32_e32 v8, 0
	v_mov_b32_e32 v9, 0
	;; [unrolled: 1-line block ×3, first 2 shown]
	s_lshl_b64 s[12:13], s[24:25], 5
	s_mov_b64 s[14:15], 0
	s_branch .LBB331_3
.LBB331_2:                              ;   in Loop: Header=BB331_3 Depth=1
	s_or_b32 exec_lo, exec_lo, s9
	s_waitcnt vmcnt(0)
	ds_write_b32 v15, v17
	s_waitcnt lgkmcnt(0)
	s_barrier
	buffer_gl0_inv
	ds_read_b128 v[16:19], v12
	ds_read2_b32 v[32:33], v11 offset1:16
	ds_read_b128 v[20:23], v12 offset:512
	ds_read2_b32 v[34:35], v11 offset0:32 offset1:48
	ds_read2_b32 v[36:37], v11 offset0:64 offset1:80
	;; [unrolled: 1-line block ×3, first 2 shown]
	ds_read_b128 v[24:27], v12 offset:16
	ds_read2_b32 v[40:41], v11 offset0:128 offset1:144
	ds_read_b128 v[28:31], v12 offset:528
	ds_read2_b32 v[42:43], v11 offset0:160 offset1:176
	s_add_u32 s14, s14, 8
	s_addc_u32 s15, s15, 0
	v_add_co_u32 v2, vcc_lo, v2, s12
	v_cmp_lt_i64_e64 s9, s[14:15], s[10:11]
	v_add_co_ci_u32_e64 v3, null, s13, v3, vcc_lo
	v_add_co_u32 v4, vcc_lo, v4, 32
	v_add_co_ci_u32_e64 v5, null, 0, v5, vcc_lo
	s_waitcnt lgkmcnt(8)
	v_fmac_f32_e32 v10, v32, v16
	v_fmac_f32_e32 v9, v33, v16
	s_waitcnt lgkmcnt(7)
	v_fmac_f32_e32 v8, v32, v20
	v_fmac_f32_e32 v7, v33, v20
	ds_read2_b32 v[32:33], v11 offset0:192 offset1:208
	s_waitcnt lgkmcnt(7)
	v_fmac_f32_e32 v10, v34, v17
	v_fmac_f32_e32 v9, v35, v17
	v_fmac_f32_e32 v8, v34, v21
	v_fmac_f32_e32 v7, v35, v21
	ds_read2_b32 v[16:17], v11 offset0:224 offset1:240
	s_waitcnt lgkmcnt(7)
	v_fmac_f32_e32 v10, v36, v18
	v_fmac_f32_e32 v9, v37, v18
	;; [unrolled: 1-line block ×4, first 2 shown]
	s_and_b32 vcc_lo, exec_lo, s9
	s_waitcnt lgkmcnt(6)
	v_fmac_f32_e32 v10, v38, v19
	v_fmac_f32_e32 v9, v39, v19
	;; [unrolled: 1-line block ×4, first 2 shown]
	s_waitcnt lgkmcnt(0)
	v_fmac_f32_e32 v10, v40, v24
	v_fmac_f32_e32 v9, v41, v24
	;; [unrolled: 1-line block ×4, first 2 shown]
	s_barrier
	v_fmac_f32_e32 v10, v42, v25
	v_fmac_f32_e32 v9, v43, v25
	;; [unrolled: 1-line block ×4, first 2 shown]
	buffer_gl0_inv
	v_fmac_f32_e32 v10, v32, v26
	v_fmac_f32_e32 v9, v33, v26
	;; [unrolled: 1-line block ×8, first 2 shown]
	s_cbranch_vccz .LBB331_7
.LBB331_3:                              ; =>This Inner Loop Header: Depth=1
	v_add_co_u32 v16, s9, v13, s14
	v_add_co_ci_u32_e64 v17, null, 0, s15, s9
	v_cmp_gt_i64_e32 vcc_lo, s[10:11], v[16:17]
	v_mov_b32_e32 v16, 0
	s_and_b32 s16, s0, vcc_lo
	s_and_saveexec_b32 s9, s16
	s_cbranch_execz .LBB331_5
; %bb.4:                                ;   in Loop: Header=BB331_3 Depth=1
	global_load_dword v16, v[4:5], off
.LBB331_5:                              ;   in Loop: Header=BB331_3 Depth=1
	s_or_b32 exec_lo, exec_lo, s9
	v_add_co_u32 v17, s9, v6, s14
	v_add_co_ci_u32_e64 v18, null, 0, s15, s9
	s_waitcnt vmcnt(0)
	ds_write_b32 v14, v16
	v_cmp_gt_i64_e32 vcc_lo, s[10:11], v[17:18]
	v_mov_b32_e32 v17, 0
	s_and_b32 s16, vcc_lo, s1
	s_and_saveexec_b32 s9, s16
	s_cbranch_execz .LBB331_2
; %bb.6:                                ;   in Loop: Header=BB331_3 Depth=1
	global_load_dword v17, v[2:3], off
	s_branch .LBB331_2
.LBB331_7:
	s_clause 0x3
	s_load_dwordx4 s[24:27], s[4:5], 0x78
	s_load_dword s9, s[4:5], 0x50
	s_load_dwordx8 s[12:19], s[4:5], 0x58
	s_load_dword s4, s[4:5], 0x18
	v_add_co_u32 v1, s0, s2, v1
	v_add_co_ci_u32_e64 v2, null, s3, 0, s0
	s_waitcnt lgkmcnt(0)
	s_mul_i32 s1, s27, s8
	s_mul_hi_u32 s2, s26, s8
	s_mul_i32 s0, s26, s8
	s_add_i32 s1, s2, s1
	v_cmp_neq_f32_e64 s2, s9, 0
	s_lshl_b64 s[10:11], s[0:1], 2
	v_cmp_gt_i64_e64 s0, s[22:23], v[1:2]
	s_add_u32 s3, s18, s10
	s_addc_u32 s5, s19, s11
	s_and_b32 vcc_lo, exec_lo, s2
	s_cbranch_vccnz .LBB331_20
; %bb.8:
	s_and_saveexec_b32 s10, s0
	s_cbranch_execz .LBB331_18
; %bb.9:
	v_mul_lo_u32 v5, v2, s24
	v_mul_lo_u32 v6, v1, s25
	v_mad_u64_u32 v[3:4], null, v1, s24, 0
	v_add3_u32 v4, v4, v6, v5
	v_add_co_u32 v5, s1, s6, v0
	v_add_co_ci_u32_e64 v6, null, s7, 0, s1
	v_lshlrev_b64 v[11:12], 2, v[3:4]
	v_cmp_gt_i64_e32 vcc_lo, s[20:21], v[5:6]
	v_lshlrev_b64 v[3:4], 2, v[5:6]
	v_add_co_u32 v11, s1, s3, v11
	v_add_co_ci_u32_e64 v12, null, s5, v12, s1
	s_and_saveexec_b32 s2, vcc_lo
	s_cbranch_execz .LBB331_11
; %bb.10:
	v_add_co_u32 v13, s1, v11, v3
	v_add_co_ci_u32_e64 v14, null, v12, v4, s1
	v_mul_f32_e32 v15, s4, v10
	global_store_dword v[13:14], v15, off
.LBB331_11:
	s_or_b32 exec_lo, exec_lo, s2
	v_add_co_u32 v5, s1, v5, 16
	v_add_co_ci_u32_e64 v6, null, 0, v6, s1
	v_cmp_gt_i64_e64 s1, s[20:21], v[5:6]
	s_and_saveexec_b32 s11, s1
	s_cbranch_execz .LBB331_13
; %bb.12:
	v_add_co_u32 v5, s2, v11, v3
	v_add_co_ci_u32_e64 v6, null, v12, v4, s2
	v_mul_f32_e32 v13, s4, v9
	global_store_dword v[5:6], v13, off offset:64
.LBB331_13:
	s_or_b32 exec_lo, exec_lo, s11
	v_add_co_u32 v5, s2, v1, 16
	v_add_co_ci_u32_e64 v6, null, 0, v2, s2
	v_cmp_gt_i64_e64 s2, s[22:23], v[5:6]
	s_and_b32 exec_lo, exec_lo, s2
	s_cbranch_execz .LBB331_18
; %bb.14:
	s_lshl_b64 s[18:19], s[24:25], 6
	v_add_co_u32 v5, s2, v11, s18
	v_add_co_ci_u32_e64 v6, null, s19, v12, s2
	v_add_co_u32 v3, s2, v5, v3
	v_add_co_ci_u32_e64 v4, null, v6, v4, s2
	s_and_saveexec_b32 s2, vcc_lo
	s_cbranch_execz .LBB331_16
; %bb.15:
	v_mul_f32_e32 v5, s4, v8
	global_store_dword v[3:4], v5, off
.LBB331_16:
	s_or_b32 exec_lo, exec_lo, s2
	s_and_b32 exec_lo, exec_lo, s1
	s_cbranch_execz .LBB331_18
; %bb.17:
	v_mul_f32_e32 v5, s4, v7
	global_store_dword v[3:4], v5, off offset:64
.LBB331_18:
	s_or_b32 exec_lo, exec_lo, s10
	s_cbranch_execz .LBB331_21
.LBB331_19:
	s_endpgm
.LBB331_20:
.LBB331_21:
	s_and_saveexec_b32 s1, s0
	s_cbranch_execz .LBB331_19
; %bb.22:
	v_mul_lo_u32 v5, v2, s14
	v_mul_lo_u32 v6, v1, s15
	v_mad_u64_u32 v[3:4], null, v1, s14, 0
	v_mul_lo_u32 v13, v2, s24
	v_mul_lo_u32 v14, v1, s25
	v_mad_u64_u32 v[11:12], null, v1, s24, 0
	s_mul_i32 s0, s17, s8
	s_mul_hi_u32 s1, s16, s8
	v_add3_u32 v4, v4, v6, v5
	s_add_i32 s1, s1, s0
	s_mul_i32 s0, s16, s8
	v_add_co_u32 v5, s2, s6, v0
	v_add3_u32 v12, v12, v14, v13
	v_lshlrev_b64 v[3:4], 2, v[3:4]
	s_lshl_b64 s[0:1], s[0:1], 2
	v_add_co_ci_u32_e64 v6, null, s7, 0, s2
	v_lshlrev_b64 v[12:13], 2, v[11:12]
	s_add_u32 s0, s12, s0
	s_addc_u32 s1, s13, s1
	v_add_co_u32 v0, s0, s0, v3
	v_add_co_ci_u32_e64 v11, null, s1, v4, s0
	v_add_co_u32 v12, s0, s3, v12
	v_cmp_gt_i64_e32 vcc_lo, s[20:21], v[5:6]
	v_lshlrev_b64 v[3:4], 2, v[5:6]
	v_add_co_ci_u32_e64 v13, null, s5, v13, s0
	s_and_saveexec_b32 s1, vcc_lo
	s_cbranch_execz .LBB331_24
; %bb.23:
	v_add_co_u32 v14, s0, v0, v3
	v_add_co_ci_u32_e64 v15, null, v11, v4, s0
	global_load_dword v14, v[14:15], off
	s_waitcnt vmcnt(0)
	v_mul_f32_e32 v16, s9, v14
	v_add_co_u32 v14, s0, v12, v3
	v_add_co_ci_u32_e64 v15, null, v13, v4, s0
	v_fmac_f32_e32 v16, s4, v10
	global_store_dword v[14:15], v16, off
.LBB331_24:
	s_or_b32 exec_lo, exec_lo, s1
	v_add_co_u32 v5, s0, v5, 16
	v_add_co_ci_u32_e64 v6, null, 0, v6, s0
	v_cmp_gt_i64_e64 s0, s[20:21], v[5:6]
	s_and_saveexec_b32 s2, s0
	s_cbranch_execz .LBB331_26
; %bb.25:
	v_add_co_u32 v5, s1, v0, v3
	v_add_co_ci_u32_e64 v6, null, v11, v4, s1
	global_load_dword v5, v[5:6], off offset:64
	s_waitcnt vmcnt(0)
	v_mul_f32_e32 v10, s9, v5
	v_add_co_u32 v5, s1, v12, v3
	v_add_co_ci_u32_e64 v6, null, v13, v4, s1
	v_fmac_f32_e32 v10, s4, v9
	global_store_dword v[5:6], v10, off offset:64
.LBB331_26:
	s_or_b32 exec_lo, exec_lo, s2
	v_add_co_u32 v1, s1, v1, 16
	v_add_co_ci_u32_e64 v2, null, 0, v2, s1
	v_cmp_gt_i64_e64 s1, s[22:23], v[1:2]
	s_and_b32 exec_lo, exec_lo, s1
	s_cbranch_execz .LBB331_19
; %bb.27:
	s_lshl_b64 s[2:3], s[14:15], 6
	v_add_co_u32 v0, s1, v0, s2
	v_add_co_ci_u32_e64 v1, null, s3, v11, s1
	s_lshl_b64 s[2:3], s[24:25], 6
	v_add_co_u32 v2, s1, v12, s2
	v_add_co_ci_u32_e64 v5, null, s3, v13, s1
	v_add_co_u32 v0, s1, v0, v3
	v_add_co_ci_u32_e64 v1, null, v1, v4, s1
	v_add_co_u32 v2, s1, v2, v3
	v_add_co_ci_u32_e64 v3, null, v5, v4, s1
	s_and_saveexec_b32 s1, vcc_lo
	s_cbranch_execz .LBB331_29
; %bb.28:
	global_load_dword v4, v[0:1], off
	s_waitcnt vmcnt(0)
	v_mul_f32_e32 v4, s9, v4
	v_fmac_f32_e32 v4, s4, v8
	global_store_dword v[2:3], v4, off
.LBB331_29:
	s_or_b32 exec_lo, exec_lo, s1
	s_and_b32 exec_lo, exec_lo, s0
	s_cbranch_execz .LBB331_19
; %bb.30:
	global_load_dword v0, v[0:1], off offset:64
	s_waitcnt vmcnt(0)
	v_mul_f32_e32 v0, s9, v0
	v_fmac_f32_e32 v0, s4, v7
	global_store_dword v[2:3], v0, off offset:64
	s_endpgm
	.section	.rodata,"a",@progbits
	.p2align	6, 0x0
	.amdhsa_kernel _ZN12_GLOBAL__N_135rocblas_gemm_batched_general_kernelIfLi16ELi16ELi32ELi32ELi8ELi32ELi8ELi8ELi32ELc67ELc84EKfS1_fEEvlllT_PT11_llS4_llS2_PT12_llPT13_lli
		.amdhsa_group_segment_fixed_size 2048
		.amdhsa_private_segment_fixed_size 0
		.amdhsa_kernarg_size 140
		.amdhsa_user_sgpr_count 6
		.amdhsa_user_sgpr_private_segment_buffer 1
		.amdhsa_user_sgpr_dispatch_ptr 0
		.amdhsa_user_sgpr_queue_ptr 0
		.amdhsa_user_sgpr_kernarg_segment_ptr 1
		.amdhsa_user_sgpr_dispatch_id 0
		.amdhsa_user_sgpr_flat_scratch_init 0
		.amdhsa_user_sgpr_private_segment_size 0
		.amdhsa_wavefront_size32 1
		.amdhsa_uses_dynamic_stack 0
		.amdhsa_system_sgpr_private_segment_wavefront_offset 0
		.amdhsa_system_sgpr_workgroup_id_x 1
		.amdhsa_system_sgpr_workgroup_id_y 1
		.amdhsa_system_sgpr_workgroup_id_z 1
		.amdhsa_system_sgpr_workgroup_info 0
		.amdhsa_system_vgpr_workitem_id 1
		.amdhsa_next_free_vgpr 44
		.amdhsa_next_free_sgpr 30
		.amdhsa_reserve_vcc 1
		.amdhsa_reserve_flat_scratch 0
		.amdhsa_float_round_mode_32 0
		.amdhsa_float_round_mode_16_64 0
		.amdhsa_float_denorm_mode_32 3
		.amdhsa_float_denorm_mode_16_64 3
		.amdhsa_dx10_clamp 1
		.amdhsa_ieee_mode 1
		.amdhsa_fp16_overflow 0
		.amdhsa_workgroup_processor_mode 1
		.amdhsa_memory_ordered 1
		.amdhsa_forward_progress 1
		.amdhsa_shared_vgpr_count 0
		.amdhsa_exception_fp_ieee_invalid_op 0
		.amdhsa_exception_fp_denorm_src 0
		.amdhsa_exception_fp_ieee_div_zero 0
		.amdhsa_exception_fp_ieee_overflow 0
		.amdhsa_exception_fp_ieee_underflow 0
		.amdhsa_exception_fp_ieee_inexact 0
		.amdhsa_exception_int_div_zero 0
	.end_amdhsa_kernel
	.section	.text._ZN12_GLOBAL__N_135rocblas_gemm_batched_general_kernelIfLi16ELi16ELi32ELi32ELi8ELi32ELi8ELi8ELi32ELc67ELc84EKfS1_fEEvlllT_PT11_llS4_llS2_PT12_llPT13_lli,"axG",@progbits,_ZN12_GLOBAL__N_135rocblas_gemm_batched_general_kernelIfLi16ELi16ELi32ELi32ELi8ELi32ELi8ELi8ELi32ELc67ELc84EKfS1_fEEvlllT_PT11_llS4_llS2_PT12_llPT13_lli,comdat
.Lfunc_end331:
	.size	_ZN12_GLOBAL__N_135rocblas_gemm_batched_general_kernelIfLi16ELi16ELi32ELi32ELi8ELi32ELi8ELi8ELi32ELc67ELc84EKfS1_fEEvlllT_PT11_llS4_llS2_PT12_llPT13_lli, .Lfunc_end331-_ZN12_GLOBAL__N_135rocblas_gemm_batched_general_kernelIfLi16ELi16ELi32ELi32ELi8ELi32ELi8ELi8ELi32ELc67ELc84EKfS1_fEEvlllT_PT11_llS4_llS2_PT12_llPT13_lli
                                        ; -- End function
	.set _ZN12_GLOBAL__N_135rocblas_gemm_batched_general_kernelIfLi16ELi16ELi32ELi32ELi8ELi32ELi8ELi8ELi32ELc67ELc84EKfS1_fEEvlllT_PT11_llS4_llS2_PT12_llPT13_lli.num_vgpr, 44
	.set _ZN12_GLOBAL__N_135rocblas_gemm_batched_general_kernelIfLi16ELi16ELi32ELi32ELi8ELi32ELi8ELi8ELi32ELc67ELc84EKfS1_fEEvlllT_PT11_llS4_llS2_PT12_llPT13_lli.num_agpr, 0
	.set _ZN12_GLOBAL__N_135rocblas_gemm_batched_general_kernelIfLi16ELi16ELi32ELi32ELi8ELi32ELi8ELi8ELi32ELc67ELc84EKfS1_fEEvlllT_PT11_llS4_llS2_PT12_llPT13_lli.numbered_sgpr, 30
	.set _ZN12_GLOBAL__N_135rocblas_gemm_batched_general_kernelIfLi16ELi16ELi32ELi32ELi8ELi32ELi8ELi8ELi32ELc67ELc84EKfS1_fEEvlllT_PT11_llS4_llS2_PT12_llPT13_lli.num_named_barrier, 0
	.set _ZN12_GLOBAL__N_135rocblas_gemm_batched_general_kernelIfLi16ELi16ELi32ELi32ELi8ELi32ELi8ELi8ELi32ELc67ELc84EKfS1_fEEvlllT_PT11_llS4_llS2_PT12_llPT13_lli.private_seg_size, 0
	.set _ZN12_GLOBAL__N_135rocblas_gemm_batched_general_kernelIfLi16ELi16ELi32ELi32ELi8ELi32ELi8ELi8ELi32ELc67ELc84EKfS1_fEEvlllT_PT11_llS4_llS2_PT12_llPT13_lli.uses_vcc, 1
	.set _ZN12_GLOBAL__N_135rocblas_gemm_batched_general_kernelIfLi16ELi16ELi32ELi32ELi8ELi32ELi8ELi8ELi32ELc67ELc84EKfS1_fEEvlllT_PT11_llS4_llS2_PT12_llPT13_lli.uses_flat_scratch, 0
	.set _ZN12_GLOBAL__N_135rocblas_gemm_batched_general_kernelIfLi16ELi16ELi32ELi32ELi8ELi32ELi8ELi8ELi32ELc67ELc84EKfS1_fEEvlllT_PT11_llS4_llS2_PT12_llPT13_lli.has_dyn_sized_stack, 0
	.set _ZN12_GLOBAL__N_135rocblas_gemm_batched_general_kernelIfLi16ELi16ELi32ELi32ELi8ELi32ELi8ELi8ELi32ELc67ELc84EKfS1_fEEvlllT_PT11_llS4_llS2_PT12_llPT13_lli.has_recursion, 0
	.set _ZN12_GLOBAL__N_135rocblas_gemm_batched_general_kernelIfLi16ELi16ELi32ELi32ELi8ELi32ELi8ELi8ELi32ELc67ELc84EKfS1_fEEvlllT_PT11_llS4_llS2_PT12_llPT13_lli.has_indirect_call, 0
	.section	.AMDGPU.csdata,"",@progbits
; Kernel info:
; codeLenInByte = 1892
; TotalNumSgprs: 32
; NumVgprs: 44
; ScratchSize: 0
; MemoryBound: 0
; FloatMode: 240
; IeeeMode: 1
; LDSByteSize: 2048 bytes/workgroup (compile time only)
; SGPRBlocks: 0
; VGPRBlocks: 5
; NumSGPRsForWavesPerEU: 32
; NumVGPRsForWavesPerEU: 44
; Occupancy: 16
; WaveLimiterHint : 0
; COMPUTE_PGM_RSRC2:SCRATCH_EN: 0
; COMPUTE_PGM_RSRC2:USER_SGPR: 6
; COMPUTE_PGM_RSRC2:TRAP_HANDLER: 0
; COMPUTE_PGM_RSRC2:TGID_X_EN: 1
; COMPUTE_PGM_RSRC2:TGID_Y_EN: 1
; COMPUTE_PGM_RSRC2:TGID_Z_EN: 1
; COMPUTE_PGM_RSRC2:TIDIG_COMP_CNT: 1
	.section	.text._ZN12_GLOBAL__N_135rocblas_gemm_batched_general_kernelIfLi16ELi16ELi32ELi32ELi8ELi32ELi8ELi8ELi32ELc78ELc67EKfS1_fEEvlllT_PT11_llS4_llS2_PT12_llPT13_lli,"axG",@progbits,_ZN12_GLOBAL__N_135rocblas_gemm_batched_general_kernelIfLi16ELi16ELi32ELi32ELi8ELi32ELi8ELi8ELi32ELc78ELc67EKfS1_fEEvlllT_PT11_llS4_llS2_PT12_llPT13_lli,comdat
	.globl	_ZN12_GLOBAL__N_135rocblas_gemm_batched_general_kernelIfLi16ELi16ELi32ELi32ELi8ELi32ELi8ELi8ELi32ELc78ELc67EKfS1_fEEvlllT_PT11_llS4_llS2_PT12_llPT13_lli ; -- Begin function _ZN12_GLOBAL__N_135rocblas_gemm_batched_general_kernelIfLi16ELi16ELi32ELi32ELi8ELi32ELi8ELi8ELi32ELc78ELc67EKfS1_fEEvlllT_PT11_llS4_llS2_PT12_llPT13_lli
	.p2align	8
	.type	_ZN12_GLOBAL__N_135rocblas_gemm_batched_general_kernelIfLi16ELi16ELi32ELi32ELi8ELi32ELi8ELi8ELi32ELc78ELc67EKfS1_fEEvlllT_PT11_llS4_llS2_PT12_llPT13_lli,@function
_ZN12_GLOBAL__N_135rocblas_gemm_batched_general_kernelIfLi16ELi16ELi32ELi32ELi8ELi32ELi8ELi8ELi32ELc78ELc67EKfS1_fEEvlllT_PT11_llS4_llS2_PT12_llPT13_lli: ; @_ZN12_GLOBAL__N_135rocblas_gemm_batched_general_kernelIfLi16ELi16ELi32ELi32ELi8ELi32ELi8ELi8ELi32ELc78ELc67EKfS1_fEEvlllT_PT11_llS4_llS2_PT12_llPT13_lli
; %bb.0:
	s_clause 0x1
	s_load_dwordx2 s[28:29], s[4:5], 0x10
	s_load_dwordx4 s[20:23], s[4:5], 0x0
	s_mov_b32 s0, s7
	v_mov_b32_e32 v10, 0
	v_mov_b32_e32 v9, 0
	;; [unrolled: 1-line block ×4, first 2 shown]
	s_ashr_i32 s7, s6, 31
	s_ashr_i32 s1, s0, 31
	s_lshl_b64 s[10:11], s[6:7], 5
	s_waitcnt lgkmcnt(0)
	v_cmp_lt_i64_e64 s2, s[28:29], 1
	s_and_b32 vcc_lo, exec_lo, s2
	s_lshl_b64 s[2:3], s[0:1], 5
	s_cbranch_vccnz .LBB332_7
; %bb.1:
	s_clause 0x1
	s_load_dwordx4 s[24:27], s[4:5], 0x40
	s_load_dwordx8 s[12:19], s[4:5], 0x20
	v_lshl_add_u32 v2, v1, 4, v0
	v_and_b32_e32 v6, 7, v0
	v_mov_b32_e32 v3, s11
	s_lshl_b64 s[30:31], s[0:1], 7
	v_mov_b32_e32 v7, 0
	v_and_b32_e32 v4, 31, v2
	v_lshrrev_b32_e32 v13, 5, v2
	v_lshrrev_b32_e32 v10, 3, v2
	v_lshlrev_b32_e32 v14, 2, v6
	v_lshlrev_b32_e32 v11, 2, v0
	v_or_b32_e32 v2, s10, v4
	v_lshlrev_b32_e32 v18, 2, v4
	v_add_co_u32 v8, s0, v10, s2
	v_add_co_ci_u32_e64 v9, null, 0, s3, s0
	v_cmp_gt_i64_e64 s0, s[20:21], v[2:3]
	v_lshl_or_b32 v15, v10, 5, v14
	s_waitcnt lgkmcnt(0)
	v_mad_u64_u32 v[4:5], null, s24, v6, 0
	v_mad_u64_u32 v[16:17], null, s14, v13, 0
	s_mul_i32 s9, s27, s8
	s_mul_hi_u32 s27, s26, s8
	s_mul_i32 s26, s26, s8
	s_add_i32 s27, s27, s9
	v_mov_b32_e32 v2, v5
	s_lshl_b64 s[26:27], s[26:27], 2
	s_mul_i32 s17, s17, s8
	s_mul_hi_u32 s33, s16, s8
	s_add_u32 s9, s30, s26
	v_mad_u64_u32 v[2:3], null, s25, v6, v[2:3]
	v_mov_b32_e32 v3, v17
	s_mul_i32 s16, s16, s8
	s_addc_u32 s26, s31, s27
	s_add_i32 s17, s33, s17
	v_lshlrev_b32_e32 v10, 2, v10
	s_lshl_b64 s[16:17], s[16:17], 2
	v_mov_b32_e32 v5, v2
	v_mad_u64_u32 v[2:3], null, s15, v13, v[3:4]
	v_cmp_gt_i64_e64 s1, s[22:23], v[8:9]
	v_lshl_add_u32 v12, v1, 5, 0x400
	v_lshlrev_b64 v[3:4], 2, v[4:5]
	v_lshl_or_b32 v14, v13, 7, v18
	v_add_nc_u32_e32 v15, 0x400, v15
	v_mov_b32_e32 v17, v2
	v_add_co_u32 v5, vcc_lo, s9, v3
	v_add_co_ci_u32_e64 v4, null, s26, v4, vcc_lo
	v_lshlrev_b64 v[2:3], 2, v[16:17]
	s_lshl_b64 s[26:27], s[6:7], 7
	s_lshl_b64 s[6:7], s[24:25], 5
	s_add_u32 s9, s26, s16
	s_addc_u32 s16, s27, s17
	v_add_co_u32 v2, vcc_lo, s9, v2
	v_add_co_ci_u32_e64 v3, null, s16, v3, vcc_lo
	v_add_co_u32 v5, vcc_lo, v5, v10
	v_add_co_ci_u32_e64 v4, null, 0, v4, vcc_lo
	;; [unrolled: 2-line block ×5, first 2 shown]
	v_mov_b32_e32 v8, 0
	v_mov_b32_e32 v9, 0
	;; [unrolled: 1-line block ×3, first 2 shown]
	s_lshl_b64 s[12:13], s[14:15], 5
	s_mov_b64 s[14:15], 0
	s_branch .LBB332_3
.LBB332_2:                              ;   in Loop: Header=BB332_3 Depth=1
	s_or_b32 exec_lo, exec_lo, s9
	s_waitcnt vmcnt(0)
	ds_write_b32 v15, v17
	s_waitcnt lgkmcnt(0)
	s_barrier
	buffer_gl0_inv
	ds_read_b128 v[16:19], v12
	ds_read2_b32 v[32:33], v11 offset1:16
	ds_read_b128 v[20:23], v12 offset:512
	ds_read2_b32 v[34:35], v11 offset0:32 offset1:48
	ds_read2_b32 v[36:37], v11 offset0:64 offset1:80
	;; [unrolled: 1-line block ×3, first 2 shown]
	ds_read_b128 v[24:27], v12 offset:16
	ds_read2_b32 v[40:41], v11 offset0:128 offset1:144
	ds_read_b128 v[28:31], v12 offset:528
	ds_read2_b32 v[42:43], v11 offset0:160 offset1:176
	s_add_u32 s14, s14, 8
	s_addc_u32 s15, s15, 0
	v_add_co_u32 v2, vcc_lo, v2, s6
	v_cmp_lt_i64_e64 s9, s[14:15], s[28:29]
	v_add_co_ci_u32_e64 v3, null, s7, v3, vcc_lo
	v_add_co_u32 v4, vcc_lo, v4, s12
	v_add_co_ci_u32_e64 v5, null, s13, v5, vcc_lo
	s_waitcnt lgkmcnt(8)
	v_fmac_f32_e32 v10, v32, v16
	v_fmac_f32_e32 v9, v33, v16
	s_waitcnt lgkmcnt(7)
	v_fmac_f32_e32 v8, v32, v20
	v_fmac_f32_e32 v7, v33, v20
	ds_read2_b32 v[32:33], v11 offset0:192 offset1:208
	s_waitcnt lgkmcnt(7)
	v_fmac_f32_e32 v10, v34, v17
	v_fmac_f32_e32 v9, v35, v17
	;; [unrolled: 1-line block ×4, first 2 shown]
	ds_read2_b32 v[16:17], v11 offset0:224 offset1:240
	s_waitcnt lgkmcnt(7)
	v_fmac_f32_e32 v10, v36, v18
	v_fmac_f32_e32 v9, v37, v18
	v_fmac_f32_e32 v8, v36, v22
	v_fmac_f32_e32 v7, v37, v22
	s_and_b32 vcc_lo, exec_lo, s9
	s_waitcnt lgkmcnt(6)
	v_fmac_f32_e32 v10, v38, v19
	v_fmac_f32_e32 v9, v39, v19
	;; [unrolled: 1-line block ×4, first 2 shown]
	s_waitcnt lgkmcnt(0)
	v_fmac_f32_e32 v10, v40, v24
	v_fmac_f32_e32 v9, v41, v24
	;; [unrolled: 1-line block ×4, first 2 shown]
	s_barrier
	v_fmac_f32_e32 v10, v42, v25
	v_fmac_f32_e32 v9, v43, v25
	;; [unrolled: 1-line block ×4, first 2 shown]
	buffer_gl0_inv
	v_fmac_f32_e32 v10, v32, v26
	v_fmac_f32_e32 v9, v33, v26
	;; [unrolled: 1-line block ×8, first 2 shown]
	s_cbranch_vccz .LBB332_7
.LBB332_3:                              ; =>This Inner Loop Header: Depth=1
	v_add_co_u32 v16, s9, v13, s14
	v_add_co_ci_u32_e64 v17, null, 0, s15, s9
	v_cmp_gt_i64_e32 vcc_lo, s[28:29], v[16:17]
	v_mov_b32_e32 v16, 0
	s_and_b32 s16, s0, vcc_lo
	s_and_saveexec_b32 s9, s16
	s_cbranch_execz .LBB332_5
; %bb.4:                                ;   in Loop: Header=BB332_3 Depth=1
	global_load_dword v16, v[4:5], off
.LBB332_5:                              ;   in Loop: Header=BB332_3 Depth=1
	s_or_b32 exec_lo, exec_lo, s9
	v_add_co_u32 v17, s9, v6, s14
	v_add_co_ci_u32_e64 v18, null, 0, s15, s9
	s_waitcnt vmcnt(0)
	ds_write_b32 v14, v16
	v_cmp_gt_i64_e32 vcc_lo, s[28:29], v[17:18]
	v_mov_b32_e32 v17, 0
	s_and_b32 s16, vcc_lo, s1
	s_and_saveexec_b32 s9, s16
	s_cbranch_execz .LBB332_2
; %bb.6:                                ;   in Loop: Header=BB332_3 Depth=1
	global_load_dword v17, v[2:3], off
	s_branch .LBB332_2
.LBB332_7:
	s_clause 0x3
	s_load_dwordx4 s[24:27], s[4:5], 0x78
	s_load_dword s6, s[4:5], 0x50
	s_load_dwordx8 s[12:19], s[4:5], 0x58
	s_load_dword s4, s[4:5], 0x18
	v_add_co_u32 v1, s0, s2, v1
	v_add_co_ci_u32_e64 v2, null, s3, 0, s0
	s_waitcnt lgkmcnt(0)
	s_mul_i32 s1, s27, s8
	s_mul_hi_u32 s2, s26, s8
	s_mul_i32 s0, s26, s8
	s_add_i32 s1, s2, s1
	v_cmp_neq_f32_e64 s2, s6, 0
	s_lshl_b64 s[26:27], s[0:1], 2
	v_cmp_gt_i64_e64 s0, s[22:23], v[1:2]
	s_add_u32 s3, s18, s26
	s_addc_u32 s5, s19, s27
	s_and_b32 vcc_lo, exec_lo, s2
	s_cbranch_vccnz .LBB332_20
; %bb.8:
	s_and_saveexec_b32 s7, s0
	s_cbranch_execz .LBB332_18
; %bb.9:
	v_mul_lo_u32 v5, v2, s24
	v_mul_lo_u32 v6, v1, s25
	v_mad_u64_u32 v[3:4], null, v1, s24, 0
	v_add3_u32 v4, v4, v6, v5
	v_add_co_u32 v5, s1, s10, v0
	v_add_co_ci_u32_e64 v6, null, s11, 0, s1
	v_lshlrev_b64 v[11:12], 2, v[3:4]
	v_cmp_gt_i64_e32 vcc_lo, s[20:21], v[5:6]
	v_lshlrev_b64 v[3:4], 2, v[5:6]
	v_add_co_u32 v11, s1, s3, v11
	v_add_co_ci_u32_e64 v12, null, s5, v12, s1
	s_and_saveexec_b32 s2, vcc_lo
	s_cbranch_execz .LBB332_11
; %bb.10:
	v_add_co_u32 v13, s1, v11, v3
	v_add_co_ci_u32_e64 v14, null, v12, v4, s1
	v_mul_f32_e32 v15, s4, v10
	global_store_dword v[13:14], v15, off
.LBB332_11:
	s_or_b32 exec_lo, exec_lo, s2
	v_add_co_u32 v5, s1, v5, 16
	v_add_co_ci_u32_e64 v6, null, 0, v6, s1
	v_cmp_gt_i64_e64 s1, s[20:21], v[5:6]
	s_and_saveexec_b32 s9, s1
	s_cbranch_execz .LBB332_13
; %bb.12:
	v_add_co_u32 v5, s2, v11, v3
	v_add_co_ci_u32_e64 v6, null, v12, v4, s2
	v_mul_f32_e32 v13, s4, v9
	global_store_dword v[5:6], v13, off offset:64
.LBB332_13:
	s_or_b32 exec_lo, exec_lo, s9
	v_add_co_u32 v5, s2, v1, 16
	v_add_co_ci_u32_e64 v6, null, 0, v2, s2
	v_cmp_gt_i64_e64 s2, s[22:23], v[5:6]
	s_and_b32 exec_lo, exec_lo, s2
	s_cbranch_execz .LBB332_18
; %bb.14:
	s_lshl_b64 s[18:19], s[24:25], 6
	v_add_co_u32 v5, s2, v11, s18
	v_add_co_ci_u32_e64 v6, null, s19, v12, s2
	v_add_co_u32 v3, s2, v5, v3
	v_add_co_ci_u32_e64 v4, null, v6, v4, s2
	s_and_saveexec_b32 s2, vcc_lo
	s_cbranch_execz .LBB332_16
; %bb.15:
	v_mul_f32_e32 v5, s4, v8
	global_store_dword v[3:4], v5, off
.LBB332_16:
	s_or_b32 exec_lo, exec_lo, s2
	s_and_b32 exec_lo, exec_lo, s1
	s_cbranch_execz .LBB332_18
; %bb.17:
	v_mul_f32_e32 v5, s4, v7
	global_store_dword v[3:4], v5, off offset:64
.LBB332_18:
	s_or_b32 exec_lo, exec_lo, s7
	s_cbranch_execz .LBB332_21
.LBB332_19:
	s_endpgm
.LBB332_20:
.LBB332_21:
	s_and_saveexec_b32 s1, s0
	s_cbranch_execz .LBB332_19
; %bb.22:
	v_mul_lo_u32 v5, v2, s14
	v_mul_lo_u32 v6, v1, s15
	v_mad_u64_u32 v[3:4], null, v1, s14, 0
	v_mul_lo_u32 v13, v2, s24
	v_mul_lo_u32 v14, v1, s25
	v_mad_u64_u32 v[11:12], null, v1, s24, 0
	s_mul_i32 s0, s17, s8
	s_mul_hi_u32 s1, s16, s8
	v_add3_u32 v4, v4, v6, v5
	s_add_i32 s1, s1, s0
	s_mul_i32 s0, s16, s8
	v_add_co_u32 v5, s2, s10, v0
	v_add3_u32 v12, v12, v14, v13
	v_lshlrev_b64 v[3:4], 2, v[3:4]
	s_lshl_b64 s[0:1], s[0:1], 2
	v_add_co_ci_u32_e64 v6, null, s11, 0, s2
	v_lshlrev_b64 v[12:13], 2, v[11:12]
	s_add_u32 s0, s12, s0
	s_addc_u32 s1, s13, s1
	v_add_co_u32 v0, s0, s0, v3
	v_add_co_ci_u32_e64 v11, null, s1, v4, s0
	v_add_co_u32 v12, s0, s3, v12
	v_cmp_gt_i64_e32 vcc_lo, s[20:21], v[5:6]
	v_lshlrev_b64 v[3:4], 2, v[5:6]
	v_add_co_ci_u32_e64 v13, null, s5, v13, s0
	s_and_saveexec_b32 s1, vcc_lo
	s_cbranch_execz .LBB332_24
; %bb.23:
	v_add_co_u32 v14, s0, v0, v3
	v_add_co_ci_u32_e64 v15, null, v11, v4, s0
	global_load_dword v14, v[14:15], off
	s_waitcnt vmcnt(0)
	v_mul_f32_e32 v16, s6, v14
	v_add_co_u32 v14, s0, v12, v3
	v_add_co_ci_u32_e64 v15, null, v13, v4, s0
	v_fmac_f32_e32 v16, s4, v10
	global_store_dword v[14:15], v16, off
.LBB332_24:
	s_or_b32 exec_lo, exec_lo, s1
	v_add_co_u32 v5, s0, v5, 16
	v_add_co_ci_u32_e64 v6, null, 0, v6, s0
	v_cmp_gt_i64_e64 s0, s[20:21], v[5:6]
	s_and_saveexec_b32 s2, s0
	s_cbranch_execz .LBB332_26
; %bb.25:
	v_add_co_u32 v5, s1, v0, v3
	v_add_co_ci_u32_e64 v6, null, v11, v4, s1
	global_load_dword v5, v[5:6], off offset:64
	s_waitcnt vmcnt(0)
	v_mul_f32_e32 v10, s6, v5
	v_add_co_u32 v5, s1, v12, v3
	v_add_co_ci_u32_e64 v6, null, v13, v4, s1
	v_fmac_f32_e32 v10, s4, v9
	global_store_dword v[5:6], v10, off offset:64
.LBB332_26:
	s_or_b32 exec_lo, exec_lo, s2
	v_add_co_u32 v1, s1, v1, 16
	v_add_co_ci_u32_e64 v2, null, 0, v2, s1
	v_cmp_gt_i64_e64 s1, s[22:23], v[1:2]
	s_and_b32 exec_lo, exec_lo, s1
	s_cbranch_execz .LBB332_19
; %bb.27:
	s_lshl_b64 s[2:3], s[14:15], 6
	v_add_co_u32 v0, s1, v0, s2
	v_add_co_ci_u32_e64 v1, null, s3, v11, s1
	s_lshl_b64 s[2:3], s[24:25], 6
	v_add_co_u32 v2, s1, v12, s2
	v_add_co_ci_u32_e64 v5, null, s3, v13, s1
	v_add_co_u32 v0, s1, v0, v3
	v_add_co_ci_u32_e64 v1, null, v1, v4, s1
	;; [unrolled: 2-line block ×3, first 2 shown]
	s_and_saveexec_b32 s1, vcc_lo
	s_cbranch_execz .LBB332_29
; %bb.28:
	global_load_dword v4, v[0:1], off
	s_waitcnt vmcnt(0)
	v_mul_f32_e32 v4, s6, v4
	v_fmac_f32_e32 v4, s4, v8
	global_store_dword v[2:3], v4, off
.LBB332_29:
	s_or_b32 exec_lo, exec_lo, s1
	s_and_b32 exec_lo, exec_lo, s0
	s_cbranch_execz .LBB332_19
; %bb.30:
	global_load_dword v0, v[0:1], off offset:64
	s_waitcnt vmcnt(0)
	v_mul_f32_e32 v0, s6, v0
	v_fmac_f32_e32 v0, s4, v7
	global_store_dword v[2:3], v0, off offset:64
	s_endpgm
	.section	.rodata,"a",@progbits
	.p2align	6, 0x0
	.amdhsa_kernel _ZN12_GLOBAL__N_135rocblas_gemm_batched_general_kernelIfLi16ELi16ELi32ELi32ELi8ELi32ELi8ELi8ELi32ELc78ELc67EKfS1_fEEvlllT_PT11_llS4_llS2_PT12_llPT13_lli
		.amdhsa_group_segment_fixed_size 2048
		.amdhsa_private_segment_fixed_size 0
		.amdhsa_kernarg_size 140
		.amdhsa_user_sgpr_count 6
		.amdhsa_user_sgpr_private_segment_buffer 1
		.amdhsa_user_sgpr_dispatch_ptr 0
		.amdhsa_user_sgpr_queue_ptr 0
		.amdhsa_user_sgpr_kernarg_segment_ptr 1
		.amdhsa_user_sgpr_dispatch_id 0
		.amdhsa_user_sgpr_flat_scratch_init 0
		.amdhsa_user_sgpr_private_segment_size 0
		.amdhsa_wavefront_size32 1
		.amdhsa_uses_dynamic_stack 0
		.amdhsa_system_sgpr_private_segment_wavefront_offset 0
		.amdhsa_system_sgpr_workgroup_id_x 1
		.amdhsa_system_sgpr_workgroup_id_y 1
		.amdhsa_system_sgpr_workgroup_id_z 1
		.amdhsa_system_sgpr_workgroup_info 0
		.amdhsa_system_vgpr_workitem_id 1
		.amdhsa_next_free_vgpr 44
		.amdhsa_next_free_sgpr 34
		.amdhsa_reserve_vcc 1
		.amdhsa_reserve_flat_scratch 0
		.amdhsa_float_round_mode_32 0
		.amdhsa_float_round_mode_16_64 0
		.amdhsa_float_denorm_mode_32 3
		.amdhsa_float_denorm_mode_16_64 3
		.amdhsa_dx10_clamp 1
		.amdhsa_ieee_mode 1
		.amdhsa_fp16_overflow 0
		.amdhsa_workgroup_processor_mode 1
		.amdhsa_memory_ordered 1
		.amdhsa_forward_progress 1
		.amdhsa_shared_vgpr_count 0
		.amdhsa_exception_fp_ieee_invalid_op 0
		.amdhsa_exception_fp_denorm_src 0
		.amdhsa_exception_fp_ieee_div_zero 0
		.amdhsa_exception_fp_ieee_overflow 0
		.amdhsa_exception_fp_ieee_underflow 0
		.amdhsa_exception_fp_ieee_inexact 0
		.amdhsa_exception_int_div_zero 0
	.end_amdhsa_kernel
	.section	.text._ZN12_GLOBAL__N_135rocblas_gemm_batched_general_kernelIfLi16ELi16ELi32ELi32ELi8ELi32ELi8ELi8ELi32ELc78ELc67EKfS1_fEEvlllT_PT11_llS4_llS2_PT12_llPT13_lli,"axG",@progbits,_ZN12_GLOBAL__N_135rocblas_gemm_batched_general_kernelIfLi16ELi16ELi32ELi32ELi8ELi32ELi8ELi8ELi32ELc78ELc67EKfS1_fEEvlllT_PT11_llS4_llS2_PT12_llPT13_lli,comdat
.Lfunc_end332:
	.size	_ZN12_GLOBAL__N_135rocblas_gemm_batched_general_kernelIfLi16ELi16ELi32ELi32ELi8ELi32ELi8ELi8ELi32ELc78ELc67EKfS1_fEEvlllT_PT11_llS4_llS2_PT12_llPT13_lli, .Lfunc_end332-_ZN12_GLOBAL__N_135rocblas_gemm_batched_general_kernelIfLi16ELi16ELi32ELi32ELi8ELi32ELi8ELi8ELi32ELc78ELc67EKfS1_fEEvlllT_PT11_llS4_llS2_PT12_llPT13_lli
                                        ; -- End function
	.set _ZN12_GLOBAL__N_135rocblas_gemm_batched_general_kernelIfLi16ELi16ELi32ELi32ELi8ELi32ELi8ELi8ELi32ELc78ELc67EKfS1_fEEvlllT_PT11_llS4_llS2_PT12_llPT13_lli.num_vgpr, 44
	.set _ZN12_GLOBAL__N_135rocblas_gemm_batched_general_kernelIfLi16ELi16ELi32ELi32ELi8ELi32ELi8ELi8ELi32ELc78ELc67EKfS1_fEEvlllT_PT11_llS4_llS2_PT12_llPT13_lli.num_agpr, 0
	.set _ZN12_GLOBAL__N_135rocblas_gemm_batched_general_kernelIfLi16ELi16ELi32ELi32ELi8ELi32ELi8ELi8ELi32ELc78ELc67EKfS1_fEEvlllT_PT11_llS4_llS2_PT12_llPT13_lli.numbered_sgpr, 34
	.set _ZN12_GLOBAL__N_135rocblas_gemm_batched_general_kernelIfLi16ELi16ELi32ELi32ELi8ELi32ELi8ELi8ELi32ELc78ELc67EKfS1_fEEvlllT_PT11_llS4_llS2_PT12_llPT13_lli.num_named_barrier, 0
	.set _ZN12_GLOBAL__N_135rocblas_gemm_batched_general_kernelIfLi16ELi16ELi32ELi32ELi8ELi32ELi8ELi8ELi32ELc78ELc67EKfS1_fEEvlllT_PT11_llS4_llS2_PT12_llPT13_lli.private_seg_size, 0
	.set _ZN12_GLOBAL__N_135rocblas_gemm_batched_general_kernelIfLi16ELi16ELi32ELi32ELi8ELi32ELi8ELi8ELi32ELc78ELc67EKfS1_fEEvlllT_PT11_llS4_llS2_PT12_llPT13_lli.uses_vcc, 1
	.set _ZN12_GLOBAL__N_135rocblas_gemm_batched_general_kernelIfLi16ELi16ELi32ELi32ELi8ELi32ELi8ELi8ELi32ELc78ELc67EKfS1_fEEvlllT_PT11_llS4_llS2_PT12_llPT13_lli.uses_flat_scratch, 0
	.set _ZN12_GLOBAL__N_135rocblas_gemm_batched_general_kernelIfLi16ELi16ELi32ELi32ELi8ELi32ELi8ELi8ELi32ELc78ELc67EKfS1_fEEvlllT_PT11_llS4_llS2_PT12_llPT13_lli.has_dyn_sized_stack, 0
	.set _ZN12_GLOBAL__N_135rocblas_gemm_batched_general_kernelIfLi16ELi16ELi32ELi32ELi8ELi32ELi8ELi8ELi32ELc78ELc67EKfS1_fEEvlllT_PT11_llS4_llS2_PT12_llPT13_lli.has_recursion, 0
	.set _ZN12_GLOBAL__N_135rocblas_gemm_batched_general_kernelIfLi16ELi16ELi32ELi32ELi8ELi32ELi8ELi8ELi32ELc78ELc67EKfS1_fEEvlllT_PT11_llS4_llS2_PT12_llPT13_lli.has_indirect_call, 0
	.section	.AMDGPU.csdata,"",@progbits
; Kernel info:
; codeLenInByte = 1884
; TotalNumSgprs: 36
; NumVgprs: 44
; ScratchSize: 0
; MemoryBound: 0
; FloatMode: 240
; IeeeMode: 1
; LDSByteSize: 2048 bytes/workgroup (compile time only)
; SGPRBlocks: 0
; VGPRBlocks: 5
; NumSGPRsForWavesPerEU: 36
; NumVGPRsForWavesPerEU: 44
; Occupancy: 16
; WaveLimiterHint : 0
; COMPUTE_PGM_RSRC2:SCRATCH_EN: 0
; COMPUTE_PGM_RSRC2:USER_SGPR: 6
; COMPUTE_PGM_RSRC2:TRAP_HANDLER: 0
; COMPUTE_PGM_RSRC2:TGID_X_EN: 1
; COMPUTE_PGM_RSRC2:TGID_Y_EN: 1
; COMPUTE_PGM_RSRC2:TGID_Z_EN: 1
; COMPUTE_PGM_RSRC2:TIDIG_COMP_CNT: 1
	.section	.text._ZN12_GLOBAL__N_135rocblas_gemm_batched_general_kernelIfLi16ELi16ELi32ELi32ELi8ELi32ELi8ELi8ELi32ELc84ELc67EKfS1_fEEvlllT_PT11_llS4_llS2_PT12_llPT13_lli,"axG",@progbits,_ZN12_GLOBAL__N_135rocblas_gemm_batched_general_kernelIfLi16ELi16ELi32ELi32ELi8ELi32ELi8ELi8ELi32ELc84ELc67EKfS1_fEEvlllT_PT11_llS4_llS2_PT12_llPT13_lli,comdat
	.globl	_ZN12_GLOBAL__N_135rocblas_gemm_batched_general_kernelIfLi16ELi16ELi32ELi32ELi8ELi32ELi8ELi8ELi32ELc84ELc67EKfS1_fEEvlllT_PT11_llS4_llS2_PT12_llPT13_lli ; -- Begin function _ZN12_GLOBAL__N_135rocblas_gemm_batched_general_kernelIfLi16ELi16ELi32ELi32ELi8ELi32ELi8ELi8ELi32ELc84ELc67EKfS1_fEEvlllT_PT11_llS4_llS2_PT12_llPT13_lli
	.p2align	8
	.type	_ZN12_GLOBAL__N_135rocblas_gemm_batched_general_kernelIfLi16ELi16ELi32ELi32ELi8ELi32ELi8ELi8ELi32ELc84ELc67EKfS1_fEEvlllT_PT11_llS4_llS2_PT12_llPT13_lli,@function
_ZN12_GLOBAL__N_135rocblas_gemm_batched_general_kernelIfLi16ELi16ELi32ELi32ELi8ELi32ELi8ELi8ELi32ELc84ELc67EKfS1_fEEvlllT_PT11_llS4_llS2_PT12_llPT13_lli: ; @_ZN12_GLOBAL__N_135rocblas_gemm_batched_general_kernelIfLi16ELi16ELi32ELi32ELi8ELi32ELi8ELi8ELi32ELc84ELc67EKfS1_fEEvlllT_PT11_llS4_llS2_PT12_llPT13_lli
; %bb.0:
	s_clause 0x1
	s_load_dwordx2 s[10:11], s[4:5], 0x10
	s_load_dwordx4 s[20:23], s[4:5], 0x0
	s_mov_b32 s0, s7
	v_mov_b32_e32 v10, 0
	v_mov_b32_e32 v9, 0
	;; [unrolled: 1-line block ×4, first 2 shown]
	s_ashr_i32 s7, s6, 31
	s_ashr_i32 s1, s0, 31
	s_lshl_b64 s[6:7], s[6:7], 5
	s_waitcnt lgkmcnt(0)
	v_cmp_lt_i64_e64 s2, s[10:11], 1
	s_and_b32 vcc_lo, exec_lo, s2
	s_lshl_b64 s[2:3], s[0:1], 5
	s_cbranch_vccnz .LBB333_7
; %bb.1:
	s_clause 0x1
	s_load_dwordx4 s[24:27], s[4:5], 0x40
	s_load_dwordx8 s[12:19], s[4:5], 0x20
	v_lshl_add_u32 v2, v1, 4, v0
	v_and_b32_e32 v6, 7, v0
	v_mov_b32_e32 v3, s7
	s_lshl_b64 s[28:29], s[0:1], 7
	v_mov_b32_e32 v7, 0
	v_and_b32_e32 v14, 31, v2
	v_lshrrev_b32_e32 v10, 3, v2
	v_lshrrev_b32_e32 v13, 5, v2
	v_lshlrev_b32_e32 v15, 2, v6
	v_lshlrev_b32_e32 v11, 2, v0
	v_or_b32_e32 v2, s6, v14
	v_add_co_u32 v8, s0, v10, s2
	v_add_co_ci_u32_e64 v9, null, 0, s3, s0
	v_add_co_u32 v17, s0, s6, v14
	v_add_co_ci_u32_e64 v18, null, s7, 0, s0
	s_waitcnt lgkmcnt(0)
	v_mad_u64_u32 v[4:5], null, s24, v6, 0
	v_cmp_gt_i64_e64 s0, s[20:21], v[2:3]
	v_cmp_gt_i64_e64 s1, s[22:23], v[8:9]
	v_mul_lo_u32 v8, s15, v17
	v_mul_lo_u32 v9, s14, v18
	s_mul_i32 s9, s27, s8
	s_mul_hi_u32 s27, s26, s8
	v_mad_u64_u32 v[2:3], null, s25, v6, v[5:6]
	s_mul_i32 s26, s26, s8
	s_add_i32 s27, s27, s9
	s_mul_i32 s9, s17, s8
	s_mul_hi_u32 s17, s16, s8
	v_lshlrev_b32_e32 v16, 2, v14
	v_lshl_or_b32 v15, v10, 5, v15
	v_mov_b32_e32 v5, v2
	v_mad_u64_u32 v[2:3], null, s14, v17, 0
	s_lshl_b64 s[14:15], s[26:27], 2
	v_lshl_add_u32 v12, v1, 5, 0x400
	v_lshlrev_b64 v[4:5], 2, v[4:5]
	s_add_u32 s14, s28, s14
	s_addc_u32 s15, s29, s15
	v_lshl_or_b32 v14, v13, 7, v16
	v_add3_u32 v3, v3, v9, v8
	v_lshlrev_b32_e32 v8, 2, v10
	v_add_co_u32 v4, vcc_lo, s14, v4
	v_add_co_ci_u32_e64 v5, null, s15, v5, vcc_lo
	v_lshlrev_b64 v[2:3], 2, v[2:3]
	s_add_i32 s15, s17, s9
	s_mul_i32 s14, s16, s8
	v_lshlrev_b32_e32 v9, 2, v13
	s_lshl_b64 s[14:15], s[14:15], 2
	v_add_nc_u32_e32 v15, 0x400, v15
	v_add_co_u32 v2, vcc_lo, v2, s14
	v_add_co_ci_u32_e64 v3, null, s15, v3, vcc_lo
	v_add_co_u32 v4, vcc_lo, v4, v8
	v_add_co_ci_u32_e64 v5, null, 0, v5, vcc_lo
	;; [unrolled: 2-line block ×5, first 2 shown]
	v_mov_b32_e32 v8, 0
	v_mov_b32_e32 v9, 0
	;; [unrolled: 1-line block ×3, first 2 shown]
	s_lshl_b64 s[12:13], s[24:25], 5
	s_mov_b64 s[14:15], 0
	s_branch .LBB333_3
.LBB333_2:                              ;   in Loop: Header=BB333_3 Depth=1
	s_or_b32 exec_lo, exec_lo, s9
	s_waitcnt vmcnt(0)
	ds_write_b32 v15, v17
	s_waitcnt lgkmcnt(0)
	s_barrier
	buffer_gl0_inv
	ds_read_b128 v[16:19], v12
	ds_read2_b32 v[32:33], v11 offset1:16
	ds_read_b128 v[20:23], v12 offset:512
	ds_read2_b32 v[34:35], v11 offset0:32 offset1:48
	ds_read2_b32 v[36:37], v11 offset0:64 offset1:80
	;; [unrolled: 1-line block ×3, first 2 shown]
	ds_read_b128 v[24:27], v12 offset:16
	ds_read2_b32 v[40:41], v11 offset0:128 offset1:144
	ds_read_b128 v[28:31], v12 offset:528
	ds_read2_b32 v[42:43], v11 offset0:160 offset1:176
	s_add_u32 s14, s14, 8
	s_addc_u32 s15, s15, 0
	v_add_co_u32 v2, vcc_lo, v2, s12
	v_cmp_lt_i64_e64 s9, s[14:15], s[10:11]
	v_add_co_ci_u32_e64 v3, null, s13, v3, vcc_lo
	v_add_co_u32 v4, vcc_lo, v4, 32
	v_add_co_ci_u32_e64 v5, null, 0, v5, vcc_lo
	s_waitcnt lgkmcnt(8)
	v_fmac_f32_e32 v10, v32, v16
	v_fmac_f32_e32 v9, v33, v16
	s_waitcnt lgkmcnt(7)
	v_fmac_f32_e32 v8, v32, v20
	v_fmac_f32_e32 v7, v33, v20
	ds_read2_b32 v[32:33], v11 offset0:192 offset1:208
	s_waitcnt lgkmcnt(7)
	v_fmac_f32_e32 v10, v34, v17
	v_fmac_f32_e32 v9, v35, v17
	;; [unrolled: 1-line block ×4, first 2 shown]
	ds_read2_b32 v[16:17], v11 offset0:224 offset1:240
	s_waitcnt lgkmcnt(7)
	v_fmac_f32_e32 v10, v36, v18
	v_fmac_f32_e32 v9, v37, v18
	;; [unrolled: 1-line block ×4, first 2 shown]
	s_and_b32 vcc_lo, exec_lo, s9
	s_waitcnt lgkmcnt(6)
	v_fmac_f32_e32 v10, v38, v19
	v_fmac_f32_e32 v9, v39, v19
	;; [unrolled: 1-line block ×4, first 2 shown]
	s_waitcnt lgkmcnt(0)
	v_fmac_f32_e32 v10, v40, v24
	v_fmac_f32_e32 v9, v41, v24
	;; [unrolled: 1-line block ×4, first 2 shown]
	s_barrier
	v_fmac_f32_e32 v10, v42, v25
	v_fmac_f32_e32 v9, v43, v25
	;; [unrolled: 1-line block ×4, first 2 shown]
	buffer_gl0_inv
	v_fmac_f32_e32 v10, v32, v26
	v_fmac_f32_e32 v9, v33, v26
	;; [unrolled: 1-line block ×8, first 2 shown]
	s_cbranch_vccz .LBB333_7
.LBB333_3:                              ; =>This Inner Loop Header: Depth=1
	v_add_co_u32 v16, s9, v13, s14
	v_add_co_ci_u32_e64 v17, null, 0, s15, s9
	v_cmp_gt_i64_e32 vcc_lo, s[10:11], v[16:17]
	v_mov_b32_e32 v16, 0
	s_and_b32 s16, s0, vcc_lo
	s_and_saveexec_b32 s9, s16
	s_cbranch_execz .LBB333_5
; %bb.4:                                ;   in Loop: Header=BB333_3 Depth=1
	global_load_dword v16, v[4:5], off
.LBB333_5:                              ;   in Loop: Header=BB333_3 Depth=1
	s_or_b32 exec_lo, exec_lo, s9
	v_add_co_u32 v17, s9, v6, s14
	v_add_co_ci_u32_e64 v18, null, 0, s15, s9
	s_waitcnt vmcnt(0)
	ds_write_b32 v14, v16
	v_cmp_gt_i64_e32 vcc_lo, s[10:11], v[17:18]
	v_mov_b32_e32 v17, 0
	s_and_b32 s16, vcc_lo, s1
	s_and_saveexec_b32 s9, s16
	s_cbranch_execz .LBB333_2
; %bb.6:                                ;   in Loop: Header=BB333_3 Depth=1
	global_load_dword v17, v[2:3], off
	s_branch .LBB333_2
.LBB333_7:
	s_clause 0x3
	s_load_dwordx4 s[24:27], s[4:5], 0x78
	s_load_dword s9, s[4:5], 0x50
	s_load_dwordx8 s[12:19], s[4:5], 0x58
	s_load_dword s4, s[4:5], 0x18
	v_add_co_u32 v1, s0, s2, v1
	v_add_co_ci_u32_e64 v2, null, s3, 0, s0
	s_waitcnt lgkmcnt(0)
	s_mul_i32 s1, s27, s8
	s_mul_hi_u32 s2, s26, s8
	s_mul_i32 s0, s26, s8
	s_add_i32 s1, s2, s1
	v_cmp_neq_f32_e64 s2, s9, 0
	s_lshl_b64 s[10:11], s[0:1], 2
	v_cmp_gt_i64_e64 s0, s[22:23], v[1:2]
	s_add_u32 s3, s18, s10
	s_addc_u32 s5, s19, s11
	s_and_b32 vcc_lo, exec_lo, s2
	s_cbranch_vccnz .LBB333_20
; %bb.8:
	s_and_saveexec_b32 s10, s0
	s_cbranch_execz .LBB333_18
; %bb.9:
	v_mul_lo_u32 v5, v2, s24
	v_mul_lo_u32 v6, v1, s25
	v_mad_u64_u32 v[3:4], null, v1, s24, 0
	v_add3_u32 v4, v4, v6, v5
	v_add_co_u32 v5, s1, s6, v0
	v_add_co_ci_u32_e64 v6, null, s7, 0, s1
	v_lshlrev_b64 v[11:12], 2, v[3:4]
	v_cmp_gt_i64_e32 vcc_lo, s[20:21], v[5:6]
	v_lshlrev_b64 v[3:4], 2, v[5:6]
	v_add_co_u32 v11, s1, s3, v11
	v_add_co_ci_u32_e64 v12, null, s5, v12, s1
	s_and_saveexec_b32 s2, vcc_lo
	s_cbranch_execz .LBB333_11
; %bb.10:
	v_add_co_u32 v13, s1, v11, v3
	v_add_co_ci_u32_e64 v14, null, v12, v4, s1
	v_mul_f32_e32 v15, s4, v10
	global_store_dword v[13:14], v15, off
.LBB333_11:
	s_or_b32 exec_lo, exec_lo, s2
	v_add_co_u32 v5, s1, v5, 16
	v_add_co_ci_u32_e64 v6, null, 0, v6, s1
	v_cmp_gt_i64_e64 s1, s[20:21], v[5:6]
	s_and_saveexec_b32 s11, s1
	s_cbranch_execz .LBB333_13
; %bb.12:
	v_add_co_u32 v5, s2, v11, v3
	v_add_co_ci_u32_e64 v6, null, v12, v4, s2
	v_mul_f32_e32 v13, s4, v9
	global_store_dword v[5:6], v13, off offset:64
.LBB333_13:
	s_or_b32 exec_lo, exec_lo, s11
	v_add_co_u32 v5, s2, v1, 16
	v_add_co_ci_u32_e64 v6, null, 0, v2, s2
	v_cmp_gt_i64_e64 s2, s[22:23], v[5:6]
	s_and_b32 exec_lo, exec_lo, s2
	s_cbranch_execz .LBB333_18
; %bb.14:
	s_lshl_b64 s[18:19], s[24:25], 6
	v_add_co_u32 v5, s2, v11, s18
	v_add_co_ci_u32_e64 v6, null, s19, v12, s2
	v_add_co_u32 v3, s2, v5, v3
	v_add_co_ci_u32_e64 v4, null, v6, v4, s2
	s_and_saveexec_b32 s2, vcc_lo
	s_cbranch_execz .LBB333_16
; %bb.15:
	v_mul_f32_e32 v5, s4, v8
	global_store_dword v[3:4], v5, off
.LBB333_16:
	s_or_b32 exec_lo, exec_lo, s2
	s_and_b32 exec_lo, exec_lo, s1
	s_cbranch_execz .LBB333_18
; %bb.17:
	v_mul_f32_e32 v5, s4, v7
	global_store_dword v[3:4], v5, off offset:64
.LBB333_18:
	s_or_b32 exec_lo, exec_lo, s10
	s_cbranch_execz .LBB333_21
.LBB333_19:
	s_endpgm
.LBB333_20:
.LBB333_21:
	s_and_saveexec_b32 s1, s0
	s_cbranch_execz .LBB333_19
; %bb.22:
	v_mul_lo_u32 v5, v2, s14
	v_mul_lo_u32 v6, v1, s15
	v_mad_u64_u32 v[3:4], null, v1, s14, 0
	v_mul_lo_u32 v13, v2, s24
	v_mul_lo_u32 v14, v1, s25
	v_mad_u64_u32 v[11:12], null, v1, s24, 0
	s_mul_i32 s0, s17, s8
	s_mul_hi_u32 s1, s16, s8
	v_add3_u32 v4, v4, v6, v5
	s_add_i32 s1, s1, s0
	s_mul_i32 s0, s16, s8
	v_add_co_u32 v5, s2, s6, v0
	v_add3_u32 v12, v12, v14, v13
	v_lshlrev_b64 v[3:4], 2, v[3:4]
	s_lshl_b64 s[0:1], s[0:1], 2
	v_add_co_ci_u32_e64 v6, null, s7, 0, s2
	v_lshlrev_b64 v[12:13], 2, v[11:12]
	s_add_u32 s0, s12, s0
	s_addc_u32 s1, s13, s1
	v_add_co_u32 v0, s0, s0, v3
	v_add_co_ci_u32_e64 v11, null, s1, v4, s0
	v_add_co_u32 v12, s0, s3, v12
	v_cmp_gt_i64_e32 vcc_lo, s[20:21], v[5:6]
	v_lshlrev_b64 v[3:4], 2, v[5:6]
	v_add_co_ci_u32_e64 v13, null, s5, v13, s0
	s_and_saveexec_b32 s1, vcc_lo
	s_cbranch_execz .LBB333_24
; %bb.23:
	v_add_co_u32 v14, s0, v0, v3
	v_add_co_ci_u32_e64 v15, null, v11, v4, s0
	global_load_dword v14, v[14:15], off
	s_waitcnt vmcnt(0)
	v_mul_f32_e32 v16, s9, v14
	v_add_co_u32 v14, s0, v12, v3
	v_add_co_ci_u32_e64 v15, null, v13, v4, s0
	v_fmac_f32_e32 v16, s4, v10
	global_store_dword v[14:15], v16, off
.LBB333_24:
	s_or_b32 exec_lo, exec_lo, s1
	v_add_co_u32 v5, s0, v5, 16
	v_add_co_ci_u32_e64 v6, null, 0, v6, s0
	v_cmp_gt_i64_e64 s0, s[20:21], v[5:6]
	s_and_saveexec_b32 s2, s0
	s_cbranch_execz .LBB333_26
; %bb.25:
	v_add_co_u32 v5, s1, v0, v3
	v_add_co_ci_u32_e64 v6, null, v11, v4, s1
	global_load_dword v5, v[5:6], off offset:64
	s_waitcnt vmcnt(0)
	v_mul_f32_e32 v10, s9, v5
	v_add_co_u32 v5, s1, v12, v3
	v_add_co_ci_u32_e64 v6, null, v13, v4, s1
	v_fmac_f32_e32 v10, s4, v9
	global_store_dword v[5:6], v10, off offset:64
.LBB333_26:
	s_or_b32 exec_lo, exec_lo, s2
	v_add_co_u32 v1, s1, v1, 16
	v_add_co_ci_u32_e64 v2, null, 0, v2, s1
	v_cmp_gt_i64_e64 s1, s[22:23], v[1:2]
	s_and_b32 exec_lo, exec_lo, s1
	s_cbranch_execz .LBB333_19
; %bb.27:
	s_lshl_b64 s[2:3], s[14:15], 6
	v_add_co_u32 v0, s1, v0, s2
	v_add_co_ci_u32_e64 v1, null, s3, v11, s1
	s_lshl_b64 s[2:3], s[24:25], 6
	v_add_co_u32 v2, s1, v12, s2
	v_add_co_ci_u32_e64 v5, null, s3, v13, s1
	v_add_co_u32 v0, s1, v0, v3
	v_add_co_ci_u32_e64 v1, null, v1, v4, s1
	v_add_co_u32 v2, s1, v2, v3
	v_add_co_ci_u32_e64 v3, null, v5, v4, s1
	s_and_saveexec_b32 s1, vcc_lo
	s_cbranch_execz .LBB333_29
; %bb.28:
	global_load_dword v4, v[0:1], off
	s_waitcnt vmcnt(0)
	v_mul_f32_e32 v4, s9, v4
	v_fmac_f32_e32 v4, s4, v8
	global_store_dword v[2:3], v4, off
.LBB333_29:
	s_or_b32 exec_lo, exec_lo, s1
	s_and_b32 exec_lo, exec_lo, s0
	s_cbranch_execz .LBB333_19
; %bb.30:
	global_load_dword v0, v[0:1], off offset:64
	s_waitcnt vmcnt(0)
	v_mul_f32_e32 v0, s9, v0
	v_fmac_f32_e32 v0, s4, v7
	global_store_dword v[2:3], v0, off offset:64
	s_endpgm
	.section	.rodata,"a",@progbits
	.p2align	6, 0x0
	.amdhsa_kernel _ZN12_GLOBAL__N_135rocblas_gemm_batched_general_kernelIfLi16ELi16ELi32ELi32ELi8ELi32ELi8ELi8ELi32ELc84ELc67EKfS1_fEEvlllT_PT11_llS4_llS2_PT12_llPT13_lli
		.amdhsa_group_segment_fixed_size 2048
		.amdhsa_private_segment_fixed_size 0
		.amdhsa_kernarg_size 140
		.amdhsa_user_sgpr_count 6
		.amdhsa_user_sgpr_private_segment_buffer 1
		.amdhsa_user_sgpr_dispatch_ptr 0
		.amdhsa_user_sgpr_queue_ptr 0
		.amdhsa_user_sgpr_kernarg_segment_ptr 1
		.amdhsa_user_sgpr_dispatch_id 0
		.amdhsa_user_sgpr_flat_scratch_init 0
		.amdhsa_user_sgpr_private_segment_size 0
		.amdhsa_wavefront_size32 1
		.amdhsa_uses_dynamic_stack 0
		.amdhsa_system_sgpr_private_segment_wavefront_offset 0
		.amdhsa_system_sgpr_workgroup_id_x 1
		.amdhsa_system_sgpr_workgroup_id_y 1
		.amdhsa_system_sgpr_workgroup_id_z 1
		.amdhsa_system_sgpr_workgroup_info 0
		.amdhsa_system_vgpr_workitem_id 1
		.amdhsa_next_free_vgpr 44
		.amdhsa_next_free_sgpr 30
		.amdhsa_reserve_vcc 1
		.amdhsa_reserve_flat_scratch 0
		.amdhsa_float_round_mode_32 0
		.amdhsa_float_round_mode_16_64 0
		.amdhsa_float_denorm_mode_32 3
		.amdhsa_float_denorm_mode_16_64 3
		.amdhsa_dx10_clamp 1
		.amdhsa_ieee_mode 1
		.amdhsa_fp16_overflow 0
		.amdhsa_workgroup_processor_mode 1
		.amdhsa_memory_ordered 1
		.amdhsa_forward_progress 1
		.amdhsa_shared_vgpr_count 0
		.amdhsa_exception_fp_ieee_invalid_op 0
		.amdhsa_exception_fp_denorm_src 0
		.amdhsa_exception_fp_ieee_div_zero 0
		.amdhsa_exception_fp_ieee_overflow 0
		.amdhsa_exception_fp_ieee_underflow 0
		.amdhsa_exception_fp_ieee_inexact 0
		.amdhsa_exception_int_div_zero 0
	.end_amdhsa_kernel
	.section	.text._ZN12_GLOBAL__N_135rocblas_gemm_batched_general_kernelIfLi16ELi16ELi32ELi32ELi8ELi32ELi8ELi8ELi32ELc84ELc67EKfS1_fEEvlllT_PT11_llS4_llS2_PT12_llPT13_lli,"axG",@progbits,_ZN12_GLOBAL__N_135rocblas_gemm_batched_general_kernelIfLi16ELi16ELi32ELi32ELi8ELi32ELi8ELi8ELi32ELc84ELc67EKfS1_fEEvlllT_PT11_llS4_llS2_PT12_llPT13_lli,comdat
.Lfunc_end333:
	.size	_ZN12_GLOBAL__N_135rocblas_gemm_batched_general_kernelIfLi16ELi16ELi32ELi32ELi8ELi32ELi8ELi8ELi32ELc84ELc67EKfS1_fEEvlllT_PT11_llS4_llS2_PT12_llPT13_lli, .Lfunc_end333-_ZN12_GLOBAL__N_135rocblas_gemm_batched_general_kernelIfLi16ELi16ELi32ELi32ELi8ELi32ELi8ELi8ELi32ELc84ELc67EKfS1_fEEvlllT_PT11_llS4_llS2_PT12_llPT13_lli
                                        ; -- End function
	.set _ZN12_GLOBAL__N_135rocblas_gemm_batched_general_kernelIfLi16ELi16ELi32ELi32ELi8ELi32ELi8ELi8ELi32ELc84ELc67EKfS1_fEEvlllT_PT11_llS4_llS2_PT12_llPT13_lli.num_vgpr, 44
	.set _ZN12_GLOBAL__N_135rocblas_gemm_batched_general_kernelIfLi16ELi16ELi32ELi32ELi8ELi32ELi8ELi8ELi32ELc84ELc67EKfS1_fEEvlllT_PT11_llS4_llS2_PT12_llPT13_lli.num_agpr, 0
	.set _ZN12_GLOBAL__N_135rocblas_gemm_batched_general_kernelIfLi16ELi16ELi32ELi32ELi8ELi32ELi8ELi8ELi32ELc84ELc67EKfS1_fEEvlllT_PT11_llS4_llS2_PT12_llPT13_lli.numbered_sgpr, 30
	.set _ZN12_GLOBAL__N_135rocblas_gemm_batched_general_kernelIfLi16ELi16ELi32ELi32ELi8ELi32ELi8ELi8ELi32ELc84ELc67EKfS1_fEEvlllT_PT11_llS4_llS2_PT12_llPT13_lli.num_named_barrier, 0
	.set _ZN12_GLOBAL__N_135rocblas_gemm_batched_general_kernelIfLi16ELi16ELi32ELi32ELi8ELi32ELi8ELi8ELi32ELc84ELc67EKfS1_fEEvlllT_PT11_llS4_llS2_PT12_llPT13_lli.private_seg_size, 0
	.set _ZN12_GLOBAL__N_135rocblas_gemm_batched_general_kernelIfLi16ELi16ELi32ELi32ELi8ELi32ELi8ELi8ELi32ELc84ELc67EKfS1_fEEvlllT_PT11_llS4_llS2_PT12_llPT13_lli.uses_vcc, 1
	.set _ZN12_GLOBAL__N_135rocblas_gemm_batched_general_kernelIfLi16ELi16ELi32ELi32ELi8ELi32ELi8ELi8ELi32ELc84ELc67EKfS1_fEEvlllT_PT11_llS4_llS2_PT12_llPT13_lli.uses_flat_scratch, 0
	.set _ZN12_GLOBAL__N_135rocblas_gemm_batched_general_kernelIfLi16ELi16ELi32ELi32ELi8ELi32ELi8ELi8ELi32ELc84ELc67EKfS1_fEEvlllT_PT11_llS4_llS2_PT12_llPT13_lli.has_dyn_sized_stack, 0
	.set _ZN12_GLOBAL__N_135rocblas_gemm_batched_general_kernelIfLi16ELi16ELi32ELi32ELi8ELi32ELi8ELi8ELi32ELc84ELc67EKfS1_fEEvlllT_PT11_llS4_llS2_PT12_llPT13_lli.has_recursion, 0
	.set _ZN12_GLOBAL__N_135rocblas_gemm_batched_general_kernelIfLi16ELi16ELi32ELi32ELi8ELi32ELi8ELi8ELi32ELc84ELc67EKfS1_fEEvlllT_PT11_llS4_llS2_PT12_llPT13_lli.has_indirect_call, 0
	.section	.AMDGPU.csdata,"",@progbits
; Kernel info:
; codeLenInByte = 1892
; TotalNumSgprs: 32
; NumVgprs: 44
; ScratchSize: 0
; MemoryBound: 0
; FloatMode: 240
; IeeeMode: 1
; LDSByteSize: 2048 bytes/workgroup (compile time only)
; SGPRBlocks: 0
; VGPRBlocks: 5
; NumSGPRsForWavesPerEU: 32
; NumVGPRsForWavesPerEU: 44
; Occupancy: 16
; WaveLimiterHint : 0
; COMPUTE_PGM_RSRC2:SCRATCH_EN: 0
; COMPUTE_PGM_RSRC2:USER_SGPR: 6
; COMPUTE_PGM_RSRC2:TRAP_HANDLER: 0
; COMPUTE_PGM_RSRC2:TGID_X_EN: 1
; COMPUTE_PGM_RSRC2:TGID_Y_EN: 1
; COMPUTE_PGM_RSRC2:TGID_Z_EN: 1
; COMPUTE_PGM_RSRC2:TIDIG_COMP_CNT: 1
	.section	.text._ZN12_GLOBAL__N_120gemm_ex_scale_kernelILi32ELi32EDF16_PKDF16_PDF16_EEviiT1_T2_lllT3_llli,"axG",@progbits,_ZN12_GLOBAL__N_120gemm_ex_scale_kernelILi32ELi32EDF16_PKDF16_PDF16_EEviiT1_T2_lllT3_llli,comdat
	.globl	_ZN12_GLOBAL__N_120gemm_ex_scale_kernelILi32ELi32EDF16_PKDF16_PDF16_EEviiT1_T2_lllT3_llli ; -- Begin function _ZN12_GLOBAL__N_120gemm_ex_scale_kernelILi32ELi32EDF16_PKDF16_PDF16_EEviiT1_T2_lllT3_llli
	.p2align	8
	.type	_ZN12_GLOBAL__N_120gemm_ex_scale_kernelILi32ELi32EDF16_PKDF16_PDF16_EEviiT1_T2_lllT3_llli,@function
_ZN12_GLOBAL__N_120gemm_ex_scale_kernelILi32ELi32EDF16_PKDF16_PDF16_EEviiT1_T2_lllT3_llli: ; @_ZN12_GLOBAL__N_120gemm_ex_scale_kernelILi32ELi32EDF16_PKDF16_PDF16_EEviiT1_T2_lllT3_llli
; %bb.0:
	s_load_dwordx4 s[0:3], s[4:5], 0x0
	v_lshl_add_u32 v0, s6, 5, v0
	v_lshl_add_u32 v4, s7, 5, v1
	s_waitcnt lgkmcnt(0)
	v_cmp_gt_u32_e32 vcc_lo, s0, v0
	v_cmp_gt_u32_e64 s0, s1, v4
	s_and_b32 s0, vcc_lo, s0
	s_and_saveexec_b32 s1, s0
	s_cbranch_execz .LBB334_5
; %bb.1:
	v_cmp_neq_f16_e64 s0, s2, 0
	v_mov_b32_e32 v1, 0
	s_and_b32 vcc_lo, exec_lo, s0
	s_mov_b32 s0, 0
	s_cbranch_vccnz .LBB334_6
; %bb.2:
	v_mov_b32_e32 v3, 0
	v_mov_b32_e32 v2, v0
	s_load_dwordx16 s[12:27], s[4:5], 0x10
	s_andn2_b32 vcc_lo, exec_lo, s0
	s_cbranch_vccnz .LBB334_4
.LBB334_3:
	s_waitcnt lgkmcnt(0)
	v_mad_u64_u32 v[5:6], null, s16, v4, 0
	s_mul_i32 s1, s19, s8
	s_mul_hi_u32 s3, s18, s8
	s_mul_i32 s0, s18, s8
	s_add_i32 s1, s3, s1
	v_lshlrev_b64 v[0:1], 1, v[0:1]
	s_lshl_b64 s[0:1], s[0:1], 1
	v_mad_u64_u32 v[6:7], null, s17, v4, v[6:7]
	s_add_u32 s3, s12, s0
	s_addc_u32 s4, s13, s1
	s_lshl_b64 s[0:1], s[14:15], 1
	s_add_u32 s0, s3, s0
	s_addc_u32 s1, s4, s1
	v_lshlrev_b64 v[5:6], 1, v[5:6]
	v_add_co_u32 v5, vcc_lo, s0, v5
	v_add_co_ci_u32_e64 v6, null, s1, v6, vcc_lo
	v_add_co_u32 v0, vcc_lo, v5, v0
	v_add_co_ci_u32_e64 v1, null, v6, v1, vcc_lo
	global_load_ushort v0, v[0:1], off
	s_waitcnt vmcnt(0)
	v_mul_f16_e32 v1, s2, v0
.LBB334_4:
	s_waitcnt lgkmcnt(0)
	v_mad_u64_u32 v[5:6], null, s24, v4, 0
	s_mul_i32 s1, s27, s8
	s_mul_hi_u32 s2, s26, s8
	s_mul_i32 s0, s26, s8
	s_add_i32 s1, s2, s1
	v_lshlrev_b64 v[2:3], 1, v[2:3]
	s_lshl_b64 s[0:1], s[0:1], 1
	v_mov_b32_e32 v0, v6
	s_add_u32 s2, s20, s0
	s_addc_u32 s3, s21, s1
	s_lshl_b64 s[0:1], s[22:23], 1
	s_add_u32 s0, s2, s0
	v_mad_u64_u32 v[6:7], null, s25, v4, v[0:1]
	s_addc_u32 s1, s3, s1
	v_lshlrev_b64 v[4:5], 1, v[5:6]
	v_add_co_u32 v0, vcc_lo, s0, v4
	v_add_co_ci_u32_e64 v4, null, s1, v5, vcc_lo
	v_add_co_u32 v2, vcc_lo, v0, v2
	v_add_co_ci_u32_e64 v3, null, v4, v3, vcc_lo
	global_store_short v[2:3], v1, off
.LBB334_5:
	s_endpgm
.LBB334_6:
	v_mov_b32_e32 v3, v1
	v_mov_b32_e32 v2, v0
	s_load_dwordx16 s[12:27], s[4:5], 0x10
	s_branch .LBB334_3
	.section	.rodata,"a",@progbits
	.p2align	6, 0x0
	.amdhsa_kernel _ZN12_GLOBAL__N_120gemm_ex_scale_kernelILi32ELi32EDF16_PKDF16_PDF16_EEviiT1_T2_lllT3_llli
		.amdhsa_group_segment_fixed_size 0
		.amdhsa_private_segment_fixed_size 0
		.amdhsa_kernarg_size 84
		.amdhsa_user_sgpr_count 6
		.amdhsa_user_sgpr_private_segment_buffer 1
		.amdhsa_user_sgpr_dispatch_ptr 0
		.amdhsa_user_sgpr_queue_ptr 0
		.amdhsa_user_sgpr_kernarg_segment_ptr 1
		.amdhsa_user_sgpr_dispatch_id 0
		.amdhsa_user_sgpr_flat_scratch_init 0
		.amdhsa_user_sgpr_private_segment_size 0
		.amdhsa_wavefront_size32 1
		.amdhsa_uses_dynamic_stack 0
		.amdhsa_system_sgpr_private_segment_wavefront_offset 0
		.amdhsa_system_sgpr_workgroup_id_x 1
		.amdhsa_system_sgpr_workgroup_id_y 1
		.amdhsa_system_sgpr_workgroup_id_z 1
		.amdhsa_system_sgpr_workgroup_info 0
		.amdhsa_system_vgpr_workitem_id 1
		.amdhsa_next_free_vgpr 8
		.amdhsa_next_free_sgpr 28
		.amdhsa_reserve_vcc 1
		.amdhsa_reserve_flat_scratch 0
		.amdhsa_float_round_mode_32 0
		.amdhsa_float_round_mode_16_64 0
		.amdhsa_float_denorm_mode_32 3
		.amdhsa_float_denorm_mode_16_64 3
		.amdhsa_dx10_clamp 1
		.amdhsa_ieee_mode 1
		.amdhsa_fp16_overflow 0
		.amdhsa_workgroup_processor_mode 1
		.amdhsa_memory_ordered 1
		.amdhsa_forward_progress 1
		.amdhsa_shared_vgpr_count 0
		.amdhsa_exception_fp_ieee_invalid_op 0
		.amdhsa_exception_fp_denorm_src 0
		.amdhsa_exception_fp_ieee_div_zero 0
		.amdhsa_exception_fp_ieee_overflow 0
		.amdhsa_exception_fp_ieee_underflow 0
		.amdhsa_exception_fp_ieee_inexact 0
		.amdhsa_exception_int_div_zero 0
	.end_amdhsa_kernel
	.section	.text._ZN12_GLOBAL__N_120gemm_ex_scale_kernelILi32ELi32EDF16_PKDF16_PDF16_EEviiT1_T2_lllT3_llli,"axG",@progbits,_ZN12_GLOBAL__N_120gemm_ex_scale_kernelILi32ELi32EDF16_PKDF16_PDF16_EEviiT1_T2_lllT3_llli,comdat
.Lfunc_end334:
	.size	_ZN12_GLOBAL__N_120gemm_ex_scale_kernelILi32ELi32EDF16_PKDF16_PDF16_EEviiT1_T2_lllT3_llli, .Lfunc_end334-_ZN12_GLOBAL__N_120gemm_ex_scale_kernelILi32ELi32EDF16_PKDF16_PDF16_EEviiT1_T2_lllT3_llli
                                        ; -- End function
	.set _ZN12_GLOBAL__N_120gemm_ex_scale_kernelILi32ELi32EDF16_PKDF16_PDF16_EEviiT1_T2_lllT3_llli.num_vgpr, 8
	.set _ZN12_GLOBAL__N_120gemm_ex_scale_kernelILi32ELi32EDF16_PKDF16_PDF16_EEviiT1_T2_lllT3_llli.num_agpr, 0
	.set _ZN12_GLOBAL__N_120gemm_ex_scale_kernelILi32ELi32EDF16_PKDF16_PDF16_EEviiT1_T2_lllT3_llli.numbered_sgpr, 28
	.set _ZN12_GLOBAL__N_120gemm_ex_scale_kernelILi32ELi32EDF16_PKDF16_PDF16_EEviiT1_T2_lllT3_llli.num_named_barrier, 0
	.set _ZN12_GLOBAL__N_120gemm_ex_scale_kernelILi32ELi32EDF16_PKDF16_PDF16_EEviiT1_T2_lllT3_llli.private_seg_size, 0
	.set _ZN12_GLOBAL__N_120gemm_ex_scale_kernelILi32ELi32EDF16_PKDF16_PDF16_EEviiT1_T2_lllT3_llli.uses_vcc, 1
	.set _ZN12_GLOBAL__N_120gemm_ex_scale_kernelILi32ELi32EDF16_PKDF16_PDF16_EEviiT1_T2_lllT3_llli.uses_flat_scratch, 0
	.set _ZN12_GLOBAL__N_120gemm_ex_scale_kernelILi32ELi32EDF16_PKDF16_PDF16_EEviiT1_T2_lllT3_llli.has_dyn_sized_stack, 0
	.set _ZN12_GLOBAL__N_120gemm_ex_scale_kernelILi32ELi32EDF16_PKDF16_PDF16_EEviiT1_T2_lllT3_llli.has_recursion, 0
	.set _ZN12_GLOBAL__N_120gemm_ex_scale_kernelILi32ELi32EDF16_PKDF16_PDF16_EEviiT1_T2_lllT3_llli.has_indirect_call, 0
	.section	.AMDGPU.csdata,"",@progbits
; Kernel info:
; codeLenInByte = 368
; TotalNumSgprs: 30
; NumVgprs: 8
; ScratchSize: 0
; MemoryBound: 0
; FloatMode: 240
; IeeeMode: 1
; LDSByteSize: 0 bytes/workgroup (compile time only)
; SGPRBlocks: 0
; VGPRBlocks: 0
; NumSGPRsForWavesPerEU: 30
; NumVGPRsForWavesPerEU: 8
; Occupancy: 16
; WaveLimiterHint : 0
; COMPUTE_PGM_RSRC2:SCRATCH_EN: 0
; COMPUTE_PGM_RSRC2:USER_SGPR: 6
; COMPUTE_PGM_RSRC2:TRAP_HANDLER: 0
; COMPUTE_PGM_RSRC2:TGID_X_EN: 1
; COMPUTE_PGM_RSRC2:TGID_Y_EN: 1
; COMPUTE_PGM_RSRC2:TGID_Z_EN: 1
; COMPUTE_PGM_RSRC2:TIDIG_COMP_CNT: 1
	.section	.text._ZN12_GLOBAL__N_127rocblas_gemm_batched_kernelIDF16_Li16ELi16ELi64ELi64ELi4ELi64ELi4ELi4ELi64ELc78ELc78EKDF16_S1_DF16_EEvlllT_PT11_llS4_llS2_PT12_llPT13_lli,"axG",@progbits,_ZN12_GLOBAL__N_127rocblas_gemm_batched_kernelIDF16_Li16ELi16ELi64ELi64ELi4ELi64ELi4ELi4ELi64ELc78ELc78EKDF16_S1_DF16_EEvlllT_PT11_llS4_llS2_PT12_llPT13_lli,comdat
	.globl	_ZN12_GLOBAL__N_127rocblas_gemm_batched_kernelIDF16_Li16ELi16ELi64ELi64ELi4ELi64ELi4ELi4ELi64ELc78ELc78EKDF16_S1_DF16_EEvlllT_PT11_llS4_llS2_PT12_llPT13_lli ; -- Begin function _ZN12_GLOBAL__N_127rocblas_gemm_batched_kernelIDF16_Li16ELi16ELi64ELi64ELi4ELi64ELi4ELi4ELi64ELc78ELc78EKDF16_S1_DF16_EEvlllT_PT11_llS4_llS2_PT12_llPT13_lli
	.p2align	8
	.type	_ZN12_GLOBAL__N_127rocblas_gemm_batched_kernelIDF16_Li16ELi16ELi64ELi64ELi4ELi64ELi4ELi4ELi64ELc78ELc78EKDF16_S1_DF16_EEvlllT_PT11_llS4_llS2_PT12_llPT13_lli,@function
_ZN12_GLOBAL__N_127rocblas_gemm_batched_kernelIDF16_Li16ELi16ELi64ELi64ELi4ELi64ELi4ELi4ELi64ELc78ELc78EKDF16_S1_DF16_EEvlllT_PT11_llS4_llS2_PT12_llPT13_lli: ; @_ZN12_GLOBAL__N_127rocblas_gemm_batched_kernelIDF16_Li16ELi16ELi64ELi64ELi4ELi64ELi4ELi4ELi64ELc78ELc78EKDF16_S1_DF16_EEvlllT_PT11_llS4_llS2_PT12_llPT13_lli
; %bb.0:
	s_load_dwordx2 s[22:23], s[4:5], 0x10
	s_mov_b32 s0, s7
	s_ashr_i32 s7, s6, 31
	s_ashr_i32 s1, s0, 31
	s_lshl_b64 s[10:11], s[6:7], 6
	s_lshl_b64 s[20:21], s[0:1], 6
	s_waitcnt lgkmcnt(0)
	v_cmp_lt_i64_e64 s2, s[22:23], 1
	s_and_b32 vcc_lo, exec_lo, s2
	s_cbranch_vccnz .LBB335_3
; %bb.1:
	s_load_dwordx4 s[0:3], s[4:5], 0x40
	v_lshl_add_u32 v2, v1, 4, v0
	s_load_dwordx8 s[12:19], s[4:5], 0x20
	v_and_b32_e32 v3, 3, v0
	v_lshlrev_b32_e32 v14, 1, v0
	v_lshl_add_u32 v15, v1, 3, 0x200
	v_lshrrev_b32_e32 v4, 2, v2
	v_and_b32_e32 v7, 63, v2
	v_lshlrev_b32_e32 v8, 1, v3
	v_lshrrev_b32_e32 v6, 6, v2
	v_mov_b32_e32 v13, 0
	v_add_co_u32 v3, s6, v4, s20
	v_add_co_ci_u32_e64 v5, null, 0, s21, s6
	v_lshl_or_b32 v10, v4, 3, v8
	v_lshlrev_b32_e32 v9, 1, v7
	v_add_nc_u32_e32 v17, 0x200, v10
	s_waitcnt lgkmcnt(0)
	v_mul_lo_u32 v11, s1, v3
	v_mul_lo_u32 v12, s0, v5
	v_mad_u64_u32 v[2:3], null, s0, v3, 0
	v_mad_u64_u32 v[4:5], null, s14, v6, s[10:11]
	s_mul_i32 s1, s3, s8
	s_mul_hi_u32 s3, s2, s8
	v_lshl_or_b32 v16, v6, 7, v9
	s_mul_i32 s0, s2, s8
	v_add3_u32 v3, v3, v12, v11
	s_add_i32 s1, s3, s1
	v_mad_u64_u32 v[5:6], null, s15, v6, v[5:6]
	s_lshl_b64 s[0:1], s[0:1], 1
	v_lshlrev_b64 v[2:3], 1, v[2:3]
	s_mul_i32 s2, s17, s8
	s_mul_hi_u32 s3, s16, s8
	v_mov_b32_e32 v10, 0
	v_mov_b32_e32 v11, 0
	;; [unrolled: 1-line block ×3, first 2 shown]
	v_add_co_u32 v6, vcc_lo, v2, s0
	v_add_co_ci_u32_e64 v9, null, s1, v3, vcc_lo
	v_add_co_u32 v2, vcc_lo, v4, v7
	v_add_co_ci_u32_e64 v3, null, 0, v5, vcc_lo
	v_add_co_u32 v6, vcc_lo, v6, v8
	s_add_i32 s1, s3, s2
	s_mul_i32 s0, s16, s8
	v_lshlrev_b64 v[4:5], 1, v[2:3]
	v_add_co_ci_u32_e64 v7, null, 0, v9, vcc_lo
	s_lshl_b64 s[0:1], s[0:1], 1
	v_add_co_u32 v2, vcc_lo, s18, v6
	s_add_u32 s0, s12, s0
	v_add_co_ci_u32_e64 v3, null, s19, v7, vcc_lo
	s_addc_u32 s1, s13, s1
	v_add_co_u32 v4, vcc_lo, s0, v4
	v_add_co_ci_u32_e64 v5, null, s1, v5, vcc_lo
	v_mov_b32_e32 v6, 0
	v_mov_b32_e32 v7, 0
	;; [unrolled: 1-line block ×4, first 2 shown]
	s_lshl_b64 s[0:1], s[14:15], 3
	s_mov_b64 s[2:3], 0
.LBB335_2:                              ; =>This Inner Loop Header: Depth=1
	global_load_ushort v18, v[4:5], off
	global_load_ushort v19, v[2:3], off
	s_add_u32 s2, s2, 4
	s_addc_u32 s3, s3, 0
	v_add_co_u32 v2, vcc_lo, v2, 8
	v_cmp_lt_i64_e64 s6, s[2:3], s[22:23]
	v_add_co_ci_u32_e64 v3, null, 0, v3, vcc_lo
	v_add_co_u32 v4, vcc_lo, v4, s0
	v_add_co_ci_u32_e64 v5, null, s1, v5, vcc_lo
	s_and_b32 vcc_lo, exec_lo, s6
	s_waitcnt vmcnt(1)
	ds_write_b16 v16, v18
	s_waitcnt vmcnt(0)
	ds_write_b16 v17, v19
	s_waitcnt lgkmcnt(0)
	s_barrier
	buffer_gl0_inv
	ds_read_u16 v26, v14 offset:32
	ds_read_u16 v27, v14 offset:96
	;; [unrolled: 1-line block ×8, first 2 shown]
	ds_read2_b64 v[18:21], v15 offset1:16
	ds_read2_b64 v[22:25], v15 offset0:32 offset1:48
	s_waitcnt lgkmcnt(9)
	ds_read_u16_d16_hi v26, v14
	s_waitcnt lgkmcnt(9)
	ds_read_u16_d16_hi v27, v14 offset:64
	s_waitcnt lgkmcnt(9)
	ds_read_u16_d16_hi v28, v14 offset:128
	;; [unrolled: 2-line block ×7, first 2 shown]
	s_waitcnt lgkmcnt(0)
	s_barrier
	buffer_gl0_inv
	v_pk_fma_f16 v13, v26, v18, v13 op_sel_hi:[1,0,1]
	v_pk_fma_f16 v12, v27, v18, v12 op_sel_hi:[1,0,1]
	;; [unrolled: 1-line block ×8, first 2 shown]
	v_pk_fma_f16 v13, v28, v18, v13 op_sel:[0,1,0]
	v_pk_fma_f16 v12, v29, v18, v12 op_sel:[0,1,0]
	;; [unrolled: 1-line block ×8, first 2 shown]
	v_pk_fma_f16 v13, v30, v19, v13 op_sel_hi:[1,0,1]
	v_pk_fma_f16 v12, v31, v19, v12 op_sel_hi:[1,0,1]
	;; [unrolled: 1-line block ×8, first 2 shown]
	v_pk_fma_f16 v13, v32, v19, v13 op_sel:[0,1,0]
	v_pk_fma_f16 v12, v33, v19, v12 op_sel:[0,1,0]
	;; [unrolled: 1-line block ×8, first 2 shown]
	s_cbranch_vccnz .LBB335_2
	s_branch .LBB335_4
.LBB335_3:
	v_mov_b32_e32 v13, 0
	v_mov_b32_e32 v12, 0
	;; [unrolled: 1-line block ×8, first 2 shown]
.LBB335_4:
	s_clause 0x3
	s_load_dwordx4 s[12:15], s[4:5], 0x78
	s_load_dword s16, s[4:5], 0x50
	s_load_dword s9, s[4:5], 0x18
	s_load_dwordx8 s[0:7], s[4:5], 0x58
	v_add_co_u32 v17, s17, s20, v1
	v_add_co_ci_u32_e64 v21, null, s21, 0, s17
	v_add_co_u32 v0, s10, s10, v0
	v_add_co_ci_u32_e64 v1, null, s11, 0, s10
	v_lshrrev_b32_e32 v18, 16, v13
	v_lshrrev_b32_e32 v16, 16, v12
	;; [unrolled: 1-line block ×3, first 2 shown]
	v_lshlrev_b64 v[0:1], 1, v[0:1]
	v_lshrrev_b32_e32 v14, 16, v10
	v_lshrrev_b32_e32 v5, 16, v9
	;; [unrolled: 1-line block ×4, first 2 shown]
	s_waitcnt lgkmcnt(0)
	s_mul_i32 s11, s15, s8
	s_mul_hi_u32 s15, s14, s8
	v_mul_lo_u32 v19, v21, s12
	v_mul_lo_u32 v20, v17, s13
	s_mul_i32 s10, s14, s8
	v_cmp_neq_f16_e64 s14, s16, 0
	s_add_i32 s11, s15, s11
	v_lshrrev_b32_e32 v2, 16, v6
	s_lshl_b64 s[10:11], s[10:11], 1
	s_add_u32 s6, s6, s10
	s_addc_u32 s7, s7, s11
	s_and_b32 vcc_lo, exec_lo, s14
	s_mov_b32 s10, 0
	s_cbranch_vccnz .LBB335_8
; %bb.5:
	v_mad_u64_u32 v[22:23], null, v17, s12, 0
	s_lshl_b64 s[14:15], s[12:13], 5
	v_mul_f16_sdwa v26, s9, v13 dst_sel:DWORD dst_unused:UNUSED_PAD src0_sel:DWORD src1_sel:WORD_1
	v_mul_f16_e32 v27, s9, v13
	v_mul_f16_sdwa v28, s9, v12 dst_sel:DWORD dst_unused:UNUSED_PAD src0_sel:DWORD src1_sel:WORD_1
	v_mul_f16_e32 v29, s9, v12
	v_mul_f16_sdwa v30, s9, v11 dst_sel:DWORD dst_unused:UNUSED_PAD src0_sel:DWORD src1_sel:WORD_1
	v_add3_u32 v23, v23, v20, v19
	v_mul_f16_e32 v31, s9, v11
	v_mul_f16_sdwa v32, s9, v10 dst_sel:DWORD dst_unused:UNUSED_PAD src0_sel:DWORD src1_sel:WORD_1
	v_mul_f16_e32 v33, s9, v10
	v_lshlrev_b64 v[22:23], 1, v[22:23]
	v_add_co_u32 v22, vcc_lo, s6, v22
	v_add_co_ci_u32_e64 v23, null, s7, v23, vcc_lo
	v_add_co_u32 v34, vcc_lo, v22, s14
	v_add_co_ci_u32_e64 v35, null, s15, v23, vcc_lo
	;; [unrolled: 2-line block ×4, first 2 shown]
	global_store_short v[22:23], v26, off
	global_store_short v[22:23], v27, off offset:32
	global_store_short v[22:23], v28, off offset:64
	;; [unrolled: 1-line block ×3, first 2 shown]
	global_store_short v[24:25], v30, off
	global_store_short v[24:25], v31, off offset:32
	v_add_co_u32 v26, vcc_lo, v34, s14
	v_add_co_ci_u32_e64 v27, null, s15, v35, vcc_lo
	v_mul_f16_sdwa v28, s9, v9 dst_sel:DWORD dst_unused:UNUSED_PAD src0_sel:DWORD src1_sel:WORD_1
	v_add_co_u32 v22, vcc_lo, v26, v0
	v_add_co_ci_u32_e64 v23, null, v27, v1, vcc_lo
	v_mul_f16_e32 v29, s9, v9
	v_mul_f16_sdwa v30, s9, v8 dst_sel:DWORD dst_unused:UNUSED_PAD src0_sel:DWORD src1_sel:WORD_1
	global_store_short v[24:25], v32, off offset:64
	global_store_short v[24:25], v33, off offset:96
	global_store_short v[22:23], v28, off
	global_store_short v[22:23], v29, off offset:32
	global_store_short v[22:23], v30, off offset:64
	v_add_co_u32 v24, vcc_lo, v26, s14
	v_add_co_ci_u32_e64 v25, null, s15, v27, vcc_lo
	v_mul_f16_e32 v28, s9, v8
	v_add_co_u32 v24, vcc_lo, v24, v0
	v_mul_f16_sdwa v26, s9, v7 dst_sel:DWORD dst_unused:UNUSED_PAD src0_sel:DWORD src1_sel:WORD_1
	v_add_co_ci_u32_e64 v25, null, v25, v1, vcc_lo
	v_mul_f16_e32 v27, s9, v7
	v_mul_f16_sdwa v29, s9, v6 dst_sel:DWORD dst_unused:UNUSED_PAD src0_sel:DWORD src1_sel:WORD_1
	v_mul_f16_e32 v30, s9, v6
	global_store_short v[22:23], v28, off offset:96
	global_store_short v[24:25], v26, off
	global_store_short v[24:25], v27, off offset:32
	global_store_short v[24:25], v29, off offset:64
	;; [unrolled: 1-line block ×3, first 2 shown]
	s_andn2_b32 vcc_lo, exec_lo, s10
	s_cbranch_vccnz .LBB335_7
.LBB335_6:
	v_mul_lo_u32 v23, v21, s2
	v_mul_lo_u32 v24, v17, s3
	v_mad_u64_u32 v[21:22], null, v17, s2, 0
	s_mul_i32 s5, s5, s8
	s_mul_hi_u32 s10, s4, s8
	s_mul_i32 s4, s4, s8
	s_add_i32 s5, s10, s5
	s_lshl_b64 s[4:5], s[4:5], 1
	v_add3_u32 v22, v22, v24, v23
	s_add_u32 s0, s0, s4
	s_addc_u32 s1, s1, s5
	v_mad_u64_u32 v[23:24], null, v17, s12, 0
	v_lshlrev_b64 v[21:22], 1, v[21:22]
	v_add3_u32 v24, v24, v20, v19
	v_add_co_u32 v25, vcc_lo, s0, v21
	v_add_co_ci_u32_e64 v26, null, s1, v22, vcc_lo
	v_lshlrev_b64 v[19:20], 1, v[23:24]
	v_add_co_u32 v21, vcc_lo, v25, v0
	v_add_co_ci_u32_e64 v22, null, v26, v1, vcc_lo
	s_lshl_b64 s[0:1], s[2:3], 5
	v_add_co_u32 v17, vcc_lo, s6, v19
	global_load_ushort v27, v[21:22], off
	v_add_co_ci_u32_e64 v23, null, s7, v20, vcc_lo
	v_add_co_u32 v19, vcc_lo, v17, v0
	s_lshl_b64 s[2:3], s[12:13], 5
	v_add_co_ci_u32_e64 v20, null, v23, v1, vcc_lo
	s_waitcnt vmcnt(0)
	v_mul_f16_e32 v24, s16, v27
	v_fmac_f16_e32 v24, s9, v18
	global_store_short v[19:20], v24, off
	global_load_ushort v18, v[21:22], off offset:32
	s_waitcnt vmcnt(0)
	v_mul_f16_e32 v18, s16, v18
	v_fmac_f16_e32 v18, s9, v13
	global_store_short v[19:20], v18, off offset:32
	global_load_ushort v13, v[21:22], off offset:64
	v_add_co_u32 v18, vcc_lo, v25, s0
	s_waitcnt vmcnt(0)
	v_mul_f16_e32 v13, s16, v13
	v_fmac_f16_e32 v13, s9, v16
	global_store_short v[19:20], v13, off offset:64
	global_load_ushort v13, v[21:22], off offset:96
	v_add_co_ci_u32_e64 v21, null, s1, v26, vcc_lo
	s_waitcnt vmcnt(0)
	v_mul_f16_e32 v16, s16, v13
	v_fmac_f16_e32 v16, s9, v12
	v_add_co_u32 v12, vcc_lo, v18, v0
	v_add_co_ci_u32_e64 v13, null, v21, v1, vcc_lo
	global_store_short v[19:20], v16, off offset:96
	v_add_co_u32 v19, vcc_lo, v17, s2
	global_load_ushort v16, v[12:13], off
	v_add_co_ci_u32_e64 v20, null, s3, v23, vcc_lo
	s_waitcnt vmcnt(0)
	v_mul_f16_e32 v22, s16, v16
	v_add_co_u32 v16, vcc_lo, v19, v0
	v_add_co_ci_u32_e64 v17, null, v20, v1, vcc_lo
	v_fmac_f16_e32 v22, s9, v15
	global_store_short v[16:17], v22, off
	global_load_ushort v15, v[12:13], off offset:32
	s_waitcnt vmcnt(0)
	v_mul_f16_e32 v15, s16, v15
	v_fmac_f16_e32 v15, s9, v11
	global_store_short v[16:17], v15, off offset:32
	global_load_ushort v11, v[12:13], off offset:64
	s_waitcnt vmcnt(0)
	v_mul_f16_e32 v11, s16, v11
	v_fmac_f16_e32 v11, s9, v14
	v_add_co_u32 v14, vcc_lo, v18, s0
	v_add_co_ci_u32_e64 v15, null, s1, v21, vcc_lo
	global_store_short v[16:17], v11, off offset:64
	global_load_ushort v11, v[12:13], off offset:96
	s_waitcnt vmcnt(0)
	v_mul_f16_e32 v12, s16, v11
	v_fmac_f16_e32 v12, s9, v10
	v_add_co_u32 v10, vcc_lo, v14, v0
	v_add_co_ci_u32_e64 v11, null, v15, v1, vcc_lo
	global_store_short v[16:17], v12, off offset:96
	v_add_co_u32 v16, vcc_lo, v19, s2
	global_load_ushort v12, v[10:11], off
	v_add_co_ci_u32_e64 v17, null, s3, v20, vcc_lo
	s_waitcnt vmcnt(0)
	v_mul_f16_e32 v18, s16, v12
	v_add_co_u32 v12, vcc_lo, v16, v0
	v_add_co_ci_u32_e64 v13, null, v17, v1, vcc_lo
	v_fmac_f16_e32 v18, s9, v5
	global_store_short v[12:13], v18, off
	global_load_ushort v5, v[10:11], off offset:32
	s_waitcnt vmcnt(0)
	v_mul_f16_e32 v5, s16, v5
	v_fmac_f16_e32 v5, s9, v9
	global_store_short v[12:13], v5, off offset:32
	global_load_ushort v5, v[10:11], off offset:64
	s_waitcnt vmcnt(0)
	v_mul_f16_e32 v5, s16, v5
	v_fmac_f16_e32 v5, s9, v4
	global_store_short v[12:13], v5, off offset:64
	global_load_ushort v4, v[10:11], off offset:96
	s_waitcnt vmcnt(0)
	v_mul_f16_e32 v9, s16, v4
	v_add_co_u32 v4, vcc_lo, v14, s0
	v_add_co_ci_u32_e64 v5, null, s1, v15, vcc_lo
	v_fmac_f16_e32 v9, s9, v8
	v_add_co_u32 v4, vcc_lo, v4, v0
	v_add_co_ci_u32_e64 v5, null, v5, v1, vcc_lo
	global_store_short v[12:13], v9, off offset:96
	v_add_co_u32 v9, vcc_lo, v16, s2
	global_load_ushort v8, v[4:5], off
	v_add_co_ci_u32_e64 v10, null, s3, v17, vcc_lo
	v_add_co_u32 v0, vcc_lo, v9, v0
	v_add_co_ci_u32_e64 v1, null, v10, v1, vcc_lo
	s_waitcnt vmcnt(0)
	v_mul_f16_e32 v8, s16, v8
	v_fmac_f16_e32 v8, s9, v3
	global_store_short v[0:1], v8, off
	global_load_ushort v3, v[4:5], off offset:32
	s_waitcnt vmcnt(0)
	v_mul_f16_e32 v3, s16, v3
	v_fmac_f16_e32 v3, s9, v7
	global_store_short v[0:1], v3, off offset:32
	global_load_ushort v3, v[4:5], off offset:64
	s_waitcnt vmcnt(0)
	v_mul_f16_e32 v3, s16, v3
	v_fmac_f16_e32 v3, s9, v2
	global_store_short v[0:1], v3, off offset:64
	;; [unrolled: 5-line block ×3, first 2 shown]
.LBB335_7:
	s_endpgm
.LBB335_8:
	s_branch .LBB335_6
	.section	.rodata,"a",@progbits
	.p2align	6, 0x0
	.amdhsa_kernel _ZN12_GLOBAL__N_127rocblas_gemm_batched_kernelIDF16_Li16ELi16ELi64ELi64ELi4ELi64ELi4ELi4ELi64ELc78ELc78EKDF16_S1_DF16_EEvlllT_PT11_llS4_llS2_PT12_llPT13_lli
		.amdhsa_group_segment_fixed_size 1024
		.amdhsa_private_segment_fixed_size 0
		.amdhsa_kernarg_size 140
		.amdhsa_user_sgpr_count 6
		.amdhsa_user_sgpr_private_segment_buffer 1
		.amdhsa_user_sgpr_dispatch_ptr 0
		.amdhsa_user_sgpr_queue_ptr 0
		.amdhsa_user_sgpr_kernarg_segment_ptr 1
		.amdhsa_user_sgpr_dispatch_id 0
		.amdhsa_user_sgpr_flat_scratch_init 0
		.amdhsa_user_sgpr_private_segment_size 0
		.amdhsa_wavefront_size32 1
		.amdhsa_uses_dynamic_stack 0
		.amdhsa_system_sgpr_private_segment_wavefront_offset 0
		.amdhsa_system_sgpr_workgroup_id_x 1
		.amdhsa_system_sgpr_workgroup_id_y 1
		.amdhsa_system_sgpr_workgroup_id_z 1
		.amdhsa_system_sgpr_workgroup_info 0
		.amdhsa_system_vgpr_workitem_id 1
		.amdhsa_next_free_vgpr 36
		.amdhsa_next_free_sgpr 24
		.amdhsa_reserve_vcc 1
		.amdhsa_reserve_flat_scratch 0
		.amdhsa_float_round_mode_32 0
		.amdhsa_float_round_mode_16_64 0
		.amdhsa_float_denorm_mode_32 3
		.amdhsa_float_denorm_mode_16_64 3
		.amdhsa_dx10_clamp 1
		.amdhsa_ieee_mode 1
		.amdhsa_fp16_overflow 0
		.amdhsa_workgroup_processor_mode 1
		.amdhsa_memory_ordered 1
		.amdhsa_forward_progress 1
		.amdhsa_shared_vgpr_count 0
		.amdhsa_exception_fp_ieee_invalid_op 0
		.amdhsa_exception_fp_denorm_src 0
		.amdhsa_exception_fp_ieee_div_zero 0
		.amdhsa_exception_fp_ieee_overflow 0
		.amdhsa_exception_fp_ieee_underflow 0
		.amdhsa_exception_fp_ieee_inexact 0
		.amdhsa_exception_int_div_zero 0
	.end_amdhsa_kernel
	.section	.text._ZN12_GLOBAL__N_127rocblas_gemm_batched_kernelIDF16_Li16ELi16ELi64ELi64ELi4ELi64ELi4ELi4ELi64ELc78ELc78EKDF16_S1_DF16_EEvlllT_PT11_llS4_llS2_PT12_llPT13_lli,"axG",@progbits,_ZN12_GLOBAL__N_127rocblas_gemm_batched_kernelIDF16_Li16ELi16ELi64ELi64ELi4ELi64ELi4ELi4ELi64ELc78ELc78EKDF16_S1_DF16_EEvlllT_PT11_llS4_llS2_PT12_llPT13_lli,comdat
.Lfunc_end335:
	.size	_ZN12_GLOBAL__N_127rocblas_gemm_batched_kernelIDF16_Li16ELi16ELi64ELi64ELi4ELi64ELi4ELi4ELi64ELc78ELc78EKDF16_S1_DF16_EEvlllT_PT11_llS4_llS2_PT12_llPT13_lli, .Lfunc_end335-_ZN12_GLOBAL__N_127rocblas_gemm_batched_kernelIDF16_Li16ELi16ELi64ELi64ELi4ELi64ELi4ELi4ELi64ELc78ELc78EKDF16_S1_DF16_EEvlllT_PT11_llS4_llS2_PT12_llPT13_lli
                                        ; -- End function
	.set _ZN12_GLOBAL__N_127rocblas_gemm_batched_kernelIDF16_Li16ELi16ELi64ELi64ELi4ELi64ELi4ELi4ELi64ELc78ELc78EKDF16_S1_DF16_EEvlllT_PT11_llS4_llS2_PT12_llPT13_lli.num_vgpr, 36
	.set _ZN12_GLOBAL__N_127rocblas_gemm_batched_kernelIDF16_Li16ELi16ELi64ELi64ELi4ELi64ELi4ELi4ELi64ELc78ELc78EKDF16_S1_DF16_EEvlllT_PT11_llS4_llS2_PT12_llPT13_lli.num_agpr, 0
	.set _ZN12_GLOBAL__N_127rocblas_gemm_batched_kernelIDF16_Li16ELi16ELi64ELi64ELi4ELi64ELi4ELi4ELi64ELc78ELc78EKDF16_S1_DF16_EEvlllT_PT11_llS4_llS2_PT12_llPT13_lli.numbered_sgpr, 24
	.set _ZN12_GLOBAL__N_127rocblas_gemm_batched_kernelIDF16_Li16ELi16ELi64ELi64ELi4ELi64ELi4ELi4ELi64ELc78ELc78EKDF16_S1_DF16_EEvlllT_PT11_llS4_llS2_PT12_llPT13_lli.num_named_barrier, 0
	.set _ZN12_GLOBAL__N_127rocblas_gemm_batched_kernelIDF16_Li16ELi16ELi64ELi64ELi4ELi64ELi4ELi4ELi64ELc78ELc78EKDF16_S1_DF16_EEvlllT_PT11_llS4_llS2_PT12_llPT13_lli.private_seg_size, 0
	.set _ZN12_GLOBAL__N_127rocblas_gemm_batched_kernelIDF16_Li16ELi16ELi64ELi64ELi4ELi64ELi4ELi4ELi64ELc78ELc78EKDF16_S1_DF16_EEvlllT_PT11_llS4_llS2_PT12_llPT13_lli.uses_vcc, 1
	.set _ZN12_GLOBAL__N_127rocblas_gemm_batched_kernelIDF16_Li16ELi16ELi64ELi64ELi4ELi64ELi4ELi4ELi64ELc78ELc78EKDF16_S1_DF16_EEvlllT_PT11_llS4_llS2_PT12_llPT13_lli.uses_flat_scratch, 0
	.set _ZN12_GLOBAL__N_127rocblas_gemm_batched_kernelIDF16_Li16ELi16ELi64ELi64ELi4ELi64ELi4ELi4ELi64ELc78ELc78EKDF16_S1_DF16_EEvlllT_PT11_llS4_llS2_PT12_llPT13_lli.has_dyn_sized_stack, 0
	.set _ZN12_GLOBAL__N_127rocblas_gemm_batched_kernelIDF16_Li16ELi16ELi64ELi64ELi4ELi64ELi4ELi4ELi64ELc78ELc78EKDF16_S1_DF16_EEvlllT_PT11_llS4_llS2_PT12_llPT13_lli.has_recursion, 0
	.set _ZN12_GLOBAL__N_127rocblas_gemm_batched_kernelIDF16_Li16ELi16ELi64ELi64ELi4ELi64ELi4ELi4ELi64ELc78ELc78EKDF16_S1_DF16_EEvlllT_PT11_llS4_llS2_PT12_llPT13_lli.has_indirect_call, 0
	.section	.AMDGPU.csdata,"",@progbits
; Kernel info:
; codeLenInByte = 2360
; TotalNumSgprs: 26
; NumVgprs: 36
; ScratchSize: 0
; MemoryBound: 0
; FloatMode: 240
; IeeeMode: 1
; LDSByteSize: 1024 bytes/workgroup (compile time only)
; SGPRBlocks: 0
; VGPRBlocks: 4
; NumSGPRsForWavesPerEU: 26
; NumVGPRsForWavesPerEU: 36
; Occupancy: 16
; WaveLimiterHint : 0
; COMPUTE_PGM_RSRC2:SCRATCH_EN: 0
; COMPUTE_PGM_RSRC2:USER_SGPR: 6
; COMPUTE_PGM_RSRC2:TRAP_HANDLER: 0
; COMPUTE_PGM_RSRC2:TGID_X_EN: 1
; COMPUTE_PGM_RSRC2:TGID_Y_EN: 1
; COMPUTE_PGM_RSRC2:TGID_Z_EN: 1
; COMPUTE_PGM_RSRC2:TIDIG_COMP_CNT: 1
	.section	.text._ZN12_GLOBAL__N_127rocblas_gemm_batched_kernelIDF16_Li16ELi16ELi64ELi64ELi4ELi64ELi4ELi4ELi64ELc84ELc78EKDF16_S1_DF16_EEvlllT_PT11_llS4_llS2_PT12_llPT13_lli,"axG",@progbits,_ZN12_GLOBAL__N_127rocblas_gemm_batched_kernelIDF16_Li16ELi16ELi64ELi64ELi4ELi64ELi4ELi4ELi64ELc84ELc78EKDF16_S1_DF16_EEvlllT_PT11_llS4_llS2_PT12_llPT13_lli,comdat
	.globl	_ZN12_GLOBAL__N_127rocblas_gemm_batched_kernelIDF16_Li16ELi16ELi64ELi64ELi4ELi64ELi4ELi4ELi64ELc84ELc78EKDF16_S1_DF16_EEvlllT_PT11_llS4_llS2_PT12_llPT13_lli ; -- Begin function _ZN12_GLOBAL__N_127rocblas_gemm_batched_kernelIDF16_Li16ELi16ELi64ELi64ELi4ELi64ELi4ELi4ELi64ELc84ELc78EKDF16_S1_DF16_EEvlllT_PT11_llS4_llS2_PT12_llPT13_lli
	.p2align	8
	.type	_ZN12_GLOBAL__N_127rocblas_gemm_batched_kernelIDF16_Li16ELi16ELi64ELi64ELi4ELi64ELi4ELi4ELi64ELc84ELc78EKDF16_S1_DF16_EEvlllT_PT11_llS4_llS2_PT12_llPT13_lli,@function
_ZN12_GLOBAL__N_127rocblas_gemm_batched_kernelIDF16_Li16ELi16ELi64ELi64ELi4ELi64ELi4ELi4ELi64ELc84ELc78EKDF16_S1_DF16_EEvlllT_PT11_llS4_llS2_PT12_llPT13_lli: ; @_ZN12_GLOBAL__N_127rocblas_gemm_batched_kernelIDF16_Li16ELi16ELi64ELi64ELi4ELi64ELi4ELi4ELi64ELc84ELc78EKDF16_S1_DF16_EEvlllT_PT11_llS4_llS2_PT12_llPT13_lli
; %bb.0:
	s_load_dwordx2 s[22:23], s[4:5], 0x10
	s_mov_b32 s0, s7
	s_ashr_i32 s7, s6, 31
	s_ashr_i32 s1, s0, 31
	s_lshl_b64 s[10:11], s[6:7], 6
	s_lshl_b64 s[20:21], s[0:1], 6
	s_waitcnt lgkmcnt(0)
	v_cmp_lt_i64_e64 s2, s[22:23], 1
	s_and_b32 vcc_lo, exec_lo, s2
	s_cbranch_vccnz .LBB336_3
; %bb.1:
	s_load_dwordx4 s[0:3], s[4:5], 0x40
	v_lshl_add_u32 v2, v1, 4, v0
	s_load_dwordx8 s[12:19], s[4:5], 0x20
	v_and_b32_e32 v3, 3, v0
	v_lshlrev_b32_e32 v16, 1, v0
	v_lshl_add_u32 v17, v1, 3, 0x200
	v_lshrrev_b32_e32 v4, 2, v2
	v_and_b32_e32 v5, 63, v2
	v_lshrrev_b32_e32 v6, 6, v2
	v_lshlrev_b32_e32 v7, 1, v3
	v_mov_b32_e32 v12, 0
	v_add_co_u32 v2, s6, v4, s20
	v_add_co_ci_u32_e64 v3, null, 0, s21, s6
	v_lshlrev_b32_e32 v8, 1, v5
	v_add_co_u32 v5, s6, s10, v5
	v_lshl_or_b32 v4, v4, 3, v7
	v_add_co_ci_u32_e64 v9, null, s11, 0, s6
	s_waitcnt lgkmcnt(0)
	v_mul_lo_u32 v10, s1, v2
	v_mul_lo_u32 v11, s0, v3
	v_mad_u64_u32 v[2:3], null, s0, v2, 0
	v_lshl_or_b32 v14, v6, 7, v8
	v_add_nc_u32_e32 v15, 0x200, v4
	v_mul_lo_u32 v8, s15, v5
	v_mul_lo_u32 v9, s14, v9
	v_mad_u64_u32 v[4:5], null, s14, v5, 0
	v_add3_u32 v3, v3, v11, v10
	s_mul_i32 s0, s3, s8
	s_mul_hi_u32 s1, s2, s8
	s_mul_hi_u32 s3, s16, s8
	s_add_i32 s1, s1, s0
	v_lshlrev_b64 v[2:3], 1, v[2:3]
	v_add3_u32 v5, v5, v9, v8
	s_mul_i32 s0, s2, s8
	s_mul_i32 s2, s17, s8
	s_lshl_b64 s[0:1], s[0:1], 1
	s_add_i32 s3, s3, s2
	v_lshlrev_b64 v[4:5], 1, v[4:5]
	s_mul_i32 s2, s16, s8
	v_add_co_u32 v2, vcc_lo, v2, s0
	v_add_co_ci_u32_e64 v3, null, s1, v3, vcc_lo
	s_lshl_b64 s[0:1], s[2:3], 1
	v_lshlrev_b32_e32 v6, 1, v6
	v_add_co_u32 v4, vcc_lo, v4, s0
	v_add_co_ci_u32_e64 v5, null, s1, v5, vcc_lo
	v_add_co_u32 v2, vcc_lo, v2, v7
	v_add_co_ci_u32_e64 v3, null, 0, v3, vcc_lo
	;; [unrolled: 2-line block ×5, first 2 shown]
	v_mov_b32_e32 v6, 0
	v_mov_b32_e32 v7, 0
	;; [unrolled: 1-line block ×7, first 2 shown]
	s_mov_b64 s[0:1], 0
.LBB336_2:                              ; =>This Inner Loop Header: Depth=1
	global_load_ushort v18, v[4:5], off
	global_load_ushort v19, v[2:3], off
	s_add_u32 s0, s0, 4
	s_addc_u32 s1, s1, 0
	v_add_co_u32 v2, vcc_lo, v2, 8
	v_cmp_lt_i64_e64 s2, s[0:1], s[22:23]
	v_add_co_ci_u32_e64 v3, null, 0, v3, vcc_lo
	v_add_co_u32 v4, vcc_lo, v4, 8
	v_add_co_ci_u32_e64 v5, null, 0, v5, vcc_lo
	s_and_b32 vcc_lo, exec_lo, s2
	s_waitcnt vmcnt(1)
	ds_write_b16 v14, v18
	s_waitcnt vmcnt(0)
	ds_write_b16 v15, v19
	s_waitcnt lgkmcnt(0)
	s_barrier
	buffer_gl0_inv
	ds_read_u16 v26, v16 offset:32
	ds_read_u16 v27, v16 offset:96
	;; [unrolled: 1-line block ×8, first 2 shown]
	ds_read2_b64 v[18:21], v17 offset1:16
	ds_read2_b64 v[22:25], v17 offset0:32 offset1:48
	s_waitcnt lgkmcnt(9)
	ds_read_u16_d16_hi v26, v16
	s_waitcnt lgkmcnt(9)
	ds_read_u16_d16_hi v27, v16 offset:64
	s_waitcnt lgkmcnt(9)
	ds_read_u16_d16_hi v28, v16 offset:128
	;; [unrolled: 2-line block ×7, first 2 shown]
	s_waitcnt lgkmcnt(0)
	s_barrier
	buffer_gl0_inv
	v_pk_fma_f16 v13, v26, v18, v13 op_sel_hi:[1,0,1]
	v_pk_fma_f16 v12, v27, v18, v12 op_sel_hi:[1,0,1]
	;; [unrolled: 1-line block ×8, first 2 shown]
	v_pk_fma_f16 v13, v28, v18, v13 op_sel:[0,1,0]
	v_pk_fma_f16 v12, v29, v18, v12 op_sel:[0,1,0]
	;; [unrolled: 1-line block ×8, first 2 shown]
	v_pk_fma_f16 v13, v30, v19, v13 op_sel_hi:[1,0,1]
	v_pk_fma_f16 v12, v31, v19, v12 op_sel_hi:[1,0,1]
	;; [unrolled: 1-line block ×8, first 2 shown]
	v_pk_fma_f16 v13, v32, v19, v13 op_sel:[0,1,0]
	v_pk_fma_f16 v12, v33, v19, v12 op_sel:[0,1,0]
	;; [unrolled: 1-line block ×8, first 2 shown]
	s_cbranch_vccnz .LBB336_2
	s_branch .LBB336_4
.LBB336_3:
	v_mov_b32_e32 v13, 0
	v_mov_b32_e32 v12, 0
	;; [unrolled: 1-line block ×8, first 2 shown]
.LBB336_4:
	s_clause 0x3
	s_load_dwordx4 s[12:15], s[4:5], 0x78
	s_load_dword s16, s[4:5], 0x50
	s_load_dword s9, s[4:5], 0x18
	s_load_dwordx8 s[0:7], s[4:5], 0x58
	v_add_co_u32 v17, s17, s20, v1
	v_add_co_ci_u32_e64 v21, null, s21, 0, s17
	v_add_co_u32 v0, s10, s10, v0
	v_add_co_ci_u32_e64 v1, null, s11, 0, s10
	v_lshrrev_b32_e32 v18, 16, v13
	v_lshrrev_b32_e32 v16, 16, v12
	;; [unrolled: 1-line block ×3, first 2 shown]
	v_lshlrev_b64 v[0:1], 1, v[0:1]
	v_lshrrev_b32_e32 v14, 16, v10
	v_lshrrev_b32_e32 v5, 16, v9
	;; [unrolled: 1-line block ×4, first 2 shown]
	s_waitcnt lgkmcnt(0)
	s_mul_i32 s11, s15, s8
	s_mul_hi_u32 s15, s14, s8
	v_mul_lo_u32 v19, v21, s12
	v_mul_lo_u32 v20, v17, s13
	s_mul_i32 s10, s14, s8
	v_cmp_neq_f16_e64 s14, s16, 0
	s_add_i32 s11, s15, s11
	v_lshrrev_b32_e32 v2, 16, v6
	s_lshl_b64 s[10:11], s[10:11], 1
	s_add_u32 s6, s6, s10
	s_addc_u32 s7, s7, s11
	s_and_b32 vcc_lo, exec_lo, s14
	s_mov_b32 s10, 0
	s_cbranch_vccnz .LBB336_8
; %bb.5:
	v_mad_u64_u32 v[22:23], null, v17, s12, 0
	s_lshl_b64 s[14:15], s[12:13], 5
	v_mul_f16_sdwa v26, s9, v13 dst_sel:DWORD dst_unused:UNUSED_PAD src0_sel:DWORD src1_sel:WORD_1
	v_mul_f16_e32 v27, s9, v13
	v_mul_f16_sdwa v28, s9, v12 dst_sel:DWORD dst_unused:UNUSED_PAD src0_sel:DWORD src1_sel:WORD_1
	v_mul_f16_e32 v29, s9, v12
	v_mul_f16_sdwa v30, s9, v11 dst_sel:DWORD dst_unused:UNUSED_PAD src0_sel:DWORD src1_sel:WORD_1
	v_add3_u32 v23, v23, v20, v19
	v_mul_f16_e32 v31, s9, v11
	v_mul_f16_sdwa v32, s9, v10 dst_sel:DWORD dst_unused:UNUSED_PAD src0_sel:DWORD src1_sel:WORD_1
	v_mul_f16_e32 v33, s9, v10
	v_lshlrev_b64 v[22:23], 1, v[22:23]
	v_add_co_u32 v22, vcc_lo, s6, v22
	v_add_co_ci_u32_e64 v23, null, s7, v23, vcc_lo
	v_add_co_u32 v34, vcc_lo, v22, s14
	v_add_co_ci_u32_e64 v35, null, s15, v23, vcc_lo
	;; [unrolled: 2-line block ×4, first 2 shown]
	global_store_short v[22:23], v26, off
	global_store_short v[22:23], v27, off offset:32
	global_store_short v[22:23], v28, off offset:64
	;; [unrolled: 1-line block ×3, first 2 shown]
	global_store_short v[24:25], v30, off
	global_store_short v[24:25], v31, off offset:32
	v_add_co_u32 v26, vcc_lo, v34, s14
	v_add_co_ci_u32_e64 v27, null, s15, v35, vcc_lo
	v_mul_f16_sdwa v28, s9, v9 dst_sel:DWORD dst_unused:UNUSED_PAD src0_sel:DWORD src1_sel:WORD_1
	v_add_co_u32 v22, vcc_lo, v26, v0
	v_add_co_ci_u32_e64 v23, null, v27, v1, vcc_lo
	v_mul_f16_e32 v29, s9, v9
	v_mul_f16_sdwa v30, s9, v8 dst_sel:DWORD dst_unused:UNUSED_PAD src0_sel:DWORD src1_sel:WORD_1
	global_store_short v[24:25], v32, off offset:64
	global_store_short v[24:25], v33, off offset:96
	global_store_short v[22:23], v28, off
	global_store_short v[22:23], v29, off offset:32
	global_store_short v[22:23], v30, off offset:64
	v_add_co_u32 v24, vcc_lo, v26, s14
	v_add_co_ci_u32_e64 v25, null, s15, v27, vcc_lo
	v_mul_f16_e32 v28, s9, v8
	v_add_co_u32 v24, vcc_lo, v24, v0
	v_mul_f16_sdwa v26, s9, v7 dst_sel:DWORD dst_unused:UNUSED_PAD src0_sel:DWORD src1_sel:WORD_1
	v_add_co_ci_u32_e64 v25, null, v25, v1, vcc_lo
	v_mul_f16_e32 v27, s9, v7
	v_mul_f16_sdwa v29, s9, v6 dst_sel:DWORD dst_unused:UNUSED_PAD src0_sel:DWORD src1_sel:WORD_1
	v_mul_f16_e32 v30, s9, v6
	global_store_short v[22:23], v28, off offset:96
	global_store_short v[24:25], v26, off
	global_store_short v[24:25], v27, off offset:32
	global_store_short v[24:25], v29, off offset:64
	;; [unrolled: 1-line block ×3, first 2 shown]
	s_andn2_b32 vcc_lo, exec_lo, s10
	s_cbranch_vccnz .LBB336_7
.LBB336_6:
	v_mul_lo_u32 v23, v21, s2
	v_mul_lo_u32 v24, v17, s3
	v_mad_u64_u32 v[21:22], null, v17, s2, 0
	s_mul_i32 s5, s5, s8
	s_mul_hi_u32 s10, s4, s8
	s_mul_i32 s4, s4, s8
	s_add_i32 s5, s10, s5
	s_lshl_b64 s[4:5], s[4:5], 1
	v_add3_u32 v22, v22, v24, v23
	s_add_u32 s0, s0, s4
	s_addc_u32 s1, s1, s5
	v_mad_u64_u32 v[23:24], null, v17, s12, 0
	v_lshlrev_b64 v[21:22], 1, v[21:22]
	v_add3_u32 v24, v24, v20, v19
	v_add_co_u32 v25, vcc_lo, s0, v21
	v_add_co_ci_u32_e64 v26, null, s1, v22, vcc_lo
	v_lshlrev_b64 v[19:20], 1, v[23:24]
	v_add_co_u32 v21, vcc_lo, v25, v0
	v_add_co_ci_u32_e64 v22, null, v26, v1, vcc_lo
	s_lshl_b64 s[0:1], s[2:3], 5
	v_add_co_u32 v17, vcc_lo, s6, v19
	global_load_ushort v27, v[21:22], off
	v_add_co_ci_u32_e64 v23, null, s7, v20, vcc_lo
	v_add_co_u32 v19, vcc_lo, v17, v0
	s_lshl_b64 s[2:3], s[12:13], 5
	v_add_co_ci_u32_e64 v20, null, v23, v1, vcc_lo
	s_waitcnt vmcnt(0)
	v_mul_f16_e32 v24, s16, v27
	v_fmac_f16_e32 v24, s9, v18
	global_store_short v[19:20], v24, off
	global_load_ushort v18, v[21:22], off offset:32
	s_waitcnt vmcnt(0)
	v_mul_f16_e32 v18, s16, v18
	v_fmac_f16_e32 v18, s9, v13
	global_store_short v[19:20], v18, off offset:32
	global_load_ushort v13, v[21:22], off offset:64
	v_add_co_u32 v18, vcc_lo, v25, s0
	s_waitcnt vmcnt(0)
	v_mul_f16_e32 v13, s16, v13
	v_fmac_f16_e32 v13, s9, v16
	global_store_short v[19:20], v13, off offset:64
	global_load_ushort v13, v[21:22], off offset:96
	v_add_co_ci_u32_e64 v21, null, s1, v26, vcc_lo
	s_waitcnt vmcnt(0)
	v_mul_f16_e32 v16, s16, v13
	v_fmac_f16_e32 v16, s9, v12
	v_add_co_u32 v12, vcc_lo, v18, v0
	v_add_co_ci_u32_e64 v13, null, v21, v1, vcc_lo
	global_store_short v[19:20], v16, off offset:96
	v_add_co_u32 v19, vcc_lo, v17, s2
	global_load_ushort v16, v[12:13], off
	v_add_co_ci_u32_e64 v20, null, s3, v23, vcc_lo
	s_waitcnt vmcnt(0)
	v_mul_f16_e32 v22, s16, v16
	v_add_co_u32 v16, vcc_lo, v19, v0
	v_add_co_ci_u32_e64 v17, null, v20, v1, vcc_lo
	v_fmac_f16_e32 v22, s9, v15
	global_store_short v[16:17], v22, off
	global_load_ushort v15, v[12:13], off offset:32
	s_waitcnt vmcnt(0)
	v_mul_f16_e32 v15, s16, v15
	v_fmac_f16_e32 v15, s9, v11
	global_store_short v[16:17], v15, off offset:32
	global_load_ushort v11, v[12:13], off offset:64
	s_waitcnt vmcnt(0)
	v_mul_f16_e32 v11, s16, v11
	v_fmac_f16_e32 v11, s9, v14
	v_add_co_u32 v14, vcc_lo, v18, s0
	v_add_co_ci_u32_e64 v15, null, s1, v21, vcc_lo
	global_store_short v[16:17], v11, off offset:64
	global_load_ushort v11, v[12:13], off offset:96
	s_waitcnt vmcnt(0)
	v_mul_f16_e32 v12, s16, v11
	v_fmac_f16_e32 v12, s9, v10
	v_add_co_u32 v10, vcc_lo, v14, v0
	v_add_co_ci_u32_e64 v11, null, v15, v1, vcc_lo
	global_store_short v[16:17], v12, off offset:96
	v_add_co_u32 v16, vcc_lo, v19, s2
	global_load_ushort v12, v[10:11], off
	v_add_co_ci_u32_e64 v17, null, s3, v20, vcc_lo
	s_waitcnt vmcnt(0)
	v_mul_f16_e32 v18, s16, v12
	v_add_co_u32 v12, vcc_lo, v16, v0
	v_add_co_ci_u32_e64 v13, null, v17, v1, vcc_lo
	v_fmac_f16_e32 v18, s9, v5
	global_store_short v[12:13], v18, off
	global_load_ushort v5, v[10:11], off offset:32
	s_waitcnt vmcnt(0)
	v_mul_f16_e32 v5, s16, v5
	v_fmac_f16_e32 v5, s9, v9
	global_store_short v[12:13], v5, off offset:32
	global_load_ushort v5, v[10:11], off offset:64
	s_waitcnt vmcnt(0)
	v_mul_f16_e32 v5, s16, v5
	v_fmac_f16_e32 v5, s9, v4
	global_store_short v[12:13], v5, off offset:64
	global_load_ushort v4, v[10:11], off offset:96
	s_waitcnt vmcnt(0)
	v_mul_f16_e32 v9, s16, v4
	v_add_co_u32 v4, vcc_lo, v14, s0
	v_add_co_ci_u32_e64 v5, null, s1, v15, vcc_lo
	v_fmac_f16_e32 v9, s9, v8
	v_add_co_u32 v4, vcc_lo, v4, v0
	v_add_co_ci_u32_e64 v5, null, v5, v1, vcc_lo
	global_store_short v[12:13], v9, off offset:96
	v_add_co_u32 v9, vcc_lo, v16, s2
	global_load_ushort v8, v[4:5], off
	v_add_co_ci_u32_e64 v10, null, s3, v17, vcc_lo
	v_add_co_u32 v0, vcc_lo, v9, v0
	v_add_co_ci_u32_e64 v1, null, v10, v1, vcc_lo
	s_waitcnt vmcnt(0)
	v_mul_f16_e32 v8, s16, v8
	v_fmac_f16_e32 v8, s9, v3
	global_store_short v[0:1], v8, off
	global_load_ushort v3, v[4:5], off offset:32
	s_waitcnt vmcnt(0)
	v_mul_f16_e32 v3, s16, v3
	v_fmac_f16_e32 v3, s9, v7
	global_store_short v[0:1], v3, off offset:32
	global_load_ushort v3, v[4:5], off offset:64
	s_waitcnt vmcnt(0)
	v_mul_f16_e32 v3, s16, v3
	v_fmac_f16_e32 v3, s9, v2
	global_store_short v[0:1], v3, off offset:64
	;; [unrolled: 5-line block ×3, first 2 shown]
.LBB336_7:
	s_endpgm
.LBB336_8:
	s_branch .LBB336_6
	.section	.rodata,"a",@progbits
	.p2align	6, 0x0
	.amdhsa_kernel _ZN12_GLOBAL__N_127rocblas_gemm_batched_kernelIDF16_Li16ELi16ELi64ELi64ELi4ELi64ELi4ELi4ELi64ELc84ELc78EKDF16_S1_DF16_EEvlllT_PT11_llS4_llS2_PT12_llPT13_lli
		.amdhsa_group_segment_fixed_size 1024
		.amdhsa_private_segment_fixed_size 0
		.amdhsa_kernarg_size 140
		.amdhsa_user_sgpr_count 6
		.amdhsa_user_sgpr_private_segment_buffer 1
		.amdhsa_user_sgpr_dispatch_ptr 0
		.amdhsa_user_sgpr_queue_ptr 0
		.amdhsa_user_sgpr_kernarg_segment_ptr 1
		.amdhsa_user_sgpr_dispatch_id 0
		.amdhsa_user_sgpr_flat_scratch_init 0
		.amdhsa_user_sgpr_private_segment_size 0
		.amdhsa_wavefront_size32 1
		.amdhsa_uses_dynamic_stack 0
		.amdhsa_system_sgpr_private_segment_wavefront_offset 0
		.amdhsa_system_sgpr_workgroup_id_x 1
		.amdhsa_system_sgpr_workgroup_id_y 1
		.amdhsa_system_sgpr_workgroup_id_z 1
		.amdhsa_system_sgpr_workgroup_info 0
		.amdhsa_system_vgpr_workitem_id 1
		.amdhsa_next_free_vgpr 36
		.amdhsa_next_free_sgpr 24
		.amdhsa_reserve_vcc 1
		.amdhsa_reserve_flat_scratch 0
		.amdhsa_float_round_mode_32 0
		.amdhsa_float_round_mode_16_64 0
		.amdhsa_float_denorm_mode_32 3
		.amdhsa_float_denorm_mode_16_64 3
		.amdhsa_dx10_clamp 1
		.amdhsa_ieee_mode 1
		.amdhsa_fp16_overflow 0
		.amdhsa_workgroup_processor_mode 1
		.amdhsa_memory_ordered 1
		.amdhsa_forward_progress 1
		.amdhsa_shared_vgpr_count 0
		.amdhsa_exception_fp_ieee_invalid_op 0
		.amdhsa_exception_fp_denorm_src 0
		.amdhsa_exception_fp_ieee_div_zero 0
		.amdhsa_exception_fp_ieee_overflow 0
		.amdhsa_exception_fp_ieee_underflow 0
		.amdhsa_exception_fp_ieee_inexact 0
		.amdhsa_exception_int_div_zero 0
	.end_amdhsa_kernel
	.section	.text._ZN12_GLOBAL__N_127rocblas_gemm_batched_kernelIDF16_Li16ELi16ELi64ELi64ELi4ELi64ELi4ELi4ELi64ELc84ELc78EKDF16_S1_DF16_EEvlllT_PT11_llS4_llS2_PT12_llPT13_lli,"axG",@progbits,_ZN12_GLOBAL__N_127rocblas_gemm_batched_kernelIDF16_Li16ELi16ELi64ELi64ELi4ELi64ELi4ELi4ELi64ELc84ELc78EKDF16_S1_DF16_EEvlllT_PT11_llS4_llS2_PT12_llPT13_lli,comdat
.Lfunc_end336:
	.size	_ZN12_GLOBAL__N_127rocblas_gemm_batched_kernelIDF16_Li16ELi16ELi64ELi64ELi4ELi64ELi4ELi4ELi64ELc84ELc78EKDF16_S1_DF16_EEvlllT_PT11_llS4_llS2_PT12_llPT13_lli, .Lfunc_end336-_ZN12_GLOBAL__N_127rocblas_gemm_batched_kernelIDF16_Li16ELi16ELi64ELi64ELi4ELi64ELi4ELi4ELi64ELc84ELc78EKDF16_S1_DF16_EEvlllT_PT11_llS4_llS2_PT12_llPT13_lli
                                        ; -- End function
	.set _ZN12_GLOBAL__N_127rocblas_gemm_batched_kernelIDF16_Li16ELi16ELi64ELi64ELi4ELi64ELi4ELi4ELi64ELc84ELc78EKDF16_S1_DF16_EEvlllT_PT11_llS4_llS2_PT12_llPT13_lli.num_vgpr, 36
	.set _ZN12_GLOBAL__N_127rocblas_gemm_batched_kernelIDF16_Li16ELi16ELi64ELi64ELi4ELi64ELi4ELi4ELi64ELc84ELc78EKDF16_S1_DF16_EEvlllT_PT11_llS4_llS2_PT12_llPT13_lli.num_agpr, 0
	.set _ZN12_GLOBAL__N_127rocblas_gemm_batched_kernelIDF16_Li16ELi16ELi64ELi64ELi4ELi64ELi4ELi4ELi64ELc84ELc78EKDF16_S1_DF16_EEvlllT_PT11_llS4_llS2_PT12_llPT13_lli.numbered_sgpr, 24
	.set _ZN12_GLOBAL__N_127rocblas_gemm_batched_kernelIDF16_Li16ELi16ELi64ELi64ELi4ELi64ELi4ELi4ELi64ELc84ELc78EKDF16_S1_DF16_EEvlllT_PT11_llS4_llS2_PT12_llPT13_lli.num_named_barrier, 0
	.set _ZN12_GLOBAL__N_127rocblas_gemm_batched_kernelIDF16_Li16ELi16ELi64ELi64ELi4ELi64ELi4ELi4ELi64ELc84ELc78EKDF16_S1_DF16_EEvlllT_PT11_llS4_llS2_PT12_llPT13_lli.private_seg_size, 0
	.set _ZN12_GLOBAL__N_127rocblas_gemm_batched_kernelIDF16_Li16ELi16ELi64ELi64ELi4ELi64ELi4ELi4ELi64ELc84ELc78EKDF16_S1_DF16_EEvlllT_PT11_llS4_llS2_PT12_llPT13_lli.uses_vcc, 1
	.set _ZN12_GLOBAL__N_127rocblas_gemm_batched_kernelIDF16_Li16ELi16ELi64ELi64ELi4ELi64ELi4ELi4ELi64ELc84ELc78EKDF16_S1_DF16_EEvlllT_PT11_llS4_llS2_PT12_llPT13_lli.uses_flat_scratch, 0
	.set _ZN12_GLOBAL__N_127rocblas_gemm_batched_kernelIDF16_Li16ELi16ELi64ELi64ELi4ELi64ELi4ELi4ELi64ELc84ELc78EKDF16_S1_DF16_EEvlllT_PT11_llS4_llS2_PT12_llPT13_lli.has_dyn_sized_stack, 0
	.set _ZN12_GLOBAL__N_127rocblas_gemm_batched_kernelIDF16_Li16ELi16ELi64ELi64ELi4ELi64ELi4ELi4ELi64ELc84ELc78EKDF16_S1_DF16_EEvlllT_PT11_llS4_llS2_PT12_llPT13_lli.has_recursion, 0
	.set _ZN12_GLOBAL__N_127rocblas_gemm_batched_kernelIDF16_Li16ELi16ELi64ELi64ELi4ELi64ELi4ELi4ELi64ELc84ELc78EKDF16_S1_DF16_EEvlllT_PT11_llS4_llS2_PT12_llPT13_lli.has_indirect_call, 0
	.section	.AMDGPU.csdata,"",@progbits
; Kernel info:
; codeLenInByte = 2400
; TotalNumSgprs: 26
; NumVgprs: 36
; ScratchSize: 0
; MemoryBound: 0
; FloatMode: 240
; IeeeMode: 1
; LDSByteSize: 1024 bytes/workgroup (compile time only)
; SGPRBlocks: 0
; VGPRBlocks: 4
; NumSGPRsForWavesPerEU: 26
; NumVGPRsForWavesPerEU: 36
; Occupancy: 16
; WaveLimiterHint : 0
; COMPUTE_PGM_RSRC2:SCRATCH_EN: 0
; COMPUTE_PGM_RSRC2:USER_SGPR: 6
; COMPUTE_PGM_RSRC2:TRAP_HANDLER: 0
; COMPUTE_PGM_RSRC2:TGID_X_EN: 1
; COMPUTE_PGM_RSRC2:TGID_Y_EN: 1
; COMPUTE_PGM_RSRC2:TGID_Z_EN: 1
; COMPUTE_PGM_RSRC2:TIDIG_COMP_CNT: 1
	.section	.text._ZN12_GLOBAL__N_127rocblas_gemm_batched_kernelIDF16_Li16ELi16ELi64ELi64ELi4ELi64ELi4ELi4ELi64ELc78ELc84EKDF16_S1_DF16_EEvlllT_PT11_llS4_llS2_PT12_llPT13_lli,"axG",@progbits,_ZN12_GLOBAL__N_127rocblas_gemm_batched_kernelIDF16_Li16ELi16ELi64ELi64ELi4ELi64ELi4ELi4ELi64ELc78ELc84EKDF16_S1_DF16_EEvlllT_PT11_llS4_llS2_PT12_llPT13_lli,comdat
	.globl	_ZN12_GLOBAL__N_127rocblas_gemm_batched_kernelIDF16_Li16ELi16ELi64ELi64ELi4ELi64ELi4ELi4ELi64ELc78ELc84EKDF16_S1_DF16_EEvlllT_PT11_llS4_llS2_PT12_llPT13_lli ; -- Begin function _ZN12_GLOBAL__N_127rocblas_gemm_batched_kernelIDF16_Li16ELi16ELi64ELi64ELi4ELi64ELi4ELi4ELi64ELc78ELc84EKDF16_S1_DF16_EEvlllT_PT11_llS4_llS2_PT12_llPT13_lli
	.p2align	8
	.type	_ZN12_GLOBAL__N_127rocblas_gemm_batched_kernelIDF16_Li16ELi16ELi64ELi64ELi4ELi64ELi4ELi4ELi64ELc78ELc84EKDF16_S1_DF16_EEvlllT_PT11_llS4_llS2_PT12_llPT13_lli,@function
_ZN12_GLOBAL__N_127rocblas_gemm_batched_kernelIDF16_Li16ELi16ELi64ELi64ELi4ELi64ELi4ELi4ELi64ELc78ELc84EKDF16_S1_DF16_EEvlllT_PT11_llS4_llS2_PT12_llPT13_lli: ; @_ZN12_GLOBAL__N_127rocblas_gemm_batched_kernelIDF16_Li16ELi16ELi64ELi64ELi4ELi64ELi4ELi4ELi64ELc78ELc84EKDF16_S1_DF16_EEvlllT_PT11_llS4_llS2_PT12_llPT13_lli
; %bb.0:
	s_load_dwordx2 s[22:23], s[4:5], 0x10
	s_mov_b32 s0, s7
	v_mov_b32_e32 v3, 0
	s_ashr_i32 s7, s6, 31
	s_ashr_i32 s1, s0, 31
	s_lshl_b64 s[10:11], s[6:7], 6
	s_lshl_b64 s[20:21], s[0:1], 6
	s_waitcnt lgkmcnt(0)
	v_cmp_lt_i64_e64 s2, s[22:23], 1
	s_and_b32 vcc_lo, exec_lo, s2
	s_cbranch_vccnz .LBB337_3
; %bb.1:
	s_clause 0x1
	s_load_dwordx4 s[0:3], s[4:5], 0x40
	s_load_dwordx8 s[12:19], s[4:5], 0x20
	v_lshl_add_u32 v4, v1, 4, v0
	v_and_b32_e32 v8, 3, v0
	v_lshlrev_b32_e32 v14, 1, v0
	v_lshl_add_u32 v15, v1, 3, 0x200
	v_mov_b32_e32 v12, 0
	v_and_b32_e32 v10, 63, v4
	v_lshrrev_b32_e32 v2, 2, v4
	v_lshrrev_b32_e32 v9, 6, v4
	v_lshlrev_b32_e32 v4, 1, v8
	v_mov_b32_e32 v13, 0
	v_lshlrev_b32_e32 v5, 1, v10
	v_lshl_or_b32 v11, v2, 3, v4
	v_lshl_or_b32 v16, v9, 7, v5
	v_add_nc_u32_e32 v17, 0x200, v11
	s_waitcnt lgkmcnt(0)
	v_mad_u64_u32 v[4:5], null, s0, v8, v[2:3]
	v_mad_u64_u32 v[6:7], null, s14, v9, s[10:11]
	s_mul_i32 s3, s3, s8
	s_mul_hi_u32 s6, s2, s8
	s_mul_i32 s2, s2, s8
	s_add_i32 s3, s6, s3
	v_mov_b32_e32 v2, v5
	v_add_co_u32 v4, vcc_lo, v4, s20
	v_mov_b32_e32 v5, v7
	s_lshl_b64 s[2:3], s[2:3], 1
	v_mad_u64_u32 v[7:8], null, s1, v8, v[2:3]
	s_mul_i32 s7, s17, s8
	v_mad_u64_u32 v[8:9], null, s15, v9, v[5:6]
	s_mul_hi_u32 s9, s16, s8
	s_mul_i32 s6, s16, s8
	s_add_u32 s16, s18, s2
	v_add_co_ci_u32_e64 v5, null, s21, v7, vcc_lo
	v_add_co_u32 v6, vcc_lo, v6, v10
	v_add_co_ci_u32_e64 v7, null, 0, v8, vcc_lo
	v_lshlrev_b64 v[4:5], 1, v[4:5]
	s_addc_u32 s17, s19, s3
	s_add_i32 s7, s9, s7
	v_lshlrev_b64 v[6:7], 1, v[6:7]
	s_lshl_b64 s[2:3], s[6:7], 1
	s_lshl_b64 s[0:1], s[0:1], 3
	s_add_u32 s2, s12, s2
	v_add_co_u32 v4, vcc_lo, s16, v4
	s_addc_u32 s3, s13, s3
	v_add_co_ci_u32_e64 v5, null, s17, v5, vcc_lo
	v_add_co_u32 v6, vcc_lo, s2, v6
	v_add_co_ci_u32_e64 v7, null, s3, v7, vcc_lo
	v_mov_b32_e32 v2, 0
	v_mov_b32_e32 v8, 0
	;; [unrolled: 1-line block ×5, first 2 shown]
	s_lshl_b64 s[2:3], s[14:15], 3
	s_mov_b64 s[6:7], 0
.LBB337_2:                              ; =>This Inner Loop Header: Depth=1
	global_load_ushort v18, v[6:7], off
	global_load_ushort v19, v[4:5], off
	s_add_u32 s6, s6, 4
	s_addc_u32 s7, s7, 0
	v_add_co_u32 v4, vcc_lo, v4, s0
	v_cmp_lt_i64_e64 s9, s[6:7], s[22:23]
	v_add_co_ci_u32_e64 v5, null, s1, v5, vcc_lo
	v_add_co_u32 v6, vcc_lo, v6, s2
	v_add_co_ci_u32_e64 v7, null, s3, v7, vcc_lo
	s_and_b32 vcc_lo, exec_lo, s9
	s_waitcnt vmcnt(1)
	ds_write_b16 v16, v18
	s_waitcnt vmcnt(0)
	ds_write_b16 v17, v19
	s_waitcnt lgkmcnt(0)
	s_barrier
	buffer_gl0_inv
	ds_read_u16 v26, v14 offset:32
	ds_read_u16 v27, v14 offset:96
	;; [unrolled: 1-line block ×8, first 2 shown]
	ds_read2_b64 v[18:21], v15 offset1:16
	ds_read2_b64 v[22:25], v15 offset0:32 offset1:48
	s_waitcnt lgkmcnt(9)
	ds_read_u16_d16_hi v26, v14
	s_waitcnt lgkmcnt(9)
	ds_read_u16_d16_hi v27, v14 offset:64
	s_waitcnt lgkmcnt(9)
	ds_read_u16_d16_hi v28, v14 offset:128
	;; [unrolled: 2-line block ×7, first 2 shown]
	s_waitcnt lgkmcnt(0)
	s_barrier
	buffer_gl0_inv
	v_pk_fma_f16 v3, v26, v18, v3 op_sel_hi:[1,0,1]
	v_pk_fma_f16 v13, v27, v18, v13 op_sel_hi:[1,0,1]
	v_pk_fma_f16 v12, v26, v20, v12 op_sel_hi:[1,0,1]
	v_pk_fma_f16 v11, v27, v20, v11 op_sel_hi:[1,0,1]
	v_pk_fma_f16 v10, v26, v22, v10 op_sel_hi:[1,0,1]
	v_pk_fma_f16 v9, v27, v22, v9 op_sel_hi:[1,0,1]
	v_pk_fma_f16 v8, v26, v24, v8 op_sel_hi:[1,0,1]
	v_pk_fma_f16 v2, v27, v24, v2 op_sel_hi:[1,0,1]
	v_pk_fma_f16 v3, v28, v18, v3 op_sel:[0,1,0]
	v_pk_fma_f16 v13, v29, v18, v13 op_sel:[0,1,0]
	;; [unrolled: 1-line block ×8, first 2 shown]
	v_pk_fma_f16 v3, v30, v19, v3 op_sel_hi:[1,0,1]
	v_pk_fma_f16 v13, v31, v19, v13 op_sel_hi:[1,0,1]
	;; [unrolled: 1-line block ×8, first 2 shown]
	v_pk_fma_f16 v3, v32, v19, v3 op_sel:[0,1,0]
	v_pk_fma_f16 v13, v33, v19, v13 op_sel:[0,1,0]
	;; [unrolled: 1-line block ×8, first 2 shown]
	s_cbranch_vccnz .LBB337_2
	s_branch .LBB337_4
.LBB337_3:
	v_mov_b32_e32 v13, 0
	v_mov_b32_e32 v12, 0
	;; [unrolled: 1-line block ×7, first 2 shown]
.LBB337_4:
	s_clause 0x3
	s_load_dwordx4 s[12:15], s[4:5], 0x78
	s_load_dword s16, s[4:5], 0x50
	s_load_dword s9, s[4:5], 0x18
	s_load_dwordx8 s[0:7], s[4:5], 0x58
	v_add_co_u32 v17, s17, s20, v1
	v_add_co_ci_u32_e64 v21, null, s21, 0, s17
	v_add_co_u32 v0, s10, s10, v0
	v_add_co_ci_u32_e64 v1, null, s11, 0, s10
	v_lshrrev_b32_e32 v18, 16, v3
	v_lshrrev_b32_e32 v16, 16, v13
	;; [unrolled: 1-line block ×3, first 2 shown]
	v_lshlrev_b64 v[0:1], 1, v[0:1]
	v_lshrrev_b32_e32 v14, 16, v11
	v_lshrrev_b32_e32 v7, 16, v10
	;; [unrolled: 1-line block ×4, first 2 shown]
	s_waitcnt lgkmcnt(0)
	s_mul_i32 s11, s15, s8
	s_mul_hi_u32 s15, s14, s8
	v_mul_lo_u32 v19, v21, s12
	v_mul_lo_u32 v20, v17, s13
	s_mul_i32 s10, s14, s8
	v_cmp_neq_f16_e64 s14, s16, 0
	s_add_i32 s11, s15, s11
	v_lshrrev_b32_e32 v4, 16, v2
	s_lshl_b64 s[10:11], s[10:11], 1
	s_add_u32 s6, s6, s10
	s_addc_u32 s7, s7, s11
	s_and_b32 vcc_lo, exec_lo, s14
	s_mov_b32 s10, 0
	s_cbranch_vccnz .LBB337_8
; %bb.5:
	v_mad_u64_u32 v[22:23], null, v17, s12, 0
	s_lshl_b64 s[14:15], s[12:13], 5
	v_mul_f16_sdwa v26, s9, v3 dst_sel:DWORD dst_unused:UNUSED_PAD src0_sel:DWORD src1_sel:WORD_1
	v_mul_f16_e32 v27, s9, v3
	v_mul_f16_sdwa v28, s9, v13 dst_sel:DWORD dst_unused:UNUSED_PAD src0_sel:DWORD src1_sel:WORD_1
	v_mul_f16_e32 v29, s9, v13
	v_mul_f16_sdwa v30, s9, v12 dst_sel:DWORD dst_unused:UNUSED_PAD src0_sel:DWORD src1_sel:WORD_1
	v_add3_u32 v23, v23, v20, v19
	v_mul_f16_e32 v31, s9, v12
	v_mul_f16_sdwa v32, s9, v11 dst_sel:DWORD dst_unused:UNUSED_PAD src0_sel:DWORD src1_sel:WORD_1
	v_mul_f16_e32 v33, s9, v11
	v_lshlrev_b64 v[22:23], 1, v[22:23]
	v_add_co_u32 v22, vcc_lo, s6, v22
	v_add_co_ci_u32_e64 v23, null, s7, v23, vcc_lo
	v_add_co_u32 v34, vcc_lo, v22, s14
	v_add_co_ci_u32_e64 v35, null, s15, v23, vcc_lo
	;; [unrolled: 2-line block ×4, first 2 shown]
	global_store_short v[22:23], v26, off
	global_store_short v[22:23], v27, off offset:32
	global_store_short v[22:23], v28, off offset:64
	;; [unrolled: 1-line block ×3, first 2 shown]
	global_store_short v[24:25], v30, off
	global_store_short v[24:25], v31, off offset:32
	v_add_co_u32 v26, vcc_lo, v34, s14
	v_add_co_ci_u32_e64 v27, null, s15, v35, vcc_lo
	v_mul_f16_sdwa v28, s9, v10 dst_sel:DWORD dst_unused:UNUSED_PAD src0_sel:DWORD src1_sel:WORD_1
	v_add_co_u32 v22, vcc_lo, v26, v0
	v_add_co_ci_u32_e64 v23, null, v27, v1, vcc_lo
	v_mul_f16_e32 v29, s9, v10
	v_mul_f16_sdwa v30, s9, v9 dst_sel:DWORD dst_unused:UNUSED_PAD src0_sel:DWORD src1_sel:WORD_1
	global_store_short v[24:25], v32, off offset:64
	global_store_short v[24:25], v33, off offset:96
	global_store_short v[22:23], v28, off
	global_store_short v[22:23], v29, off offset:32
	global_store_short v[22:23], v30, off offset:64
	v_add_co_u32 v24, vcc_lo, v26, s14
	v_add_co_ci_u32_e64 v25, null, s15, v27, vcc_lo
	v_mul_f16_e32 v28, s9, v9
	v_add_co_u32 v24, vcc_lo, v24, v0
	v_mul_f16_sdwa v26, s9, v8 dst_sel:DWORD dst_unused:UNUSED_PAD src0_sel:DWORD src1_sel:WORD_1
	v_add_co_ci_u32_e64 v25, null, v25, v1, vcc_lo
	v_mul_f16_e32 v27, s9, v8
	v_mul_f16_sdwa v29, s9, v2 dst_sel:DWORD dst_unused:UNUSED_PAD src0_sel:DWORD src1_sel:WORD_1
	v_mul_f16_e32 v30, s9, v2
	global_store_short v[22:23], v28, off offset:96
	global_store_short v[24:25], v26, off
	global_store_short v[24:25], v27, off offset:32
	global_store_short v[24:25], v29, off offset:64
	;; [unrolled: 1-line block ×3, first 2 shown]
	s_andn2_b32 vcc_lo, exec_lo, s10
	s_cbranch_vccnz .LBB337_7
.LBB337_6:
	v_mul_lo_u32 v23, v21, s2
	v_mul_lo_u32 v24, v17, s3
	v_mad_u64_u32 v[21:22], null, v17, s2, 0
	s_mul_i32 s5, s5, s8
	s_mul_hi_u32 s10, s4, s8
	s_mul_i32 s4, s4, s8
	s_add_i32 s5, s10, s5
	s_lshl_b64 s[4:5], s[4:5], 1
	v_add3_u32 v22, v22, v24, v23
	s_add_u32 s0, s0, s4
	s_addc_u32 s1, s1, s5
	v_mad_u64_u32 v[23:24], null, v17, s12, 0
	v_lshlrev_b64 v[21:22], 1, v[21:22]
	v_add3_u32 v24, v24, v20, v19
	v_add_co_u32 v25, vcc_lo, s0, v21
	v_add_co_ci_u32_e64 v26, null, s1, v22, vcc_lo
	v_lshlrev_b64 v[19:20], 1, v[23:24]
	v_add_co_u32 v21, vcc_lo, v25, v0
	v_add_co_ci_u32_e64 v22, null, v26, v1, vcc_lo
	s_lshl_b64 s[0:1], s[2:3], 5
	v_add_co_u32 v23, vcc_lo, s6, v19
	global_load_ushort v27, v[21:22], off
	v_add_co_ci_u32_e64 v24, null, s7, v20, vcc_lo
	v_add_co_u32 v19, vcc_lo, v23, v0
	s_lshl_b64 s[2:3], s[12:13], 5
	v_add_co_ci_u32_e64 v20, null, v24, v1, vcc_lo
	s_waitcnt vmcnt(0)
	v_mul_f16_e32 v17, s16, v27
	v_fmac_f16_e32 v17, s9, v18
	global_store_short v[19:20], v17, off
	global_load_ushort v17, v[21:22], off offset:32
	s_waitcnt vmcnt(0)
	v_mul_f16_e32 v17, s16, v17
	v_fmac_f16_e32 v17, s9, v3
	global_store_short v[19:20], v17, off offset:32
	global_load_ushort v3, v[21:22], off offset:64
	s_waitcnt vmcnt(0)
	v_mul_f16_e32 v3, s16, v3
	v_fmac_f16_e32 v3, s9, v16
	global_store_short v[19:20], v3, off offset:64
	global_load_ushort v3, v[21:22], off offset:96
	v_add_co_u32 v21, vcc_lo, v25, s0
	v_add_co_ci_u32_e64 v22, null, s1, v26, vcc_lo
	v_add_co_u32 v16, vcc_lo, v21, v0
	v_add_co_ci_u32_e64 v17, null, v22, v1, vcc_lo
	s_waitcnt vmcnt(0)
	v_mul_f16_e32 v3, s16, v3
	v_fmac_f16_e32 v3, s9, v13
	v_add_co_u32 v13, vcc_lo, v23, s2
	global_store_short v[19:20], v3, off offset:96
	global_load_ushort v3, v[16:17], off
	v_add_co_ci_u32_e64 v20, null, s3, v24, vcc_lo
	v_add_co_u32 v18, vcc_lo, v13, v0
	v_add_co_ci_u32_e64 v19, null, v20, v1, vcc_lo
	s_waitcnt vmcnt(0)
	v_mul_f16_e32 v3, s16, v3
	v_fmac_f16_e32 v3, s9, v15
	v_add_co_u32 v15, vcc_lo, v21, s0
	global_store_short v[18:19], v3, off
	global_load_ushort v3, v[16:17], off offset:32
	s_waitcnt vmcnt(0)
	v_mul_f16_e32 v3, s16, v3
	v_fmac_f16_e32 v3, s9, v12
	global_store_short v[18:19], v3, off offset:32
	global_load_ushort v3, v[16:17], off offset:64
	s_waitcnt vmcnt(0)
	v_mul_f16_e32 v3, s16, v3
	v_fmac_f16_e32 v3, s9, v14
	global_store_short v[18:19], v3, off offset:64
	global_load_ushort v3, v[16:17], off offset:96
	v_add_co_ci_u32_e64 v16, null, s1, v22, vcc_lo
	s_waitcnt vmcnt(0)
	v_mul_f16_e32 v3, s16, v3
	v_fmac_f16_e32 v3, s9, v11
	v_add_co_u32 v11, vcc_lo, v15, v0
	v_add_co_ci_u32_e64 v12, null, v16, v1, vcc_lo
	global_store_short v[18:19], v3, off offset:96
	v_add_co_u32 v17, vcc_lo, v13, s2
	global_load_ushort v3, v[11:12], off
	v_add_co_ci_u32_e64 v18, null, s3, v20, vcc_lo
	v_add_co_u32 v13, vcc_lo, v17, v0
	v_add_co_ci_u32_e64 v14, null, v18, v1, vcc_lo
	s_waitcnt vmcnt(0)
	v_mul_f16_e32 v3, s16, v3
	v_fmac_f16_e32 v3, s9, v7
	global_store_short v[13:14], v3, off
	global_load_ushort v3, v[11:12], off offset:32
	s_waitcnt vmcnt(0)
	v_mul_f16_e32 v3, s16, v3
	v_fmac_f16_e32 v3, s9, v10
	global_store_short v[13:14], v3, off offset:32
	global_load_ushort v3, v[11:12], off offset:64
	s_waitcnt vmcnt(0)
	v_mul_f16_e32 v3, s16, v3
	v_fmac_f16_e32 v3, s9, v6
	v_add_co_u32 v6, vcc_lo, v15, s0
	v_add_co_ci_u32_e64 v7, null, s1, v16, vcc_lo
	global_store_short v[13:14], v3, off offset:64
	global_load_ushort v3, v[11:12], off offset:96
	v_add_co_u32 v6, vcc_lo, v6, v0
	v_add_co_ci_u32_e64 v7, null, v7, v1, vcc_lo
	s_waitcnt vmcnt(0)
	v_mul_f16_e32 v3, s16, v3
	v_fmac_f16_e32 v3, s9, v9
	v_add_co_u32 v9, vcc_lo, v17, s2
	v_add_co_ci_u32_e64 v10, null, s3, v18, vcc_lo
	global_store_short v[13:14], v3, off offset:96
	global_load_ushort v3, v[6:7], off
	v_add_co_u32 v0, vcc_lo, v9, v0
	v_add_co_ci_u32_e64 v1, null, v10, v1, vcc_lo
	s_waitcnt vmcnt(0)
	v_mul_f16_e32 v3, s16, v3
	v_fmac_f16_e32 v3, s9, v5
	global_store_short v[0:1], v3, off
	global_load_ushort v3, v[6:7], off offset:32
	s_waitcnt vmcnt(0)
	v_mul_f16_e32 v3, s16, v3
	v_fmac_f16_e32 v3, s9, v8
	global_store_short v[0:1], v3, off offset:32
	global_load_ushort v3, v[6:7], off offset:64
	s_waitcnt vmcnt(0)
	v_mul_f16_e32 v3, s16, v3
	v_fmac_f16_e32 v3, s9, v4
	global_store_short v[0:1], v3, off offset:64
	;; [unrolled: 5-line block ×3, first 2 shown]
.LBB337_7:
	s_endpgm
.LBB337_8:
	s_branch .LBB337_6
	.section	.rodata,"a",@progbits
	.p2align	6, 0x0
	.amdhsa_kernel _ZN12_GLOBAL__N_127rocblas_gemm_batched_kernelIDF16_Li16ELi16ELi64ELi64ELi4ELi64ELi4ELi4ELi64ELc78ELc84EKDF16_S1_DF16_EEvlllT_PT11_llS4_llS2_PT12_llPT13_lli
		.amdhsa_group_segment_fixed_size 1024
		.amdhsa_private_segment_fixed_size 0
		.amdhsa_kernarg_size 140
		.amdhsa_user_sgpr_count 6
		.amdhsa_user_sgpr_private_segment_buffer 1
		.amdhsa_user_sgpr_dispatch_ptr 0
		.amdhsa_user_sgpr_queue_ptr 0
		.amdhsa_user_sgpr_kernarg_segment_ptr 1
		.amdhsa_user_sgpr_dispatch_id 0
		.amdhsa_user_sgpr_flat_scratch_init 0
		.amdhsa_user_sgpr_private_segment_size 0
		.amdhsa_wavefront_size32 1
		.amdhsa_uses_dynamic_stack 0
		.amdhsa_system_sgpr_private_segment_wavefront_offset 0
		.amdhsa_system_sgpr_workgroup_id_x 1
		.amdhsa_system_sgpr_workgroup_id_y 1
		.amdhsa_system_sgpr_workgroup_id_z 1
		.amdhsa_system_sgpr_workgroup_info 0
		.amdhsa_system_vgpr_workitem_id 1
		.amdhsa_next_free_vgpr 36
		.amdhsa_next_free_sgpr 24
		.amdhsa_reserve_vcc 1
		.amdhsa_reserve_flat_scratch 0
		.amdhsa_float_round_mode_32 0
		.amdhsa_float_round_mode_16_64 0
		.amdhsa_float_denorm_mode_32 3
		.amdhsa_float_denorm_mode_16_64 3
		.amdhsa_dx10_clamp 1
		.amdhsa_ieee_mode 1
		.amdhsa_fp16_overflow 0
		.amdhsa_workgroup_processor_mode 1
		.amdhsa_memory_ordered 1
		.amdhsa_forward_progress 1
		.amdhsa_shared_vgpr_count 0
		.amdhsa_exception_fp_ieee_invalid_op 0
		.amdhsa_exception_fp_denorm_src 0
		.amdhsa_exception_fp_ieee_div_zero 0
		.amdhsa_exception_fp_ieee_overflow 0
		.amdhsa_exception_fp_ieee_underflow 0
		.amdhsa_exception_fp_ieee_inexact 0
		.amdhsa_exception_int_div_zero 0
	.end_amdhsa_kernel
	.section	.text._ZN12_GLOBAL__N_127rocblas_gemm_batched_kernelIDF16_Li16ELi16ELi64ELi64ELi4ELi64ELi4ELi4ELi64ELc78ELc84EKDF16_S1_DF16_EEvlllT_PT11_llS4_llS2_PT12_llPT13_lli,"axG",@progbits,_ZN12_GLOBAL__N_127rocblas_gemm_batched_kernelIDF16_Li16ELi16ELi64ELi64ELi4ELi64ELi4ELi4ELi64ELc78ELc84EKDF16_S1_DF16_EEvlllT_PT11_llS4_llS2_PT12_llPT13_lli,comdat
.Lfunc_end337:
	.size	_ZN12_GLOBAL__N_127rocblas_gemm_batched_kernelIDF16_Li16ELi16ELi64ELi64ELi4ELi64ELi4ELi4ELi64ELc78ELc84EKDF16_S1_DF16_EEvlllT_PT11_llS4_llS2_PT12_llPT13_lli, .Lfunc_end337-_ZN12_GLOBAL__N_127rocblas_gemm_batched_kernelIDF16_Li16ELi16ELi64ELi64ELi4ELi64ELi4ELi4ELi64ELc78ELc84EKDF16_S1_DF16_EEvlllT_PT11_llS4_llS2_PT12_llPT13_lli
                                        ; -- End function
	.set _ZN12_GLOBAL__N_127rocblas_gemm_batched_kernelIDF16_Li16ELi16ELi64ELi64ELi4ELi64ELi4ELi4ELi64ELc78ELc84EKDF16_S1_DF16_EEvlllT_PT11_llS4_llS2_PT12_llPT13_lli.num_vgpr, 36
	.set _ZN12_GLOBAL__N_127rocblas_gemm_batched_kernelIDF16_Li16ELi16ELi64ELi64ELi4ELi64ELi4ELi4ELi64ELc78ELc84EKDF16_S1_DF16_EEvlllT_PT11_llS4_llS2_PT12_llPT13_lli.num_agpr, 0
	.set _ZN12_GLOBAL__N_127rocblas_gemm_batched_kernelIDF16_Li16ELi16ELi64ELi64ELi4ELi64ELi4ELi4ELi64ELc78ELc84EKDF16_S1_DF16_EEvlllT_PT11_llS4_llS2_PT12_llPT13_lli.numbered_sgpr, 24
	.set _ZN12_GLOBAL__N_127rocblas_gemm_batched_kernelIDF16_Li16ELi16ELi64ELi64ELi4ELi64ELi4ELi4ELi64ELc78ELc84EKDF16_S1_DF16_EEvlllT_PT11_llS4_llS2_PT12_llPT13_lli.num_named_barrier, 0
	.set _ZN12_GLOBAL__N_127rocblas_gemm_batched_kernelIDF16_Li16ELi16ELi64ELi64ELi4ELi64ELi4ELi4ELi64ELc78ELc84EKDF16_S1_DF16_EEvlllT_PT11_llS4_llS2_PT12_llPT13_lli.private_seg_size, 0
	.set _ZN12_GLOBAL__N_127rocblas_gemm_batched_kernelIDF16_Li16ELi16ELi64ELi64ELi4ELi64ELi4ELi4ELi64ELc78ELc84EKDF16_S1_DF16_EEvlllT_PT11_llS4_llS2_PT12_llPT13_lli.uses_vcc, 1
	.set _ZN12_GLOBAL__N_127rocblas_gemm_batched_kernelIDF16_Li16ELi16ELi64ELi64ELi4ELi64ELi4ELi4ELi64ELc78ELc84EKDF16_S1_DF16_EEvlllT_PT11_llS4_llS2_PT12_llPT13_lli.uses_flat_scratch, 0
	.set _ZN12_GLOBAL__N_127rocblas_gemm_batched_kernelIDF16_Li16ELi16ELi64ELi64ELi4ELi64ELi4ELi4ELi64ELc78ELc84EKDF16_S1_DF16_EEvlllT_PT11_llS4_llS2_PT12_llPT13_lli.has_dyn_sized_stack, 0
	.set _ZN12_GLOBAL__N_127rocblas_gemm_batched_kernelIDF16_Li16ELi16ELi64ELi64ELi4ELi64ELi4ELi4ELi64ELc78ELc84EKDF16_S1_DF16_EEvlllT_PT11_llS4_llS2_PT12_llPT13_lli.has_recursion, 0
	.set _ZN12_GLOBAL__N_127rocblas_gemm_batched_kernelIDF16_Li16ELi16ELi64ELi64ELi4ELi64ELi4ELi4ELi64ELc78ELc84EKDF16_S1_DF16_EEvlllT_PT11_llS4_llS2_PT12_llPT13_lli.has_indirect_call, 0
	.section	.AMDGPU.csdata,"",@progbits
; Kernel info:
; codeLenInByte = 2332
; TotalNumSgprs: 26
; NumVgprs: 36
; ScratchSize: 0
; MemoryBound: 0
; FloatMode: 240
; IeeeMode: 1
; LDSByteSize: 1024 bytes/workgroup (compile time only)
; SGPRBlocks: 0
; VGPRBlocks: 4
; NumSGPRsForWavesPerEU: 26
; NumVGPRsForWavesPerEU: 36
; Occupancy: 16
; WaveLimiterHint : 0
; COMPUTE_PGM_RSRC2:SCRATCH_EN: 0
; COMPUTE_PGM_RSRC2:USER_SGPR: 6
; COMPUTE_PGM_RSRC2:TRAP_HANDLER: 0
; COMPUTE_PGM_RSRC2:TGID_X_EN: 1
; COMPUTE_PGM_RSRC2:TGID_Y_EN: 1
; COMPUTE_PGM_RSRC2:TGID_Z_EN: 1
; COMPUTE_PGM_RSRC2:TIDIG_COMP_CNT: 1
	.section	.text._ZN12_GLOBAL__N_127rocblas_gemm_batched_kernelIDF16_Li16ELi16ELi64ELi64ELi4ELi64ELi4ELi4ELi64ELc84ELc84EKDF16_S1_DF16_EEvlllT_PT11_llS4_llS2_PT12_llPT13_lli,"axG",@progbits,_ZN12_GLOBAL__N_127rocblas_gemm_batched_kernelIDF16_Li16ELi16ELi64ELi64ELi4ELi64ELi4ELi4ELi64ELc84ELc84EKDF16_S1_DF16_EEvlllT_PT11_llS4_llS2_PT12_llPT13_lli,comdat
	.globl	_ZN12_GLOBAL__N_127rocblas_gemm_batched_kernelIDF16_Li16ELi16ELi64ELi64ELi4ELi64ELi4ELi4ELi64ELc84ELc84EKDF16_S1_DF16_EEvlllT_PT11_llS4_llS2_PT12_llPT13_lli ; -- Begin function _ZN12_GLOBAL__N_127rocblas_gemm_batched_kernelIDF16_Li16ELi16ELi64ELi64ELi4ELi64ELi4ELi4ELi64ELc84ELc84EKDF16_S1_DF16_EEvlllT_PT11_llS4_llS2_PT12_llPT13_lli
	.p2align	8
	.type	_ZN12_GLOBAL__N_127rocblas_gemm_batched_kernelIDF16_Li16ELi16ELi64ELi64ELi4ELi64ELi4ELi4ELi64ELc84ELc84EKDF16_S1_DF16_EEvlllT_PT11_llS4_llS2_PT12_llPT13_lli,@function
_ZN12_GLOBAL__N_127rocblas_gemm_batched_kernelIDF16_Li16ELi16ELi64ELi64ELi4ELi64ELi4ELi4ELi64ELc84ELc84EKDF16_S1_DF16_EEvlllT_PT11_llS4_llS2_PT12_llPT13_lli: ; @_ZN12_GLOBAL__N_127rocblas_gemm_batched_kernelIDF16_Li16ELi16ELi64ELi64ELi4ELi64ELi4ELi4ELi64ELc84ELc84EKDF16_S1_DF16_EEvlllT_PT11_llS4_llS2_PT12_llPT13_lli
; %bb.0:
	s_load_dwordx2 s[22:23], s[4:5], 0x10
	s_mov_b32 s0, s7
	v_mov_b32_e32 v3, 0
	s_ashr_i32 s7, s6, 31
	s_ashr_i32 s1, s0, 31
	s_lshl_b64 s[10:11], s[6:7], 6
	s_lshl_b64 s[20:21], s[0:1], 6
	s_waitcnt lgkmcnt(0)
	v_cmp_lt_i64_e64 s2, s[22:23], 1
	s_and_b32 vcc_lo, exec_lo, s2
	s_cbranch_vccnz .LBB338_3
; %bb.1:
	s_clause 0x1
	s_load_dwordx4 s[0:3], s[4:5], 0x40
	s_load_dwordx8 s[12:19], s[4:5], 0x20
	v_lshl_add_u32 v4, v1, 4, v0
	v_and_b32_e32 v8, 3, v0
	v_lshlrev_b32_e32 v14, 1, v0
	v_lshl_add_u32 v15, v1, 3, 0x200
	v_lshrrev_b32_e32 v2, 2, v4
	v_and_b32_e32 v5, 63, v4
	v_lshlrev_b32_e32 v6, 1, v8
	v_lshrrev_b32_e32 v10, 6, v4
	v_lshlrev_b32_e32 v9, 1, v5
	v_lshl_or_b32 v11, v2, 3, v6
	v_add_co_u32 v6, s6, s10, v5
	v_add_co_ci_u32_e64 v7, null, s11, 0, s6
	v_lshl_or_b32 v16, v10, 7, v9
	s_waitcnt lgkmcnt(0)
	v_mad_u64_u32 v[4:5], null, s0, v8, v[2:3]
	v_mul_lo_u32 v12, s15, v6
	v_mul_lo_u32 v13, s14, v7
	v_mad_u64_u32 v[6:7], null, s14, v6, 0
	s_mul_i32 s3, s3, s8
	s_mul_hi_u32 s6, s2, s8
	v_mov_b32_e32 v2, v5
	s_mul_i32 s2, s2, s8
	s_add_i32 s3, s6, s3
	v_add_nc_u32_e32 v17, 0x200, v11
	v_add3_u32 v7, v7, v13, v12
	v_mad_u64_u32 v[8:9], null, s1, v8, v[2:3]
	s_lshl_b64 s[2:3], s[2:3], 1
	v_lshlrev_b32_e32 v2, 1, v10
	s_add_u32 s6, s18, s2
	s_addc_u32 s7, s19, s3
	s_mul_i32 s2, s17, s8
	s_mul_hi_u32 s3, s16, s8
	v_lshlrev_b64 v[5:6], 1, v[6:7]
	v_add_co_u32 v7, vcc_lo, v4, s20
	s_add_i32 s3, s3, s2
	s_mul_i32 s2, s16, s8
	v_add_co_ci_u32_e64 v8, null, s21, v8, vcc_lo
	s_lshl_b64 s[2:3], s[2:3], 1
	v_mov_b32_e32 v10, 0
	v_add_co_u32 v9, vcc_lo, v5, s2
	v_add_co_ci_u32_e64 v6, null, s3, v6, vcc_lo
	v_lshlrev_b64 v[4:5], 1, v[7:8]
	v_add_co_u32 v2, vcc_lo, v9, v2
	v_add_co_ci_u32_e64 v7, null, 0, v6, vcc_lo
	v_mov_b32_e32 v8, 0
	v_add_co_u32 v4, vcc_lo, s6, v4
	v_add_co_ci_u32_e64 v5, null, s7, v5, vcc_lo
	v_add_co_u32 v6, vcc_lo, s12, v2
	v_add_co_ci_u32_e64 v7, null, s13, v7, vcc_lo
	v_mov_b32_e32 v2, 0
	v_mov_b32_e32 v9, 0
	;; [unrolled: 1-line block ×5, first 2 shown]
	s_lshl_b64 s[0:1], s[0:1], 3
	s_mov_b64 s[2:3], 0
.LBB338_2:                              ; =>This Inner Loop Header: Depth=1
	global_load_ushort v18, v[6:7], off
	global_load_ushort v19, v[4:5], off
	s_add_u32 s2, s2, 4
	s_addc_u32 s3, s3, 0
	v_add_co_u32 v4, vcc_lo, v4, s0
	v_cmp_lt_i64_e64 s6, s[2:3], s[22:23]
	v_add_co_ci_u32_e64 v5, null, s1, v5, vcc_lo
	v_add_co_u32 v6, vcc_lo, v6, 8
	v_add_co_ci_u32_e64 v7, null, 0, v7, vcc_lo
	s_and_b32 vcc_lo, exec_lo, s6
	s_waitcnt vmcnt(1)
	ds_write_b16 v16, v18
	s_waitcnt vmcnt(0)
	ds_write_b16 v17, v19
	s_waitcnt lgkmcnt(0)
	s_barrier
	buffer_gl0_inv
	ds_read_u16 v26, v14 offset:32
	ds_read_u16 v27, v14 offset:96
	;; [unrolled: 1-line block ×8, first 2 shown]
	ds_read2_b64 v[18:21], v15 offset1:16
	ds_read2_b64 v[22:25], v15 offset0:32 offset1:48
	s_waitcnt lgkmcnt(9)
	ds_read_u16_d16_hi v26, v14
	s_waitcnt lgkmcnt(9)
	ds_read_u16_d16_hi v27, v14 offset:64
	s_waitcnt lgkmcnt(9)
	ds_read_u16_d16_hi v28, v14 offset:128
	;; [unrolled: 2-line block ×7, first 2 shown]
	s_waitcnt lgkmcnt(0)
	s_barrier
	buffer_gl0_inv
	v_pk_fma_f16 v3, v26, v18, v3 op_sel_hi:[1,0,1]
	v_pk_fma_f16 v13, v27, v18, v13 op_sel_hi:[1,0,1]
	;; [unrolled: 1-line block ×8, first 2 shown]
	v_pk_fma_f16 v3, v28, v18, v3 op_sel:[0,1,0]
	v_pk_fma_f16 v13, v29, v18, v13 op_sel:[0,1,0]
	;; [unrolled: 1-line block ×8, first 2 shown]
	v_pk_fma_f16 v3, v30, v19, v3 op_sel_hi:[1,0,1]
	v_pk_fma_f16 v13, v31, v19, v13 op_sel_hi:[1,0,1]
	;; [unrolled: 1-line block ×8, first 2 shown]
	v_pk_fma_f16 v3, v32, v19, v3 op_sel:[0,1,0]
	v_pk_fma_f16 v13, v33, v19, v13 op_sel:[0,1,0]
	v_pk_fma_f16 v12, v32, v21, v12 op_sel:[0,1,0]
	v_pk_fma_f16 v11, v33, v21, v11 op_sel:[0,1,0]
	v_pk_fma_f16 v10, v32, v23, v10 op_sel:[0,1,0]
	v_pk_fma_f16 v9, v33, v23, v9 op_sel:[0,1,0]
	v_pk_fma_f16 v8, v32, v25, v8 op_sel:[0,1,0]
	v_pk_fma_f16 v2, v33, v25, v2 op_sel:[0,1,0]
	s_cbranch_vccnz .LBB338_2
	s_branch .LBB338_4
.LBB338_3:
	v_mov_b32_e32 v13, 0
	v_mov_b32_e32 v12, 0
	;; [unrolled: 1-line block ×7, first 2 shown]
.LBB338_4:
	s_clause 0x3
	s_load_dwordx4 s[12:15], s[4:5], 0x78
	s_load_dword s16, s[4:5], 0x50
	s_load_dword s9, s[4:5], 0x18
	s_load_dwordx8 s[0:7], s[4:5], 0x58
	v_add_co_u32 v17, s17, s20, v1
	v_add_co_ci_u32_e64 v21, null, s21, 0, s17
	v_add_co_u32 v0, s10, s10, v0
	v_add_co_ci_u32_e64 v1, null, s11, 0, s10
	v_lshrrev_b32_e32 v18, 16, v3
	v_lshrrev_b32_e32 v16, 16, v13
	;; [unrolled: 1-line block ×3, first 2 shown]
	v_lshlrev_b64 v[0:1], 1, v[0:1]
	v_lshrrev_b32_e32 v14, 16, v11
	v_lshrrev_b32_e32 v7, 16, v10
	v_lshrrev_b32_e32 v6, 16, v9
	v_lshrrev_b32_e32 v5, 16, v8
	s_waitcnt lgkmcnt(0)
	s_mul_i32 s11, s15, s8
	s_mul_hi_u32 s15, s14, s8
	v_mul_lo_u32 v19, v21, s12
	v_mul_lo_u32 v20, v17, s13
	s_mul_i32 s10, s14, s8
	v_cmp_neq_f16_e64 s14, s16, 0
	s_add_i32 s11, s15, s11
	v_lshrrev_b32_e32 v4, 16, v2
	s_lshl_b64 s[10:11], s[10:11], 1
	s_add_u32 s6, s6, s10
	s_addc_u32 s7, s7, s11
	s_and_b32 vcc_lo, exec_lo, s14
	s_mov_b32 s10, 0
	s_cbranch_vccnz .LBB338_8
; %bb.5:
	v_mad_u64_u32 v[22:23], null, v17, s12, 0
	s_lshl_b64 s[14:15], s[12:13], 5
	v_mul_f16_sdwa v26, s9, v3 dst_sel:DWORD dst_unused:UNUSED_PAD src0_sel:DWORD src1_sel:WORD_1
	v_mul_f16_e32 v27, s9, v3
	v_mul_f16_sdwa v28, s9, v13 dst_sel:DWORD dst_unused:UNUSED_PAD src0_sel:DWORD src1_sel:WORD_1
	v_mul_f16_e32 v29, s9, v13
	v_mul_f16_sdwa v30, s9, v12 dst_sel:DWORD dst_unused:UNUSED_PAD src0_sel:DWORD src1_sel:WORD_1
	v_add3_u32 v23, v23, v20, v19
	v_mul_f16_e32 v31, s9, v12
	v_mul_f16_sdwa v32, s9, v11 dst_sel:DWORD dst_unused:UNUSED_PAD src0_sel:DWORD src1_sel:WORD_1
	v_mul_f16_e32 v33, s9, v11
	v_lshlrev_b64 v[22:23], 1, v[22:23]
	v_add_co_u32 v22, vcc_lo, s6, v22
	v_add_co_ci_u32_e64 v23, null, s7, v23, vcc_lo
	v_add_co_u32 v34, vcc_lo, v22, s14
	v_add_co_ci_u32_e64 v35, null, s15, v23, vcc_lo
	;; [unrolled: 2-line block ×4, first 2 shown]
	global_store_short v[22:23], v26, off
	global_store_short v[22:23], v27, off offset:32
	global_store_short v[22:23], v28, off offset:64
	;; [unrolled: 1-line block ×3, first 2 shown]
	global_store_short v[24:25], v30, off
	global_store_short v[24:25], v31, off offset:32
	v_add_co_u32 v26, vcc_lo, v34, s14
	v_add_co_ci_u32_e64 v27, null, s15, v35, vcc_lo
	v_mul_f16_sdwa v28, s9, v10 dst_sel:DWORD dst_unused:UNUSED_PAD src0_sel:DWORD src1_sel:WORD_1
	v_add_co_u32 v22, vcc_lo, v26, v0
	v_add_co_ci_u32_e64 v23, null, v27, v1, vcc_lo
	v_mul_f16_e32 v29, s9, v10
	v_mul_f16_sdwa v30, s9, v9 dst_sel:DWORD dst_unused:UNUSED_PAD src0_sel:DWORD src1_sel:WORD_1
	global_store_short v[24:25], v32, off offset:64
	global_store_short v[24:25], v33, off offset:96
	global_store_short v[22:23], v28, off
	global_store_short v[22:23], v29, off offset:32
	global_store_short v[22:23], v30, off offset:64
	v_add_co_u32 v24, vcc_lo, v26, s14
	v_add_co_ci_u32_e64 v25, null, s15, v27, vcc_lo
	v_mul_f16_e32 v28, s9, v9
	v_add_co_u32 v24, vcc_lo, v24, v0
	v_mul_f16_sdwa v26, s9, v8 dst_sel:DWORD dst_unused:UNUSED_PAD src0_sel:DWORD src1_sel:WORD_1
	v_add_co_ci_u32_e64 v25, null, v25, v1, vcc_lo
	v_mul_f16_e32 v27, s9, v8
	v_mul_f16_sdwa v29, s9, v2 dst_sel:DWORD dst_unused:UNUSED_PAD src0_sel:DWORD src1_sel:WORD_1
	v_mul_f16_e32 v30, s9, v2
	global_store_short v[22:23], v28, off offset:96
	global_store_short v[24:25], v26, off
	global_store_short v[24:25], v27, off offset:32
	global_store_short v[24:25], v29, off offset:64
	;; [unrolled: 1-line block ×3, first 2 shown]
	s_andn2_b32 vcc_lo, exec_lo, s10
	s_cbranch_vccnz .LBB338_7
.LBB338_6:
	v_mul_lo_u32 v23, v21, s2
	v_mul_lo_u32 v24, v17, s3
	v_mad_u64_u32 v[21:22], null, v17, s2, 0
	s_mul_i32 s5, s5, s8
	s_mul_hi_u32 s10, s4, s8
	s_mul_i32 s4, s4, s8
	s_add_i32 s5, s10, s5
	s_lshl_b64 s[4:5], s[4:5], 1
	v_add3_u32 v22, v22, v24, v23
	s_add_u32 s0, s0, s4
	s_addc_u32 s1, s1, s5
	v_mad_u64_u32 v[23:24], null, v17, s12, 0
	v_lshlrev_b64 v[21:22], 1, v[21:22]
	v_add3_u32 v24, v24, v20, v19
	v_add_co_u32 v25, vcc_lo, s0, v21
	v_add_co_ci_u32_e64 v26, null, s1, v22, vcc_lo
	v_lshlrev_b64 v[19:20], 1, v[23:24]
	v_add_co_u32 v21, vcc_lo, v25, v0
	v_add_co_ci_u32_e64 v22, null, v26, v1, vcc_lo
	s_lshl_b64 s[0:1], s[2:3], 5
	v_add_co_u32 v23, vcc_lo, s6, v19
	global_load_ushort v27, v[21:22], off
	v_add_co_ci_u32_e64 v24, null, s7, v20, vcc_lo
	v_add_co_u32 v19, vcc_lo, v23, v0
	s_lshl_b64 s[2:3], s[12:13], 5
	v_add_co_ci_u32_e64 v20, null, v24, v1, vcc_lo
	s_waitcnt vmcnt(0)
	v_mul_f16_e32 v17, s16, v27
	v_fmac_f16_e32 v17, s9, v18
	global_store_short v[19:20], v17, off
	global_load_ushort v17, v[21:22], off offset:32
	s_waitcnt vmcnt(0)
	v_mul_f16_e32 v17, s16, v17
	v_fmac_f16_e32 v17, s9, v3
	global_store_short v[19:20], v17, off offset:32
	global_load_ushort v3, v[21:22], off offset:64
	s_waitcnt vmcnt(0)
	v_mul_f16_e32 v3, s16, v3
	v_fmac_f16_e32 v3, s9, v16
	global_store_short v[19:20], v3, off offset:64
	global_load_ushort v3, v[21:22], off offset:96
	v_add_co_u32 v21, vcc_lo, v25, s0
	v_add_co_ci_u32_e64 v22, null, s1, v26, vcc_lo
	v_add_co_u32 v16, vcc_lo, v21, v0
	v_add_co_ci_u32_e64 v17, null, v22, v1, vcc_lo
	s_waitcnt vmcnt(0)
	v_mul_f16_e32 v3, s16, v3
	v_fmac_f16_e32 v3, s9, v13
	v_add_co_u32 v13, vcc_lo, v23, s2
	global_store_short v[19:20], v3, off offset:96
	global_load_ushort v3, v[16:17], off
	v_add_co_ci_u32_e64 v20, null, s3, v24, vcc_lo
	v_add_co_u32 v18, vcc_lo, v13, v0
	v_add_co_ci_u32_e64 v19, null, v20, v1, vcc_lo
	s_waitcnt vmcnt(0)
	v_mul_f16_e32 v3, s16, v3
	v_fmac_f16_e32 v3, s9, v15
	v_add_co_u32 v15, vcc_lo, v21, s0
	global_store_short v[18:19], v3, off
	global_load_ushort v3, v[16:17], off offset:32
	s_waitcnt vmcnt(0)
	v_mul_f16_e32 v3, s16, v3
	v_fmac_f16_e32 v3, s9, v12
	global_store_short v[18:19], v3, off offset:32
	global_load_ushort v3, v[16:17], off offset:64
	s_waitcnt vmcnt(0)
	v_mul_f16_e32 v3, s16, v3
	v_fmac_f16_e32 v3, s9, v14
	global_store_short v[18:19], v3, off offset:64
	global_load_ushort v3, v[16:17], off offset:96
	v_add_co_ci_u32_e64 v16, null, s1, v22, vcc_lo
	s_waitcnt vmcnt(0)
	v_mul_f16_e32 v3, s16, v3
	v_fmac_f16_e32 v3, s9, v11
	v_add_co_u32 v11, vcc_lo, v15, v0
	v_add_co_ci_u32_e64 v12, null, v16, v1, vcc_lo
	global_store_short v[18:19], v3, off offset:96
	v_add_co_u32 v17, vcc_lo, v13, s2
	global_load_ushort v3, v[11:12], off
	v_add_co_ci_u32_e64 v18, null, s3, v20, vcc_lo
	v_add_co_u32 v13, vcc_lo, v17, v0
	v_add_co_ci_u32_e64 v14, null, v18, v1, vcc_lo
	s_waitcnt vmcnt(0)
	v_mul_f16_e32 v3, s16, v3
	v_fmac_f16_e32 v3, s9, v7
	global_store_short v[13:14], v3, off
	global_load_ushort v3, v[11:12], off offset:32
	s_waitcnt vmcnt(0)
	v_mul_f16_e32 v3, s16, v3
	v_fmac_f16_e32 v3, s9, v10
	global_store_short v[13:14], v3, off offset:32
	global_load_ushort v3, v[11:12], off offset:64
	s_waitcnt vmcnt(0)
	v_mul_f16_e32 v3, s16, v3
	v_fmac_f16_e32 v3, s9, v6
	v_add_co_u32 v6, vcc_lo, v15, s0
	v_add_co_ci_u32_e64 v7, null, s1, v16, vcc_lo
	global_store_short v[13:14], v3, off offset:64
	global_load_ushort v3, v[11:12], off offset:96
	v_add_co_u32 v6, vcc_lo, v6, v0
	v_add_co_ci_u32_e64 v7, null, v7, v1, vcc_lo
	s_waitcnt vmcnt(0)
	v_mul_f16_e32 v3, s16, v3
	v_fmac_f16_e32 v3, s9, v9
	v_add_co_u32 v9, vcc_lo, v17, s2
	v_add_co_ci_u32_e64 v10, null, s3, v18, vcc_lo
	global_store_short v[13:14], v3, off offset:96
	global_load_ushort v3, v[6:7], off
	v_add_co_u32 v0, vcc_lo, v9, v0
	v_add_co_ci_u32_e64 v1, null, v10, v1, vcc_lo
	s_waitcnt vmcnt(0)
	v_mul_f16_e32 v3, s16, v3
	v_fmac_f16_e32 v3, s9, v5
	global_store_short v[0:1], v3, off
	global_load_ushort v3, v[6:7], off offset:32
	s_waitcnt vmcnt(0)
	v_mul_f16_e32 v3, s16, v3
	v_fmac_f16_e32 v3, s9, v8
	global_store_short v[0:1], v3, off offset:32
	global_load_ushort v3, v[6:7], off offset:64
	s_waitcnt vmcnt(0)
	v_mul_f16_e32 v3, s16, v3
	v_fmac_f16_e32 v3, s9, v4
	global_store_short v[0:1], v3, off offset:64
	;; [unrolled: 5-line block ×3, first 2 shown]
.LBB338_7:
	s_endpgm
.LBB338_8:
	s_branch .LBB338_6
	.section	.rodata,"a",@progbits
	.p2align	6, 0x0
	.amdhsa_kernel _ZN12_GLOBAL__N_127rocblas_gemm_batched_kernelIDF16_Li16ELi16ELi64ELi64ELi4ELi64ELi4ELi4ELi64ELc84ELc84EKDF16_S1_DF16_EEvlllT_PT11_llS4_llS2_PT12_llPT13_lli
		.amdhsa_group_segment_fixed_size 1024
		.amdhsa_private_segment_fixed_size 0
		.amdhsa_kernarg_size 140
		.amdhsa_user_sgpr_count 6
		.amdhsa_user_sgpr_private_segment_buffer 1
		.amdhsa_user_sgpr_dispatch_ptr 0
		.amdhsa_user_sgpr_queue_ptr 0
		.amdhsa_user_sgpr_kernarg_segment_ptr 1
		.amdhsa_user_sgpr_dispatch_id 0
		.amdhsa_user_sgpr_flat_scratch_init 0
		.amdhsa_user_sgpr_private_segment_size 0
		.amdhsa_wavefront_size32 1
		.amdhsa_uses_dynamic_stack 0
		.amdhsa_system_sgpr_private_segment_wavefront_offset 0
		.amdhsa_system_sgpr_workgroup_id_x 1
		.amdhsa_system_sgpr_workgroup_id_y 1
		.amdhsa_system_sgpr_workgroup_id_z 1
		.amdhsa_system_sgpr_workgroup_info 0
		.amdhsa_system_vgpr_workitem_id 1
		.amdhsa_next_free_vgpr 36
		.amdhsa_next_free_sgpr 24
		.amdhsa_reserve_vcc 1
		.amdhsa_reserve_flat_scratch 0
		.amdhsa_float_round_mode_32 0
		.amdhsa_float_round_mode_16_64 0
		.amdhsa_float_denorm_mode_32 3
		.amdhsa_float_denorm_mode_16_64 3
		.amdhsa_dx10_clamp 1
		.amdhsa_ieee_mode 1
		.amdhsa_fp16_overflow 0
		.amdhsa_workgroup_processor_mode 1
		.amdhsa_memory_ordered 1
		.amdhsa_forward_progress 1
		.amdhsa_shared_vgpr_count 0
		.amdhsa_exception_fp_ieee_invalid_op 0
		.amdhsa_exception_fp_denorm_src 0
		.amdhsa_exception_fp_ieee_div_zero 0
		.amdhsa_exception_fp_ieee_overflow 0
		.amdhsa_exception_fp_ieee_underflow 0
		.amdhsa_exception_fp_ieee_inexact 0
		.amdhsa_exception_int_div_zero 0
	.end_amdhsa_kernel
	.section	.text._ZN12_GLOBAL__N_127rocblas_gemm_batched_kernelIDF16_Li16ELi16ELi64ELi64ELi4ELi64ELi4ELi4ELi64ELc84ELc84EKDF16_S1_DF16_EEvlllT_PT11_llS4_llS2_PT12_llPT13_lli,"axG",@progbits,_ZN12_GLOBAL__N_127rocblas_gemm_batched_kernelIDF16_Li16ELi16ELi64ELi64ELi4ELi64ELi4ELi4ELi64ELc84ELc84EKDF16_S1_DF16_EEvlllT_PT11_llS4_llS2_PT12_llPT13_lli,comdat
.Lfunc_end338:
	.size	_ZN12_GLOBAL__N_127rocblas_gemm_batched_kernelIDF16_Li16ELi16ELi64ELi64ELi4ELi64ELi4ELi4ELi64ELc84ELc84EKDF16_S1_DF16_EEvlllT_PT11_llS4_llS2_PT12_llPT13_lli, .Lfunc_end338-_ZN12_GLOBAL__N_127rocblas_gemm_batched_kernelIDF16_Li16ELi16ELi64ELi64ELi4ELi64ELi4ELi4ELi64ELc84ELc84EKDF16_S1_DF16_EEvlllT_PT11_llS4_llS2_PT12_llPT13_lli
                                        ; -- End function
	.set _ZN12_GLOBAL__N_127rocblas_gemm_batched_kernelIDF16_Li16ELi16ELi64ELi64ELi4ELi64ELi4ELi4ELi64ELc84ELc84EKDF16_S1_DF16_EEvlllT_PT11_llS4_llS2_PT12_llPT13_lli.num_vgpr, 36
	.set _ZN12_GLOBAL__N_127rocblas_gemm_batched_kernelIDF16_Li16ELi16ELi64ELi64ELi4ELi64ELi4ELi4ELi64ELc84ELc84EKDF16_S1_DF16_EEvlllT_PT11_llS4_llS2_PT12_llPT13_lli.num_agpr, 0
	.set _ZN12_GLOBAL__N_127rocblas_gemm_batched_kernelIDF16_Li16ELi16ELi64ELi64ELi4ELi64ELi4ELi4ELi64ELc84ELc84EKDF16_S1_DF16_EEvlllT_PT11_llS4_llS2_PT12_llPT13_lli.numbered_sgpr, 24
	.set _ZN12_GLOBAL__N_127rocblas_gemm_batched_kernelIDF16_Li16ELi16ELi64ELi64ELi4ELi64ELi4ELi4ELi64ELc84ELc84EKDF16_S1_DF16_EEvlllT_PT11_llS4_llS2_PT12_llPT13_lli.num_named_barrier, 0
	.set _ZN12_GLOBAL__N_127rocblas_gemm_batched_kernelIDF16_Li16ELi16ELi64ELi64ELi4ELi64ELi4ELi4ELi64ELc84ELc84EKDF16_S1_DF16_EEvlllT_PT11_llS4_llS2_PT12_llPT13_lli.private_seg_size, 0
	.set _ZN12_GLOBAL__N_127rocblas_gemm_batched_kernelIDF16_Li16ELi16ELi64ELi64ELi4ELi64ELi4ELi4ELi64ELc84ELc84EKDF16_S1_DF16_EEvlllT_PT11_llS4_llS2_PT12_llPT13_lli.uses_vcc, 1
	.set _ZN12_GLOBAL__N_127rocblas_gemm_batched_kernelIDF16_Li16ELi16ELi64ELi64ELi4ELi64ELi4ELi4ELi64ELc84ELc84EKDF16_S1_DF16_EEvlllT_PT11_llS4_llS2_PT12_llPT13_lli.uses_flat_scratch, 0
	.set _ZN12_GLOBAL__N_127rocblas_gemm_batched_kernelIDF16_Li16ELi16ELi64ELi64ELi4ELi64ELi4ELi4ELi64ELc84ELc84EKDF16_S1_DF16_EEvlllT_PT11_llS4_llS2_PT12_llPT13_lli.has_dyn_sized_stack, 0
	.set _ZN12_GLOBAL__N_127rocblas_gemm_batched_kernelIDF16_Li16ELi16ELi64ELi64ELi4ELi64ELi4ELi4ELi64ELc84ELc84EKDF16_S1_DF16_EEvlllT_PT11_llS4_llS2_PT12_llPT13_lli.has_recursion, 0
	.set _ZN12_GLOBAL__N_127rocblas_gemm_batched_kernelIDF16_Li16ELi16ELi64ELi64ELi4ELi64ELi4ELi4ELi64ELc84ELc84EKDF16_S1_DF16_EEvlllT_PT11_llS4_llS2_PT12_llPT13_lli.has_indirect_call, 0
	.section	.AMDGPU.csdata,"",@progbits
; Kernel info:
; codeLenInByte = 2368
; TotalNumSgprs: 26
; NumVgprs: 36
; ScratchSize: 0
; MemoryBound: 0
; FloatMode: 240
; IeeeMode: 1
; LDSByteSize: 1024 bytes/workgroup (compile time only)
; SGPRBlocks: 0
; VGPRBlocks: 4
; NumSGPRsForWavesPerEU: 26
; NumVGPRsForWavesPerEU: 36
; Occupancy: 16
; WaveLimiterHint : 0
; COMPUTE_PGM_RSRC2:SCRATCH_EN: 0
; COMPUTE_PGM_RSRC2:USER_SGPR: 6
; COMPUTE_PGM_RSRC2:TRAP_HANDLER: 0
; COMPUTE_PGM_RSRC2:TGID_X_EN: 1
; COMPUTE_PGM_RSRC2:TGID_Y_EN: 1
; COMPUTE_PGM_RSRC2:TGID_Z_EN: 1
; COMPUTE_PGM_RSRC2:TIDIG_COMP_CNT: 1
	.section	.text._ZN12_GLOBAL__N_127rocblas_gemm_batched_kernelIDF16_Li16ELi16ELi64ELi64ELi4ELi64ELi4ELi4ELi64ELc67ELc67EKDF16_S1_DF16_EEvlllT_PT11_llS4_llS2_PT12_llPT13_lli,"axG",@progbits,_ZN12_GLOBAL__N_127rocblas_gemm_batched_kernelIDF16_Li16ELi16ELi64ELi64ELi4ELi64ELi4ELi4ELi64ELc67ELc67EKDF16_S1_DF16_EEvlllT_PT11_llS4_llS2_PT12_llPT13_lli,comdat
	.globl	_ZN12_GLOBAL__N_127rocblas_gemm_batched_kernelIDF16_Li16ELi16ELi64ELi64ELi4ELi64ELi4ELi4ELi64ELc67ELc67EKDF16_S1_DF16_EEvlllT_PT11_llS4_llS2_PT12_llPT13_lli ; -- Begin function _ZN12_GLOBAL__N_127rocblas_gemm_batched_kernelIDF16_Li16ELi16ELi64ELi64ELi4ELi64ELi4ELi4ELi64ELc67ELc67EKDF16_S1_DF16_EEvlllT_PT11_llS4_llS2_PT12_llPT13_lli
	.p2align	8
	.type	_ZN12_GLOBAL__N_127rocblas_gemm_batched_kernelIDF16_Li16ELi16ELi64ELi64ELi4ELi64ELi4ELi4ELi64ELc67ELc67EKDF16_S1_DF16_EEvlllT_PT11_llS4_llS2_PT12_llPT13_lli,@function
_ZN12_GLOBAL__N_127rocblas_gemm_batched_kernelIDF16_Li16ELi16ELi64ELi64ELi4ELi64ELi4ELi4ELi64ELc67ELc67EKDF16_S1_DF16_EEvlllT_PT11_llS4_llS2_PT12_llPT13_lli: ; @_ZN12_GLOBAL__N_127rocblas_gemm_batched_kernelIDF16_Li16ELi16ELi64ELi64ELi4ELi64ELi4ELi4ELi64ELc67ELc67EKDF16_S1_DF16_EEvlllT_PT11_llS4_llS2_PT12_llPT13_lli
; %bb.0:
	s_load_dwordx2 s[22:23], s[4:5], 0x10
	s_mov_b32 s0, s7
	v_mov_b32_e32 v3, 0
	s_ashr_i32 s7, s6, 31
	s_ashr_i32 s1, s0, 31
	s_lshl_b64 s[10:11], s[6:7], 6
	s_lshl_b64 s[20:21], s[0:1], 6
	s_waitcnt lgkmcnt(0)
	v_cmp_lt_i64_e64 s2, s[22:23], 1
	s_and_b32 vcc_lo, exec_lo, s2
	s_cbranch_vccnz .LBB339_3
; %bb.1:
	s_clause 0x1
	s_load_dwordx4 s[0:3], s[4:5], 0x40
	s_load_dwordx8 s[12:19], s[4:5], 0x20
	v_lshl_add_u32 v4, v1, 4, v0
	v_and_b32_e32 v8, 3, v0
	v_lshlrev_b32_e32 v14, 1, v0
	v_lshl_add_u32 v15, v1, 3, 0x200
	v_lshrrev_b32_e32 v2, 2, v4
	v_and_b32_e32 v5, 63, v4
	v_lshlrev_b32_e32 v6, 1, v8
	v_lshrrev_b32_e32 v10, 6, v4
	v_lshlrev_b32_e32 v9, 1, v5
	v_lshl_or_b32 v11, v2, 3, v6
	v_add_co_u32 v6, s6, s10, v5
	v_add_co_ci_u32_e64 v7, null, s11, 0, s6
	v_lshl_or_b32 v16, v10, 7, v9
	s_waitcnt lgkmcnt(0)
	v_mad_u64_u32 v[4:5], null, s0, v8, v[2:3]
	v_mul_lo_u32 v12, s15, v6
	v_mul_lo_u32 v13, s14, v7
	v_mad_u64_u32 v[6:7], null, s14, v6, 0
	s_mul_i32 s3, s3, s8
	s_mul_hi_u32 s6, s2, s8
	v_mov_b32_e32 v2, v5
	s_mul_i32 s2, s2, s8
	s_add_i32 s3, s6, s3
	v_add_nc_u32_e32 v17, 0x200, v11
	v_add3_u32 v7, v7, v13, v12
	v_mad_u64_u32 v[8:9], null, s1, v8, v[2:3]
	s_lshl_b64 s[2:3], s[2:3], 1
	v_lshlrev_b32_e32 v2, 1, v10
	s_add_u32 s6, s18, s2
	s_addc_u32 s7, s19, s3
	s_mul_i32 s2, s17, s8
	s_mul_hi_u32 s3, s16, s8
	v_lshlrev_b64 v[5:6], 1, v[6:7]
	v_add_co_u32 v7, vcc_lo, v4, s20
	s_add_i32 s3, s3, s2
	s_mul_i32 s2, s16, s8
	v_add_co_ci_u32_e64 v8, null, s21, v8, vcc_lo
	s_lshl_b64 s[2:3], s[2:3], 1
	v_mov_b32_e32 v10, 0
	v_add_co_u32 v9, vcc_lo, v5, s2
	v_add_co_ci_u32_e64 v6, null, s3, v6, vcc_lo
	v_lshlrev_b64 v[4:5], 1, v[7:8]
	v_add_co_u32 v2, vcc_lo, v9, v2
	v_add_co_ci_u32_e64 v7, null, 0, v6, vcc_lo
	v_mov_b32_e32 v8, 0
	v_add_co_u32 v4, vcc_lo, s6, v4
	v_add_co_ci_u32_e64 v5, null, s7, v5, vcc_lo
	v_add_co_u32 v6, vcc_lo, s12, v2
	v_add_co_ci_u32_e64 v7, null, s13, v7, vcc_lo
	v_mov_b32_e32 v2, 0
	v_mov_b32_e32 v9, 0
	;; [unrolled: 1-line block ×5, first 2 shown]
	s_lshl_b64 s[0:1], s[0:1], 3
	s_mov_b64 s[2:3], 0
.LBB339_2:                              ; =>This Inner Loop Header: Depth=1
	global_load_ushort v18, v[6:7], off
	global_load_ushort v19, v[4:5], off
	s_add_u32 s2, s2, 4
	s_addc_u32 s3, s3, 0
	v_add_co_u32 v4, vcc_lo, v4, s0
	v_cmp_lt_i64_e64 s6, s[2:3], s[22:23]
	v_add_co_ci_u32_e64 v5, null, s1, v5, vcc_lo
	v_add_co_u32 v6, vcc_lo, v6, 8
	v_add_co_ci_u32_e64 v7, null, 0, v7, vcc_lo
	s_and_b32 vcc_lo, exec_lo, s6
	s_waitcnt vmcnt(1)
	ds_write_b16 v16, v18
	s_waitcnt vmcnt(0)
	ds_write_b16 v17, v19
	s_waitcnt lgkmcnt(0)
	s_barrier
	buffer_gl0_inv
	ds_read_u16 v26, v14 offset:32
	ds_read_u16 v27, v14 offset:96
	;; [unrolled: 1-line block ×8, first 2 shown]
	ds_read2_b64 v[18:21], v15 offset1:16
	ds_read2_b64 v[22:25], v15 offset0:32 offset1:48
	s_waitcnt lgkmcnt(9)
	ds_read_u16_d16_hi v26, v14
	s_waitcnt lgkmcnt(9)
	ds_read_u16_d16_hi v27, v14 offset:64
	s_waitcnt lgkmcnt(9)
	ds_read_u16_d16_hi v28, v14 offset:128
	;; [unrolled: 2-line block ×7, first 2 shown]
	s_waitcnt lgkmcnt(0)
	s_barrier
	buffer_gl0_inv
	v_pk_fma_f16 v3, v26, v18, v3 op_sel_hi:[1,0,1]
	v_pk_fma_f16 v13, v27, v18, v13 op_sel_hi:[1,0,1]
	;; [unrolled: 1-line block ×8, first 2 shown]
	v_pk_fma_f16 v3, v28, v18, v3 op_sel:[0,1,0]
	v_pk_fma_f16 v13, v29, v18, v13 op_sel:[0,1,0]
	;; [unrolled: 1-line block ×8, first 2 shown]
	v_pk_fma_f16 v3, v30, v19, v3 op_sel_hi:[1,0,1]
	v_pk_fma_f16 v13, v31, v19, v13 op_sel_hi:[1,0,1]
	;; [unrolled: 1-line block ×8, first 2 shown]
	v_pk_fma_f16 v3, v32, v19, v3 op_sel:[0,1,0]
	v_pk_fma_f16 v13, v33, v19, v13 op_sel:[0,1,0]
	;; [unrolled: 1-line block ×8, first 2 shown]
	s_cbranch_vccnz .LBB339_2
	s_branch .LBB339_4
.LBB339_3:
	v_mov_b32_e32 v13, 0
	v_mov_b32_e32 v12, 0
	;; [unrolled: 1-line block ×7, first 2 shown]
.LBB339_4:
	s_clause 0x3
	s_load_dwordx4 s[12:15], s[4:5], 0x78
	s_load_dword s16, s[4:5], 0x50
	s_load_dword s9, s[4:5], 0x18
	s_load_dwordx8 s[0:7], s[4:5], 0x58
	v_add_co_u32 v17, s17, s20, v1
	v_add_co_ci_u32_e64 v21, null, s21, 0, s17
	v_add_co_u32 v0, s10, s10, v0
	v_add_co_ci_u32_e64 v1, null, s11, 0, s10
	v_lshrrev_b32_e32 v18, 16, v3
	v_lshrrev_b32_e32 v16, 16, v13
	;; [unrolled: 1-line block ×3, first 2 shown]
	v_lshlrev_b64 v[0:1], 1, v[0:1]
	v_lshrrev_b32_e32 v14, 16, v11
	v_lshrrev_b32_e32 v7, 16, v10
	;; [unrolled: 1-line block ×4, first 2 shown]
	s_waitcnt lgkmcnt(0)
	s_mul_i32 s11, s15, s8
	s_mul_hi_u32 s15, s14, s8
	v_mul_lo_u32 v19, v21, s12
	v_mul_lo_u32 v20, v17, s13
	s_mul_i32 s10, s14, s8
	v_cmp_neq_f16_e64 s14, s16, 0
	s_add_i32 s11, s15, s11
	v_lshrrev_b32_e32 v4, 16, v2
	s_lshl_b64 s[10:11], s[10:11], 1
	s_add_u32 s6, s6, s10
	s_addc_u32 s7, s7, s11
	s_and_b32 vcc_lo, exec_lo, s14
	s_mov_b32 s10, 0
	s_cbranch_vccnz .LBB339_8
; %bb.5:
	v_mad_u64_u32 v[22:23], null, v17, s12, 0
	s_lshl_b64 s[14:15], s[12:13], 5
	v_mul_f16_sdwa v26, s9, v3 dst_sel:DWORD dst_unused:UNUSED_PAD src0_sel:DWORD src1_sel:WORD_1
	v_mul_f16_e32 v27, s9, v3
	v_mul_f16_sdwa v28, s9, v13 dst_sel:DWORD dst_unused:UNUSED_PAD src0_sel:DWORD src1_sel:WORD_1
	v_mul_f16_e32 v29, s9, v13
	v_mul_f16_sdwa v30, s9, v12 dst_sel:DWORD dst_unused:UNUSED_PAD src0_sel:DWORD src1_sel:WORD_1
	v_add3_u32 v23, v23, v20, v19
	v_mul_f16_e32 v31, s9, v12
	v_mul_f16_sdwa v32, s9, v11 dst_sel:DWORD dst_unused:UNUSED_PAD src0_sel:DWORD src1_sel:WORD_1
	v_mul_f16_e32 v33, s9, v11
	v_lshlrev_b64 v[22:23], 1, v[22:23]
	v_add_co_u32 v22, vcc_lo, s6, v22
	v_add_co_ci_u32_e64 v23, null, s7, v23, vcc_lo
	v_add_co_u32 v34, vcc_lo, v22, s14
	v_add_co_ci_u32_e64 v35, null, s15, v23, vcc_lo
	;; [unrolled: 2-line block ×4, first 2 shown]
	global_store_short v[22:23], v26, off
	global_store_short v[22:23], v27, off offset:32
	global_store_short v[22:23], v28, off offset:64
	;; [unrolled: 1-line block ×3, first 2 shown]
	global_store_short v[24:25], v30, off
	global_store_short v[24:25], v31, off offset:32
	v_add_co_u32 v26, vcc_lo, v34, s14
	v_add_co_ci_u32_e64 v27, null, s15, v35, vcc_lo
	v_mul_f16_sdwa v28, s9, v10 dst_sel:DWORD dst_unused:UNUSED_PAD src0_sel:DWORD src1_sel:WORD_1
	v_add_co_u32 v22, vcc_lo, v26, v0
	v_add_co_ci_u32_e64 v23, null, v27, v1, vcc_lo
	v_mul_f16_e32 v29, s9, v10
	v_mul_f16_sdwa v30, s9, v9 dst_sel:DWORD dst_unused:UNUSED_PAD src0_sel:DWORD src1_sel:WORD_1
	global_store_short v[24:25], v32, off offset:64
	global_store_short v[24:25], v33, off offset:96
	global_store_short v[22:23], v28, off
	global_store_short v[22:23], v29, off offset:32
	global_store_short v[22:23], v30, off offset:64
	v_add_co_u32 v24, vcc_lo, v26, s14
	v_add_co_ci_u32_e64 v25, null, s15, v27, vcc_lo
	v_mul_f16_e32 v28, s9, v9
	v_add_co_u32 v24, vcc_lo, v24, v0
	v_mul_f16_sdwa v26, s9, v8 dst_sel:DWORD dst_unused:UNUSED_PAD src0_sel:DWORD src1_sel:WORD_1
	v_add_co_ci_u32_e64 v25, null, v25, v1, vcc_lo
	v_mul_f16_e32 v27, s9, v8
	v_mul_f16_sdwa v29, s9, v2 dst_sel:DWORD dst_unused:UNUSED_PAD src0_sel:DWORD src1_sel:WORD_1
	v_mul_f16_e32 v30, s9, v2
	global_store_short v[22:23], v28, off offset:96
	global_store_short v[24:25], v26, off
	global_store_short v[24:25], v27, off offset:32
	global_store_short v[24:25], v29, off offset:64
	;; [unrolled: 1-line block ×3, first 2 shown]
	s_andn2_b32 vcc_lo, exec_lo, s10
	s_cbranch_vccnz .LBB339_7
.LBB339_6:
	v_mul_lo_u32 v23, v21, s2
	v_mul_lo_u32 v24, v17, s3
	v_mad_u64_u32 v[21:22], null, v17, s2, 0
	s_mul_i32 s5, s5, s8
	s_mul_hi_u32 s10, s4, s8
	s_mul_i32 s4, s4, s8
	s_add_i32 s5, s10, s5
	s_lshl_b64 s[4:5], s[4:5], 1
	v_add3_u32 v22, v22, v24, v23
	s_add_u32 s0, s0, s4
	s_addc_u32 s1, s1, s5
	v_mad_u64_u32 v[23:24], null, v17, s12, 0
	v_lshlrev_b64 v[21:22], 1, v[21:22]
	v_add3_u32 v24, v24, v20, v19
	v_add_co_u32 v25, vcc_lo, s0, v21
	v_add_co_ci_u32_e64 v26, null, s1, v22, vcc_lo
	v_lshlrev_b64 v[19:20], 1, v[23:24]
	v_add_co_u32 v21, vcc_lo, v25, v0
	v_add_co_ci_u32_e64 v22, null, v26, v1, vcc_lo
	s_lshl_b64 s[0:1], s[2:3], 5
	v_add_co_u32 v23, vcc_lo, s6, v19
	global_load_ushort v27, v[21:22], off
	v_add_co_ci_u32_e64 v24, null, s7, v20, vcc_lo
	v_add_co_u32 v19, vcc_lo, v23, v0
	s_lshl_b64 s[2:3], s[12:13], 5
	v_add_co_ci_u32_e64 v20, null, v24, v1, vcc_lo
	s_waitcnt vmcnt(0)
	v_mul_f16_e32 v17, s16, v27
	v_fmac_f16_e32 v17, s9, v18
	global_store_short v[19:20], v17, off
	global_load_ushort v17, v[21:22], off offset:32
	s_waitcnt vmcnt(0)
	v_mul_f16_e32 v17, s16, v17
	v_fmac_f16_e32 v17, s9, v3
	global_store_short v[19:20], v17, off offset:32
	global_load_ushort v3, v[21:22], off offset:64
	s_waitcnt vmcnt(0)
	v_mul_f16_e32 v3, s16, v3
	v_fmac_f16_e32 v3, s9, v16
	global_store_short v[19:20], v3, off offset:64
	global_load_ushort v3, v[21:22], off offset:96
	v_add_co_u32 v21, vcc_lo, v25, s0
	v_add_co_ci_u32_e64 v22, null, s1, v26, vcc_lo
	v_add_co_u32 v16, vcc_lo, v21, v0
	v_add_co_ci_u32_e64 v17, null, v22, v1, vcc_lo
	s_waitcnt vmcnt(0)
	v_mul_f16_e32 v3, s16, v3
	v_fmac_f16_e32 v3, s9, v13
	v_add_co_u32 v13, vcc_lo, v23, s2
	global_store_short v[19:20], v3, off offset:96
	global_load_ushort v3, v[16:17], off
	v_add_co_ci_u32_e64 v20, null, s3, v24, vcc_lo
	v_add_co_u32 v18, vcc_lo, v13, v0
	v_add_co_ci_u32_e64 v19, null, v20, v1, vcc_lo
	s_waitcnt vmcnt(0)
	v_mul_f16_e32 v3, s16, v3
	v_fmac_f16_e32 v3, s9, v15
	v_add_co_u32 v15, vcc_lo, v21, s0
	global_store_short v[18:19], v3, off
	global_load_ushort v3, v[16:17], off offset:32
	s_waitcnt vmcnt(0)
	v_mul_f16_e32 v3, s16, v3
	v_fmac_f16_e32 v3, s9, v12
	global_store_short v[18:19], v3, off offset:32
	global_load_ushort v3, v[16:17], off offset:64
	s_waitcnt vmcnt(0)
	v_mul_f16_e32 v3, s16, v3
	v_fmac_f16_e32 v3, s9, v14
	global_store_short v[18:19], v3, off offset:64
	global_load_ushort v3, v[16:17], off offset:96
	v_add_co_ci_u32_e64 v16, null, s1, v22, vcc_lo
	s_waitcnt vmcnt(0)
	v_mul_f16_e32 v3, s16, v3
	v_fmac_f16_e32 v3, s9, v11
	v_add_co_u32 v11, vcc_lo, v15, v0
	v_add_co_ci_u32_e64 v12, null, v16, v1, vcc_lo
	global_store_short v[18:19], v3, off offset:96
	v_add_co_u32 v17, vcc_lo, v13, s2
	global_load_ushort v3, v[11:12], off
	v_add_co_ci_u32_e64 v18, null, s3, v20, vcc_lo
	v_add_co_u32 v13, vcc_lo, v17, v0
	v_add_co_ci_u32_e64 v14, null, v18, v1, vcc_lo
	s_waitcnt vmcnt(0)
	v_mul_f16_e32 v3, s16, v3
	v_fmac_f16_e32 v3, s9, v7
	global_store_short v[13:14], v3, off
	global_load_ushort v3, v[11:12], off offset:32
	s_waitcnt vmcnt(0)
	v_mul_f16_e32 v3, s16, v3
	v_fmac_f16_e32 v3, s9, v10
	global_store_short v[13:14], v3, off offset:32
	global_load_ushort v3, v[11:12], off offset:64
	s_waitcnt vmcnt(0)
	v_mul_f16_e32 v3, s16, v3
	v_fmac_f16_e32 v3, s9, v6
	v_add_co_u32 v6, vcc_lo, v15, s0
	v_add_co_ci_u32_e64 v7, null, s1, v16, vcc_lo
	global_store_short v[13:14], v3, off offset:64
	global_load_ushort v3, v[11:12], off offset:96
	v_add_co_u32 v6, vcc_lo, v6, v0
	v_add_co_ci_u32_e64 v7, null, v7, v1, vcc_lo
	s_waitcnt vmcnt(0)
	v_mul_f16_e32 v3, s16, v3
	v_fmac_f16_e32 v3, s9, v9
	v_add_co_u32 v9, vcc_lo, v17, s2
	v_add_co_ci_u32_e64 v10, null, s3, v18, vcc_lo
	global_store_short v[13:14], v3, off offset:96
	global_load_ushort v3, v[6:7], off
	v_add_co_u32 v0, vcc_lo, v9, v0
	v_add_co_ci_u32_e64 v1, null, v10, v1, vcc_lo
	s_waitcnt vmcnt(0)
	v_mul_f16_e32 v3, s16, v3
	v_fmac_f16_e32 v3, s9, v5
	global_store_short v[0:1], v3, off
	global_load_ushort v3, v[6:7], off offset:32
	s_waitcnt vmcnt(0)
	v_mul_f16_e32 v3, s16, v3
	v_fmac_f16_e32 v3, s9, v8
	global_store_short v[0:1], v3, off offset:32
	global_load_ushort v3, v[6:7], off offset:64
	s_waitcnt vmcnt(0)
	v_mul_f16_e32 v3, s16, v3
	v_fmac_f16_e32 v3, s9, v4
	global_store_short v[0:1], v3, off offset:64
	;; [unrolled: 5-line block ×3, first 2 shown]
.LBB339_7:
	s_endpgm
.LBB339_8:
	s_branch .LBB339_6
	.section	.rodata,"a",@progbits
	.p2align	6, 0x0
	.amdhsa_kernel _ZN12_GLOBAL__N_127rocblas_gemm_batched_kernelIDF16_Li16ELi16ELi64ELi64ELi4ELi64ELi4ELi4ELi64ELc67ELc67EKDF16_S1_DF16_EEvlllT_PT11_llS4_llS2_PT12_llPT13_lli
		.amdhsa_group_segment_fixed_size 1024
		.amdhsa_private_segment_fixed_size 0
		.amdhsa_kernarg_size 140
		.amdhsa_user_sgpr_count 6
		.amdhsa_user_sgpr_private_segment_buffer 1
		.amdhsa_user_sgpr_dispatch_ptr 0
		.amdhsa_user_sgpr_queue_ptr 0
		.amdhsa_user_sgpr_kernarg_segment_ptr 1
		.amdhsa_user_sgpr_dispatch_id 0
		.amdhsa_user_sgpr_flat_scratch_init 0
		.amdhsa_user_sgpr_private_segment_size 0
		.amdhsa_wavefront_size32 1
		.amdhsa_uses_dynamic_stack 0
		.amdhsa_system_sgpr_private_segment_wavefront_offset 0
		.amdhsa_system_sgpr_workgroup_id_x 1
		.amdhsa_system_sgpr_workgroup_id_y 1
		.amdhsa_system_sgpr_workgroup_id_z 1
		.amdhsa_system_sgpr_workgroup_info 0
		.amdhsa_system_vgpr_workitem_id 1
		.amdhsa_next_free_vgpr 36
		.amdhsa_next_free_sgpr 24
		.amdhsa_reserve_vcc 1
		.amdhsa_reserve_flat_scratch 0
		.amdhsa_float_round_mode_32 0
		.amdhsa_float_round_mode_16_64 0
		.amdhsa_float_denorm_mode_32 3
		.amdhsa_float_denorm_mode_16_64 3
		.amdhsa_dx10_clamp 1
		.amdhsa_ieee_mode 1
		.amdhsa_fp16_overflow 0
		.amdhsa_workgroup_processor_mode 1
		.amdhsa_memory_ordered 1
		.amdhsa_forward_progress 1
		.amdhsa_shared_vgpr_count 0
		.amdhsa_exception_fp_ieee_invalid_op 0
		.amdhsa_exception_fp_denorm_src 0
		.amdhsa_exception_fp_ieee_div_zero 0
		.amdhsa_exception_fp_ieee_overflow 0
		.amdhsa_exception_fp_ieee_underflow 0
		.amdhsa_exception_fp_ieee_inexact 0
		.amdhsa_exception_int_div_zero 0
	.end_amdhsa_kernel
	.section	.text._ZN12_GLOBAL__N_127rocblas_gemm_batched_kernelIDF16_Li16ELi16ELi64ELi64ELi4ELi64ELi4ELi4ELi64ELc67ELc67EKDF16_S1_DF16_EEvlllT_PT11_llS4_llS2_PT12_llPT13_lli,"axG",@progbits,_ZN12_GLOBAL__N_127rocblas_gemm_batched_kernelIDF16_Li16ELi16ELi64ELi64ELi4ELi64ELi4ELi4ELi64ELc67ELc67EKDF16_S1_DF16_EEvlllT_PT11_llS4_llS2_PT12_llPT13_lli,comdat
.Lfunc_end339:
	.size	_ZN12_GLOBAL__N_127rocblas_gemm_batched_kernelIDF16_Li16ELi16ELi64ELi64ELi4ELi64ELi4ELi4ELi64ELc67ELc67EKDF16_S1_DF16_EEvlllT_PT11_llS4_llS2_PT12_llPT13_lli, .Lfunc_end339-_ZN12_GLOBAL__N_127rocblas_gemm_batched_kernelIDF16_Li16ELi16ELi64ELi64ELi4ELi64ELi4ELi4ELi64ELc67ELc67EKDF16_S1_DF16_EEvlllT_PT11_llS4_llS2_PT12_llPT13_lli
                                        ; -- End function
	.set _ZN12_GLOBAL__N_127rocblas_gemm_batched_kernelIDF16_Li16ELi16ELi64ELi64ELi4ELi64ELi4ELi4ELi64ELc67ELc67EKDF16_S1_DF16_EEvlllT_PT11_llS4_llS2_PT12_llPT13_lli.num_vgpr, 36
	.set _ZN12_GLOBAL__N_127rocblas_gemm_batched_kernelIDF16_Li16ELi16ELi64ELi64ELi4ELi64ELi4ELi4ELi64ELc67ELc67EKDF16_S1_DF16_EEvlllT_PT11_llS4_llS2_PT12_llPT13_lli.num_agpr, 0
	.set _ZN12_GLOBAL__N_127rocblas_gemm_batched_kernelIDF16_Li16ELi16ELi64ELi64ELi4ELi64ELi4ELi4ELi64ELc67ELc67EKDF16_S1_DF16_EEvlllT_PT11_llS4_llS2_PT12_llPT13_lli.numbered_sgpr, 24
	.set _ZN12_GLOBAL__N_127rocblas_gemm_batched_kernelIDF16_Li16ELi16ELi64ELi64ELi4ELi64ELi4ELi4ELi64ELc67ELc67EKDF16_S1_DF16_EEvlllT_PT11_llS4_llS2_PT12_llPT13_lli.num_named_barrier, 0
	.set _ZN12_GLOBAL__N_127rocblas_gemm_batched_kernelIDF16_Li16ELi16ELi64ELi64ELi4ELi64ELi4ELi4ELi64ELc67ELc67EKDF16_S1_DF16_EEvlllT_PT11_llS4_llS2_PT12_llPT13_lli.private_seg_size, 0
	.set _ZN12_GLOBAL__N_127rocblas_gemm_batched_kernelIDF16_Li16ELi16ELi64ELi64ELi4ELi64ELi4ELi4ELi64ELc67ELc67EKDF16_S1_DF16_EEvlllT_PT11_llS4_llS2_PT12_llPT13_lli.uses_vcc, 1
	.set _ZN12_GLOBAL__N_127rocblas_gemm_batched_kernelIDF16_Li16ELi16ELi64ELi64ELi4ELi64ELi4ELi4ELi64ELc67ELc67EKDF16_S1_DF16_EEvlllT_PT11_llS4_llS2_PT12_llPT13_lli.uses_flat_scratch, 0
	.set _ZN12_GLOBAL__N_127rocblas_gemm_batched_kernelIDF16_Li16ELi16ELi64ELi64ELi4ELi64ELi4ELi4ELi64ELc67ELc67EKDF16_S1_DF16_EEvlllT_PT11_llS4_llS2_PT12_llPT13_lli.has_dyn_sized_stack, 0
	.set _ZN12_GLOBAL__N_127rocblas_gemm_batched_kernelIDF16_Li16ELi16ELi64ELi64ELi4ELi64ELi4ELi4ELi64ELc67ELc67EKDF16_S1_DF16_EEvlllT_PT11_llS4_llS2_PT12_llPT13_lli.has_recursion, 0
	.set _ZN12_GLOBAL__N_127rocblas_gemm_batched_kernelIDF16_Li16ELi16ELi64ELi64ELi4ELi64ELi4ELi4ELi64ELc67ELc67EKDF16_S1_DF16_EEvlllT_PT11_llS4_llS2_PT12_llPT13_lli.has_indirect_call, 0
	.section	.AMDGPU.csdata,"",@progbits
; Kernel info:
; codeLenInByte = 2368
; TotalNumSgprs: 26
; NumVgprs: 36
; ScratchSize: 0
; MemoryBound: 0
; FloatMode: 240
; IeeeMode: 1
; LDSByteSize: 1024 bytes/workgroup (compile time only)
; SGPRBlocks: 0
; VGPRBlocks: 4
; NumSGPRsForWavesPerEU: 26
; NumVGPRsForWavesPerEU: 36
; Occupancy: 16
; WaveLimiterHint : 0
; COMPUTE_PGM_RSRC2:SCRATCH_EN: 0
; COMPUTE_PGM_RSRC2:USER_SGPR: 6
; COMPUTE_PGM_RSRC2:TRAP_HANDLER: 0
; COMPUTE_PGM_RSRC2:TGID_X_EN: 1
; COMPUTE_PGM_RSRC2:TGID_Y_EN: 1
; COMPUTE_PGM_RSRC2:TGID_Z_EN: 1
; COMPUTE_PGM_RSRC2:TIDIG_COMP_CNT: 1
	.section	.text._ZN12_GLOBAL__N_127rocblas_gemm_batched_kernelIDF16_Li16ELi16ELi64ELi64ELi4ELi64ELi4ELi4ELi64ELc67ELc78EKDF16_S1_DF16_EEvlllT_PT11_llS4_llS2_PT12_llPT13_lli,"axG",@progbits,_ZN12_GLOBAL__N_127rocblas_gemm_batched_kernelIDF16_Li16ELi16ELi64ELi64ELi4ELi64ELi4ELi4ELi64ELc67ELc78EKDF16_S1_DF16_EEvlllT_PT11_llS4_llS2_PT12_llPT13_lli,comdat
	.globl	_ZN12_GLOBAL__N_127rocblas_gemm_batched_kernelIDF16_Li16ELi16ELi64ELi64ELi4ELi64ELi4ELi4ELi64ELc67ELc78EKDF16_S1_DF16_EEvlllT_PT11_llS4_llS2_PT12_llPT13_lli ; -- Begin function _ZN12_GLOBAL__N_127rocblas_gemm_batched_kernelIDF16_Li16ELi16ELi64ELi64ELi4ELi64ELi4ELi4ELi64ELc67ELc78EKDF16_S1_DF16_EEvlllT_PT11_llS4_llS2_PT12_llPT13_lli
	.p2align	8
	.type	_ZN12_GLOBAL__N_127rocblas_gemm_batched_kernelIDF16_Li16ELi16ELi64ELi64ELi4ELi64ELi4ELi4ELi64ELc67ELc78EKDF16_S1_DF16_EEvlllT_PT11_llS4_llS2_PT12_llPT13_lli,@function
_ZN12_GLOBAL__N_127rocblas_gemm_batched_kernelIDF16_Li16ELi16ELi64ELi64ELi4ELi64ELi4ELi4ELi64ELc67ELc78EKDF16_S1_DF16_EEvlllT_PT11_llS4_llS2_PT12_llPT13_lli: ; @_ZN12_GLOBAL__N_127rocblas_gemm_batched_kernelIDF16_Li16ELi16ELi64ELi64ELi4ELi64ELi4ELi4ELi64ELc67ELc78EKDF16_S1_DF16_EEvlllT_PT11_llS4_llS2_PT12_llPT13_lli
; %bb.0:
	s_load_dwordx2 s[22:23], s[4:5], 0x10
	s_mov_b32 s0, s7
	s_ashr_i32 s7, s6, 31
	s_ashr_i32 s1, s0, 31
	s_lshl_b64 s[10:11], s[6:7], 6
	s_lshl_b64 s[20:21], s[0:1], 6
	s_waitcnt lgkmcnt(0)
	v_cmp_lt_i64_e64 s2, s[22:23], 1
	s_and_b32 vcc_lo, exec_lo, s2
	s_cbranch_vccnz .LBB340_3
; %bb.1:
	s_load_dwordx4 s[0:3], s[4:5], 0x40
	v_lshl_add_u32 v2, v1, 4, v0
	s_load_dwordx8 s[12:19], s[4:5], 0x20
	v_and_b32_e32 v3, 3, v0
	v_lshlrev_b32_e32 v16, 1, v0
	v_lshl_add_u32 v17, v1, 3, 0x200
	v_lshrrev_b32_e32 v4, 2, v2
	v_and_b32_e32 v5, 63, v2
	v_lshrrev_b32_e32 v6, 6, v2
	v_lshlrev_b32_e32 v7, 1, v3
	v_mov_b32_e32 v12, 0
	v_add_co_u32 v2, s6, v4, s20
	v_add_co_ci_u32_e64 v3, null, 0, s21, s6
	v_lshlrev_b32_e32 v8, 1, v5
	v_add_co_u32 v5, s6, s10, v5
	v_lshl_or_b32 v4, v4, 3, v7
	v_add_co_ci_u32_e64 v9, null, s11, 0, s6
	s_waitcnt lgkmcnt(0)
	v_mul_lo_u32 v10, s1, v2
	v_mul_lo_u32 v11, s0, v3
	v_mad_u64_u32 v[2:3], null, s0, v2, 0
	v_lshl_or_b32 v14, v6, 7, v8
	v_add_nc_u32_e32 v15, 0x200, v4
	v_mul_lo_u32 v8, s15, v5
	v_mul_lo_u32 v9, s14, v9
	v_mad_u64_u32 v[4:5], null, s14, v5, 0
	v_add3_u32 v3, v3, v11, v10
	s_mul_i32 s0, s3, s8
	s_mul_hi_u32 s1, s2, s8
	s_mul_hi_u32 s3, s16, s8
	s_add_i32 s1, s1, s0
	v_lshlrev_b64 v[2:3], 1, v[2:3]
	v_add3_u32 v5, v5, v9, v8
	s_mul_i32 s0, s2, s8
	s_mul_i32 s2, s17, s8
	s_lshl_b64 s[0:1], s[0:1], 1
	s_add_i32 s3, s3, s2
	v_lshlrev_b64 v[4:5], 1, v[4:5]
	s_mul_i32 s2, s16, s8
	v_add_co_u32 v2, vcc_lo, v2, s0
	v_add_co_ci_u32_e64 v3, null, s1, v3, vcc_lo
	s_lshl_b64 s[0:1], s[2:3], 1
	v_lshlrev_b32_e32 v6, 1, v6
	v_add_co_u32 v4, vcc_lo, v4, s0
	v_add_co_ci_u32_e64 v5, null, s1, v5, vcc_lo
	v_add_co_u32 v2, vcc_lo, v2, v7
	v_add_co_ci_u32_e64 v3, null, 0, v3, vcc_lo
	;; [unrolled: 2-line block ×5, first 2 shown]
	v_mov_b32_e32 v6, 0
	v_mov_b32_e32 v7, 0
	;; [unrolled: 1-line block ×7, first 2 shown]
	s_mov_b64 s[0:1], 0
.LBB340_2:                              ; =>This Inner Loop Header: Depth=1
	global_load_ushort v18, v[4:5], off
	global_load_ushort v19, v[2:3], off
	s_add_u32 s0, s0, 4
	s_addc_u32 s1, s1, 0
	v_add_co_u32 v2, vcc_lo, v2, 8
	v_cmp_lt_i64_e64 s2, s[0:1], s[22:23]
	v_add_co_ci_u32_e64 v3, null, 0, v3, vcc_lo
	v_add_co_u32 v4, vcc_lo, v4, 8
	v_add_co_ci_u32_e64 v5, null, 0, v5, vcc_lo
	s_and_b32 vcc_lo, exec_lo, s2
	s_waitcnt vmcnt(1)
	ds_write_b16 v14, v18
	s_waitcnt vmcnt(0)
	ds_write_b16 v15, v19
	s_waitcnt lgkmcnt(0)
	s_barrier
	buffer_gl0_inv
	ds_read_u16 v26, v16 offset:32
	ds_read_u16 v27, v16 offset:96
	;; [unrolled: 1-line block ×8, first 2 shown]
	ds_read2_b64 v[18:21], v17 offset1:16
	ds_read2_b64 v[22:25], v17 offset0:32 offset1:48
	s_waitcnt lgkmcnt(9)
	ds_read_u16_d16_hi v26, v16
	s_waitcnt lgkmcnt(9)
	ds_read_u16_d16_hi v27, v16 offset:64
	s_waitcnt lgkmcnt(9)
	ds_read_u16_d16_hi v28, v16 offset:128
	;; [unrolled: 2-line block ×7, first 2 shown]
	s_waitcnt lgkmcnt(0)
	s_barrier
	buffer_gl0_inv
	v_pk_fma_f16 v13, v26, v18, v13 op_sel_hi:[1,0,1]
	v_pk_fma_f16 v12, v27, v18, v12 op_sel_hi:[1,0,1]
	;; [unrolled: 1-line block ×8, first 2 shown]
	v_pk_fma_f16 v13, v28, v18, v13 op_sel:[0,1,0]
	v_pk_fma_f16 v12, v29, v18, v12 op_sel:[0,1,0]
	;; [unrolled: 1-line block ×8, first 2 shown]
	v_pk_fma_f16 v13, v30, v19, v13 op_sel_hi:[1,0,1]
	v_pk_fma_f16 v12, v31, v19, v12 op_sel_hi:[1,0,1]
	;; [unrolled: 1-line block ×8, first 2 shown]
	v_pk_fma_f16 v13, v32, v19, v13 op_sel:[0,1,0]
	v_pk_fma_f16 v12, v33, v19, v12 op_sel:[0,1,0]
	;; [unrolled: 1-line block ×8, first 2 shown]
	s_cbranch_vccnz .LBB340_2
	s_branch .LBB340_4
.LBB340_3:
	v_mov_b32_e32 v13, 0
	v_mov_b32_e32 v12, 0
	;; [unrolled: 1-line block ×8, first 2 shown]
.LBB340_4:
	s_clause 0x3
	s_load_dwordx4 s[12:15], s[4:5], 0x78
	s_load_dword s16, s[4:5], 0x50
	s_load_dword s9, s[4:5], 0x18
	s_load_dwordx8 s[0:7], s[4:5], 0x58
	v_add_co_u32 v17, s17, s20, v1
	v_add_co_ci_u32_e64 v21, null, s21, 0, s17
	v_add_co_u32 v0, s10, s10, v0
	v_add_co_ci_u32_e64 v1, null, s11, 0, s10
	v_lshrrev_b32_e32 v18, 16, v13
	v_lshrrev_b32_e32 v16, 16, v12
	;; [unrolled: 1-line block ×3, first 2 shown]
	v_lshlrev_b64 v[0:1], 1, v[0:1]
	v_lshrrev_b32_e32 v14, 16, v10
	v_lshrrev_b32_e32 v5, 16, v9
	;; [unrolled: 1-line block ×4, first 2 shown]
	s_waitcnt lgkmcnt(0)
	s_mul_i32 s11, s15, s8
	s_mul_hi_u32 s15, s14, s8
	v_mul_lo_u32 v19, v21, s12
	v_mul_lo_u32 v20, v17, s13
	s_mul_i32 s10, s14, s8
	v_cmp_neq_f16_e64 s14, s16, 0
	s_add_i32 s11, s15, s11
	v_lshrrev_b32_e32 v2, 16, v6
	s_lshl_b64 s[10:11], s[10:11], 1
	s_add_u32 s6, s6, s10
	s_addc_u32 s7, s7, s11
	s_and_b32 vcc_lo, exec_lo, s14
	s_mov_b32 s10, 0
	s_cbranch_vccnz .LBB340_8
; %bb.5:
	v_mad_u64_u32 v[22:23], null, v17, s12, 0
	s_lshl_b64 s[14:15], s[12:13], 5
	v_mul_f16_sdwa v26, s9, v13 dst_sel:DWORD dst_unused:UNUSED_PAD src0_sel:DWORD src1_sel:WORD_1
	v_mul_f16_e32 v27, s9, v13
	v_mul_f16_sdwa v28, s9, v12 dst_sel:DWORD dst_unused:UNUSED_PAD src0_sel:DWORD src1_sel:WORD_1
	v_mul_f16_e32 v29, s9, v12
	v_mul_f16_sdwa v30, s9, v11 dst_sel:DWORD dst_unused:UNUSED_PAD src0_sel:DWORD src1_sel:WORD_1
	v_add3_u32 v23, v23, v20, v19
	v_mul_f16_e32 v31, s9, v11
	v_mul_f16_sdwa v32, s9, v10 dst_sel:DWORD dst_unused:UNUSED_PAD src0_sel:DWORD src1_sel:WORD_1
	v_mul_f16_e32 v33, s9, v10
	v_lshlrev_b64 v[22:23], 1, v[22:23]
	v_add_co_u32 v22, vcc_lo, s6, v22
	v_add_co_ci_u32_e64 v23, null, s7, v23, vcc_lo
	v_add_co_u32 v34, vcc_lo, v22, s14
	v_add_co_ci_u32_e64 v35, null, s15, v23, vcc_lo
	;; [unrolled: 2-line block ×4, first 2 shown]
	global_store_short v[22:23], v26, off
	global_store_short v[22:23], v27, off offset:32
	global_store_short v[22:23], v28, off offset:64
	;; [unrolled: 1-line block ×3, first 2 shown]
	global_store_short v[24:25], v30, off
	global_store_short v[24:25], v31, off offset:32
	v_add_co_u32 v26, vcc_lo, v34, s14
	v_add_co_ci_u32_e64 v27, null, s15, v35, vcc_lo
	v_mul_f16_sdwa v28, s9, v9 dst_sel:DWORD dst_unused:UNUSED_PAD src0_sel:DWORD src1_sel:WORD_1
	v_add_co_u32 v22, vcc_lo, v26, v0
	v_add_co_ci_u32_e64 v23, null, v27, v1, vcc_lo
	v_mul_f16_e32 v29, s9, v9
	v_mul_f16_sdwa v30, s9, v8 dst_sel:DWORD dst_unused:UNUSED_PAD src0_sel:DWORD src1_sel:WORD_1
	global_store_short v[24:25], v32, off offset:64
	global_store_short v[24:25], v33, off offset:96
	global_store_short v[22:23], v28, off
	global_store_short v[22:23], v29, off offset:32
	global_store_short v[22:23], v30, off offset:64
	v_add_co_u32 v24, vcc_lo, v26, s14
	v_add_co_ci_u32_e64 v25, null, s15, v27, vcc_lo
	v_mul_f16_e32 v28, s9, v8
	v_add_co_u32 v24, vcc_lo, v24, v0
	v_mul_f16_sdwa v26, s9, v7 dst_sel:DWORD dst_unused:UNUSED_PAD src0_sel:DWORD src1_sel:WORD_1
	v_add_co_ci_u32_e64 v25, null, v25, v1, vcc_lo
	v_mul_f16_e32 v27, s9, v7
	v_mul_f16_sdwa v29, s9, v6 dst_sel:DWORD dst_unused:UNUSED_PAD src0_sel:DWORD src1_sel:WORD_1
	v_mul_f16_e32 v30, s9, v6
	global_store_short v[22:23], v28, off offset:96
	global_store_short v[24:25], v26, off
	global_store_short v[24:25], v27, off offset:32
	global_store_short v[24:25], v29, off offset:64
	;; [unrolled: 1-line block ×3, first 2 shown]
	s_andn2_b32 vcc_lo, exec_lo, s10
	s_cbranch_vccnz .LBB340_7
.LBB340_6:
	v_mul_lo_u32 v23, v21, s2
	v_mul_lo_u32 v24, v17, s3
	v_mad_u64_u32 v[21:22], null, v17, s2, 0
	s_mul_i32 s5, s5, s8
	s_mul_hi_u32 s10, s4, s8
	s_mul_i32 s4, s4, s8
	s_add_i32 s5, s10, s5
	s_lshl_b64 s[4:5], s[4:5], 1
	v_add3_u32 v22, v22, v24, v23
	s_add_u32 s0, s0, s4
	s_addc_u32 s1, s1, s5
	v_mad_u64_u32 v[23:24], null, v17, s12, 0
	v_lshlrev_b64 v[21:22], 1, v[21:22]
	v_add3_u32 v24, v24, v20, v19
	v_add_co_u32 v25, vcc_lo, s0, v21
	v_add_co_ci_u32_e64 v26, null, s1, v22, vcc_lo
	v_lshlrev_b64 v[19:20], 1, v[23:24]
	v_add_co_u32 v21, vcc_lo, v25, v0
	v_add_co_ci_u32_e64 v22, null, v26, v1, vcc_lo
	s_lshl_b64 s[0:1], s[2:3], 5
	v_add_co_u32 v17, vcc_lo, s6, v19
	global_load_ushort v27, v[21:22], off
	v_add_co_ci_u32_e64 v23, null, s7, v20, vcc_lo
	v_add_co_u32 v19, vcc_lo, v17, v0
	s_lshl_b64 s[2:3], s[12:13], 5
	v_add_co_ci_u32_e64 v20, null, v23, v1, vcc_lo
	s_waitcnt vmcnt(0)
	v_mul_f16_e32 v24, s16, v27
	v_fmac_f16_e32 v24, s9, v18
	global_store_short v[19:20], v24, off
	global_load_ushort v18, v[21:22], off offset:32
	s_waitcnt vmcnt(0)
	v_mul_f16_e32 v18, s16, v18
	v_fmac_f16_e32 v18, s9, v13
	global_store_short v[19:20], v18, off offset:32
	global_load_ushort v13, v[21:22], off offset:64
	v_add_co_u32 v18, vcc_lo, v25, s0
	s_waitcnt vmcnt(0)
	v_mul_f16_e32 v13, s16, v13
	v_fmac_f16_e32 v13, s9, v16
	global_store_short v[19:20], v13, off offset:64
	global_load_ushort v13, v[21:22], off offset:96
	v_add_co_ci_u32_e64 v21, null, s1, v26, vcc_lo
	s_waitcnt vmcnt(0)
	v_mul_f16_e32 v16, s16, v13
	v_fmac_f16_e32 v16, s9, v12
	v_add_co_u32 v12, vcc_lo, v18, v0
	v_add_co_ci_u32_e64 v13, null, v21, v1, vcc_lo
	global_store_short v[19:20], v16, off offset:96
	v_add_co_u32 v19, vcc_lo, v17, s2
	global_load_ushort v16, v[12:13], off
	v_add_co_ci_u32_e64 v20, null, s3, v23, vcc_lo
	s_waitcnt vmcnt(0)
	v_mul_f16_e32 v22, s16, v16
	v_add_co_u32 v16, vcc_lo, v19, v0
	v_add_co_ci_u32_e64 v17, null, v20, v1, vcc_lo
	v_fmac_f16_e32 v22, s9, v15
	global_store_short v[16:17], v22, off
	global_load_ushort v15, v[12:13], off offset:32
	s_waitcnt vmcnt(0)
	v_mul_f16_e32 v15, s16, v15
	v_fmac_f16_e32 v15, s9, v11
	global_store_short v[16:17], v15, off offset:32
	global_load_ushort v11, v[12:13], off offset:64
	s_waitcnt vmcnt(0)
	v_mul_f16_e32 v11, s16, v11
	v_fmac_f16_e32 v11, s9, v14
	v_add_co_u32 v14, vcc_lo, v18, s0
	v_add_co_ci_u32_e64 v15, null, s1, v21, vcc_lo
	global_store_short v[16:17], v11, off offset:64
	global_load_ushort v11, v[12:13], off offset:96
	s_waitcnt vmcnt(0)
	v_mul_f16_e32 v12, s16, v11
	v_fmac_f16_e32 v12, s9, v10
	v_add_co_u32 v10, vcc_lo, v14, v0
	v_add_co_ci_u32_e64 v11, null, v15, v1, vcc_lo
	global_store_short v[16:17], v12, off offset:96
	v_add_co_u32 v16, vcc_lo, v19, s2
	global_load_ushort v12, v[10:11], off
	v_add_co_ci_u32_e64 v17, null, s3, v20, vcc_lo
	s_waitcnt vmcnt(0)
	v_mul_f16_e32 v18, s16, v12
	v_add_co_u32 v12, vcc_lo, v16, v0
	v_add_co_ci_u32_e64 v13, null, v17, v1, vcc_lo
	v_fmac_f16_e32 v18, s9, v5
	global_store_short v[12:13], v18, off
	global_load_ushort v5, v[10:11], off offset:32
	s_waitcnt vmcnt(0)
	v_mul_f16_e32 v5, s16, v5
	v_fmac_f16_e32 v5, s9, v9
	global_store_short v[12:13], v5, off offset:32
	global_load_ushort v5, v[10:11], off offset:64
	s_waitcnt vmcnt(0)
	v_mul_f16_e32 v5, s16, v5
	v_fmac_f16_e32 v5, s9, v4
	global_store_short v[12:13], v5, off offset:64
	global_load_ushort v4, v[10:11], off offset:96
	s_waitcnt vmcnt(0)
	v_mul_f16_e32 v9, s16, v4
	v_add_co_u32 v4, vcc_lo, v14, s0
	v_add_co_ci_u32_e64 v5, null, s1, v15, vcc_lo
	v_fmac_f16_e32 v9, s9, v8
	v_add_co_u32 v4, vcc_lo, v4, v0
	v_add_co_ci_u32_e64 v5, null, v5, v1, vcc_lo
	global_store_short v[12:13], v9, off offset:96
	v_add_co_u32 v9, vcc_lo, v16, s2
	global_load_ushort v8, v[4:5], off
	v_add_co_ci_u32_e64 v10, null, s3, v17, vcc_lo
	v_add_co_u32 v0, vcc_lo, v9, v0
	v_add_co_ci_u32_e64 v1, null, v10, v1, vcc_lo
	s_waitcnt vmcnt(0)
	v_mul_f16_e32 v8, s16, v8
	v_fmac_f16_e32 v8, s9, v3
	global_store_short v[0:1], v8, off
	global_load_ushort v3, v[4:5], off offset:32
	s_waitcnt vmcnt(0)
	v_mul_f16_e32 v3, s16, v3
	v_fmac_f16_e32 v3, s9, v7
	global_store_short v[0:1], v3, off offset:32
	global_load_ushort v3, v[4:5], off offset:64
	s_waitcnt vmcnt(0)
	v_mul_f16_e32 v3, s16, v3
	v_fmac_f16_e32 v3, s9, v2
	global_store_short v[0:1], v3, off offset:64
	;; [unrolled: 5-line block ×3, first 2 shown]
.LBB340_7:
	s_endpgm
.LBB340_8:
	s_branch .LBB340_6
	.section	.rodata,"a",@progbits
	.p2align	6, 0x0
	.amdhsa_kernel _ZN12_GLOBAL__N_127rocblas_gemm_batched_kernelIDF16_Li16ELi16ELi64ELi64ELi4ELi64ELi4ELi4ELi64ELc67ELc78EKDF16_S1_DF16_EEvlllT_PT11_llS4_llS2_PT12_llPT13_lli
		.amdhsa_group_segment_fixed_size 1024
		.amdhsa_private_segment_fixed_size 0
		.amdhsa_kernarg_size 140
		.amdhsa_user_sgpr_count 6
		.amdhsa_user_sgpr_private_segment_buffer 1
		.amdhsa_user_sgpr_dispatch_ptr 0
		.amdhsa_user_sgpr_queue_ptr 0
		.amdhsa_user_sgpr_kernarg_segment_ptr 1
		.amdhsa_user_sgpr_dispatch_id 0
		.amdhsa_user_sgpr_flat_scratch_init 0
		.amdhsa_user_sgpr_private_segment_size 0
		.amdhsa_wavefront_size32 1
		.amdhsa_uses_dynamic_stack 0
		.amdhsa_system_sgpr_private_segment_wavefront_offset 0
		.amdhsa_system_sgpr_workgroup_id_x 1
		.amdhsa_system_sgpr_workgroup_id_y 1
		.amdhsa_system_sgpr_workgroup_id_z 1
		.amdhsa_system_sgpr_workgroup_info 0
		.amdhsa_system_vgpr_workitem_id 1
		.amdhsa_next_free_vgpr 36
		.amdhsa_next_free_sgpr 24
		.amdhsa_reserve_vcc 1
		.amdhsa_reserve_flat_scratch 0
		.amdhsa_float_round_mode_32 0
		.amdhsa_float_round_mode_16_64 0
		.amdhsa_float_denorm_mode_32 3
		.amdhsa_float_denorm_mode_16_64 3
		.amdhsa_dx10_clamp 1
		.amdhsa_ieee_mode 1
		.amdhsa_fp16_overflow 0
		.amdhsa_workgroup_processor_mode 1
		.amdhsa_memory_ordered 1
		.amdhsa_forward_progress 1
		.amdhsa_shared_vgpr_count 0
		.amdhsa_exception_fp_ieee_invalid_op 0
		.amdhsa_exception_fp_denorm_src 0
		.amdhsa_exception_fp_ieee_div_zero 0
		.amdhsa_exception_fp_ieee_overflow 0
		.amdhsa_exception_fp_ieee_underflow 0
		.amdhsa_exception_fp_ieee_inexact 0
		.amdhsa_exception_int_div_zero 0
	.end_amdhsa_kernel
	.section	.text._ZN12_GLOBAL__N_127rocblas_gemm_batched_kernelIDF16_Li16ELi16ELi64ELi64ELi4ELi64ELi4ELi4ELi64ELc67ELc78EKDF16_S1_DF16_EEvlllT_PT11_llS4_llS2_PT12_llPT13_lli,"axG",@progbits,_ZN12_GLOBAL__N_127rocblas_gemm_batched_kernelIDF16_Li16ELi16ELi64ELi64ELi4ELi64ELi4ELi4ELi64ELc67ELc78EKDF16_S1_DF16_EEvlllT_PT11_llS4_llS2_PT12_llPT13_lli,comdat
.Lfunc_end340:
	.size	_ZN12_GLOBAL__N_127rocblas_gemm_batched_kernelIDF16_Li16ELi16ELi64ELi64ELi4ELi64ELi4ELi4ELi64ELc67ELc78EKDF16_S1_DF16_EEvlllT_PT11_llS4_llS2_PT12_llPT13_lli, .Lfunc_end340-_ZN12_GLOBAL__N_127rocblas_gemm_batched_kernelIDF16_Li16ELi16ELi64ELi64ELi4ELi64ELi4ELi4ELi64ELc67ELc78EKDF16_S1_DF16_EEvlllT_PT11_llS4_llS2_PT12_llPT13_lli
                                        ; -- End function
	.set _ZN12_GLOBAL__N_127rocblas_gemm_batched_kernelIDF16_Li16ELi16ELi64ELi64ELi4ELi64ELi4ELi4ELi64ELc67ELc78EKDF16_S1_DF16_EEvlllT_PT11_llS4_llS2_PT12_llPT13_lli.num_vgpr, 36
	.set _ZN12_GLOBAL__N_127rocblas_gemm_batched_kernelIDF16_Li16ELi16ELi64ELi64ELi4ELi64ELi4ELi4ELi64ELc67ELc78EKDF16_S1_DF16_EEvlllT_PT11_llS4_llS2_PT12_llPT13_lli.num_agpr, 0
	.set _ZN12_GLOBAL__N_127rocblas_gemm_batched_kernelIDF16_Li16ELi16ELi64ELi64ELi4ELi64ELi4ELi4ELi64ELc67ELc78EKDF16_S1_DF16_EEvlllT_PT11_llS4_llS2_PT12_llPT13_lli.numbered_sgpr, 24
	.set _ZN12_GLOBAL__N_127rocblas_gemm_batched_kernelIDF16_Li16ELi16ELi64ELi64ELi4ELi64ELi4ELi4ELi64ELc67ELc78EKDF16_S1_DF16_EEvlllT_PT11_llS4_llS2_PT12_llPT13_lli.num_named_barrier, 0
	.set _ZN12_GLOBAL__N_127rocblas_gemm_batched_kernelIDF16_Li16ELi16ELi64ELi64ELi4ELi64ELi4ELi4ELi64ELc67ELc78EKDF16_S1_DF16_EEvlllT_PT11_llS4_llS2_PT12_llPT13_lli.private_seg_size, 0
	.set _ZN12_GLOBAL__N_127rocblas_gemm_batched_kernelIDF16_Li16ELi16ELi64ELi64ELi4ELi64ELi4ELi4ELi64ELc67ELc78EKDF16_S1_DF16_EEvlllT_PT11_llS4_llS2_PT12_llPT13_lli.uses_vcc, 1
	.set _ZN12_GLOBAL__N_127rocblas_gemm_batched_kernelIDF16_Li16ELi16ELi64ELi64ELi4ELi64ELi4ELi4ELi64ELc67ELc78EKDF16_S1_DF16_EEvlllT_PT11_llS4_llS2_PT12_llPT13_lli.uses_flat_scratch, 0
	.set _ZN12_GLOBAL__N_127rocblas_gemm_batched_kernelIDF16_Li16ELi16ELi64ELi64ELi4ELi64ELi4ELi4ELi64ELc67ELc78EKDF16_S1_DF16_EEvlllT_PT11_llS4_llS2_PT12_llPT13_lli.has_dyn_sized_stack, 0
	.set _ZN12_GLOBAL__N_127rocblas_gemm_batched_kernelIDF16_Li16ELi16ELi64ELi64ELi4ELi64ELi4ELi4ELi64ELc67ELc78EKDF16_S1_DF16_EEvlllT_PT11_llS4_llS2_PT12_llPT13_lli.has_recursion, 0
	.set _ZN12_GLOBAL__N_127rocblas_gemm_batched_kernelIDF16_Li16ELi16ELi64ELi64ELi4ELi64ELi4ELi4ELi64ELc67ELc78EKDF16_S1_DF16_EEvlllT_PT11_llS4_llS2_PT12_llPT13_lli.has_indirect_call, 0
	.section	.AMDGPU.csdata,"",@progbits
; Kernel info:
; codeLenInByte = 2400
; TotalNumSgprs: 26
; NumVgprs: 36
; ScratchSize: 0
; MemoryBound: 0
; FloatMode: 240
; IeeeMode: 1
; LDSByteSize: 1024 bytes/workgroup (compile time only)
; SGPRBlocks: 0
; VGPRBlocks: 4
; NumSGPRsForWavesPerEU: 26
; NumVGPRsForWavesPerEU: 36
; Occupancy: 16
; WaveLimiterHint : 0
; COMPUTE_PGM_RSRC2:SCRATCH_EN: 0
; COMPUTE_PGM_RSRC2:USER_SGPR: 6
; COMPUTE_PGM_RSRC2:TRAP_HANDLER: 0
; COMPUTE_PGM_RSRC2:TGID_X_EN: 1
; COMPUTE_PGM_RSRC2:TGID_Y_EN: 1
; COMPUTE_PGM_RSRC2:TGID_Z_EN: 1
; COMPUTE_PGM_RSRC2:TIDIG_COMP_CNT: 1
	.section	.text._ZN12_GLOBAL__N_127rocblas_gemm_batched_kernelIDF16_Li16ELi16ELi64ELi64ELi4ELi64ELi4ELi4ELi64ELc67ELc84EKDF16_S1_DF16_EEvlllT_PT11_llS4_llS2_PT12_llPT13_lli,"axG",@progbits,_ZN12_GLOBAL__N_127rocblas_gemm_batched_kernelIDF16_Li16ELi16ELi64ELi64ELi4ELi64ELi4ELi4ELi64ELc67ELc84EKDF16_S1_DF16_EEvlllT_PT11_llS4_llS2_PT12_llPT13_lli,comdat
	.globl	_ZN12_GLOBAL__N_127rocblas_gemm_batched_kernelIDF16_Li16ELi16ELi64ELi64ELi4ELi64ELi4ELi4ELi64ELc67ELc84EKDF16_S1_DF16_EEvlllT_PT11_llS4_llS2_PT12_llPT13_lli ; -- Begin function _ZN12_GLOBAL__N_127rocblas_gemm_batched_kernelIDF16_Li16ELi16ELi64ELi64ELi4ELi64ELi4ELi4ELi64ELc67ELc84EKDF16_S1_DF16_EEvlllT_PT11_llS4_llS2_PT12_llPT13_lli
	.p2align	8
	.type	_ZN12_GLOBAL__N_127rocblas_gemm_batched_kernelIDF16_Li16ELi16ELi64ELi64ELi4ELi64ELi4ELi4ELi64ELc67ELc84EKDF16_S1_DF16_EEvlllT_PT11_llS4_llS2_PT12_llPT13_lli,@function
_ZN12_GLOBAL__N_127rocblas_gemm_batched_kernelIDF16_Li16ELi16ELi64ELi64ELi4ELi64ELi4ELi4ELi64ELc67ELc84EKDF16_S1_DF16_EEvlllT_PT11_llS4_llS2_PT12_llPT13_lli: ; @_ZN12_GLOBAL__N_127rocblas_gemm_batched_kernelIDF16_Li16ELi16ELi64ELi64ELi4ELi64ELi4ELi4ELi64ELc67ELc84EKDF16_S1_DF16_EEvlllT_PT11_llS4_llS2_PT12_llPT13_lli
; %bb.0:
	s_load_dwordx2 s[22:23], s[4:5], 0x10
	s_mov_b32 s0, s7
	v_mov_b32_e32 v3, 0
	s_ashr_i32 s7, s6, 31
	s_ashr_i32 s1, s0, 31
	s_lshl_b64 s[10:11], s[6:7], 6
	s_lshl_b64 s[20:21], s[0:1], 6
	s_waitcnt lgkmcnt(0)
	v_cmp_lt_i64_e64 s2, s[22:23], 1
	s_and_b32 vcc_lo, exec_lo, s2
	s_cbranch_vccnz .LBB341_3
; %bb.1:
	s_clause 0x1
	s_load_dwordx4 s[0:3], s[4:5], 0x40
	s_load_dwordx8 s[12:19], s[4:5], 0x20
	v_lshl_add_u32 v4, v1, 4, v0
	v_and_b32_e32 v8, 3, v0
	v_lshlrev_b32_e32 v14, 1, v0
	v_lshl_add_u32 v15, v1, 3, 0x200
	v_lshrrev_b32_e32 v2, 2, v4
	v_and_b32_e32 v5, 63, v4
	v_lshlrev_b32_e32 v6, 1, v8
	v_lshrrev_b32_e32 v10, 6, v4
	v_lshlrev_b32_e32 v9, 1, v5
	v_lshl_or_b32 v11, v2, 3, v6
	v_add_co_u32 v6, s6, s10, v5
	v_add_co_ci_u32_e64 v7, null, s11, 0, s6
	v_lshl_or_b32 v16, v10, 7, v9
	s_waitcnt lgkmcnt(0)
	v_mad_u64_u32 v[4:5], null, s0, v8, v[2:3]
	v_mul_lo_u32 v12, s15, v6
	v_mul_lo_u32 v13, s14, v7
	v_mad_u64_u32 v[6:7], null, s14, v6, 0
	s_mul_i32 s3, s3, s8
	s_mul_hi_u32 s6, s2, s8
	v_mov_b32_e32 v2, v5
	s_mul_i32 s2, s2, s8
	s_add_i32 s3, s6, s3
	v_add_nc_u32_e32 v17, 0x200, v11
	v_add3_u32 v7, v7, v13, v12
	v_mad_u64_u32 v[8:9], null, s1, v8, v[2:3]
	s_lshl_b64 s[2:3], s[2:3], 1
	v_lshlrev_b32_e32 v2, 1, v10
	s_add_u32 s6, s18, s2
	s_addc_u32 s7, s19, s3
	s_mul_i32 s2, s17, s8
	s_mul_hi_u32 s3, s16, s8
	v_lshlrev_b64 v[5:6], 1, v[6:7]
	v_add_co_u32 v7, vcc_lo, v4, s20
	s_add_i32 s3, s3, s2
	s_mul_i32 s2, s16, s8
	v_add_co_ci_u32_e64 v8, null, s21, v8, vcc_lo
	s_lshl_b64 s[2:3], s[2:3], 1
	v_mov_b32_e32 v10, 0
	v_add_co_u32 v9, vcc_lo, v5, s2
	v_add_co_ci_u32_e64 v6, null, s3, v6, vcc_lo
	v_lshlrev_b64 v[4:5], 1, v[7:8]
	v_add_co_u32 v2, vcc_lo, v9, v2
	v_add_co_ci_u32_e64 v7, null, 0, v6, vcc_lo
	v_mov_b32_e32 v8, 0
	v_add_co_u32 v4, vcc_lo, s6, v4
	v_add_co_ci_u32_e64 v5, null, s7, v5, vcc_lo
	v_add_co_u32 v6, vcc_lo, s12, v2
	v_add_co_ci_u32_e64 v7, null, s13, v7, vcc_lo
	v_mov_b32_e32 v2, 0
	v_mov_b32_e32 v9, 0
	;; [unrolled: 1-line block ×5, first 2 shown]
	s_lshl_b64 s[0:1], s[0:1], 3
	s_mov_b64 s[2:3], 0
.LBB341_2:                              ; =>This Inner Loop Header: Depth=1
	global_load_ushort v18, v[6:7], off
	global_load_ushort v19, v[4:5], off
	s_add_u32 s2, s2, 4
	s_addc_u32 s3, s3, 0
	v_add_co_u32 v4, vcc_lo, v4, s0
	v_cmp_lt_i64_e64 s6, s[2:3], s[22:23]
	v_add_co_ci_u32_e64 v5, null, s1, v5, vcc_lo
	v_add_co_u32 v6, vcc_lo, v6, 8
	v_add_co_ci_u32_e64 v7, null, 0, v7, vcc_lo
	s_and_b32 vcc_lo, exec_lo, s6
	s_waitcnt vmcnt(1)
	ds_write_b16 v16, v18
	s_waitcnt vmcnt(0)
	ds_write_b16 v17, v19
	s_waitcnt lgkmcnt(0)
	s_barrier
	buffer_gl0_inv
	ds_read_u16 v26, v14 offset:32
	ds_read_u16 v27, v14 offset:96
	;; [unrolled: 1-line block ×8, first 2 shown]
	ds_read2_b64 v[18:21], v15 offset1:16
	ds_read2_b64 v[22:25], v15 offset0:32 offset1:48
	s_waitcnt lgkmcnt(9)
	ds_read_u16_d16_hi v26, v14
	s_waitcnt lgkmcnt(9)
	ds_read_u16_d16_hi v27, v14 offset:64
	s_waitcnt lgkmcnt(9)
	ds_read_u16_d16_hi v28, v14 offset:128
	;; [unrolled: 2-line block ×7, first 2 shown]
	s_waitcnt lgkmcnt(0)
	s_barrier
	buffer_gl0_inv
	v_pk_fma_f16 v3, v26, v18, v3 op_sel_hi:[1,0,1]
	v_pk_fma_f16 v13, v27, v18, v13 op_sel_hi:[1,0,1]
	;; [unrolled: 1-line block ×8, first 2 shown]
	v_pk_fma_f16 v3, v28, v18, v3 op_sel:[0,1,0]
	v_pk_fma_f16 v13, v29, v18, v13 op_sel:[0,1,0]
	v_pk_fma_f16 v12, v28, v20, v12 op_sel:[0,1,0]
	v_pk_fma_f16 v11, v29, v20, v11 op_sel:[0,1,0]
	v_pk_fma_f16 v10, v28, v22, v10 op_sel:[0,1,0]
	v_pk_fma_f16 v9, v29, v22, v9 op_sel:[0,1,0]
	v_pk_fma_f16 v8, v28, v24, v8 op_sel:[0,1,0]
	v_pk_fma_f16 v2, v29, v24, v2 op_sel:[0,1,0]
	v_pk_fma_f16 v3, v30, v19, v3 op_sel_hi:[1,0,1]
	v_pk_fma_f16 v13, v31, v19, v13 op_sel_hi:[1,0,1]
	;; [unrolled: 1-line block ×8, first 2 shown]
	v_pk_fma_f16 v3, v32, v19, v3 op_sel:[0,1,0]
	v_pk_fma_f16 v13, v33, v19, v13 op_sel:[0,1,0]
	;; [unrolled: 1-line block ×8, first 2 shown]
	s_cbranch_vccnz .LBB341_2
	s_branch .LBB341_4
.LBB341_3:
	v_mov_b32_e32 v13, 0
	v_mov_b32_e32 v12, 0
	;; [unrolled: 1-line block ×7, first 2 shown]
.LBB341_4:
	s_clause 0x3
	s_load_dwordx4 s[12:15], s[4:5], 0x78
	s_load_dword s16, s[4:5], 0x50
	s_load_dword s9, s[4:5], 0x18
	s_load_dwordx8 s[0:7], s[4:5], 0x58
	v_add_co_u32 v17, s17, s20, v1
	v_add_co_ci_u32_e64 v21, null, s21, 0, s17
	v_add_co_u32 v0, s10, s10, v0
	v_add_co_ci_u32_e64 v1, null, s11, 0, s10
	v_lshrrev_b32_e32 v18, 16, v3
	v_lshrrev_b32_e32 v16, 16, v13
	;; [unrolled: 1-line block ×3, first 2 shown]
	v_lshlrev_b64 v[0:1], 1, v[0:1]
	v_lshrrev_b32_e32 v14, 16, v11
	v_lshrrev_b32_e32 v7, 16, v10
	;; [unrolled: 1-line block ×4, first 2 shown]
	s_waitcnt lgkmcnt(0)
	s_mul_i32 s11, s15, s8
	s_mul_hi_u32 s15, s14, s8
	v_mul_lo_u32 v19, v21, s12
	v_mul_lo_u32 v20, v17, s13
	s_mul_i32 s10, s14, s8
	v_cmp_neq_f16_e64 s14, s16, 0
	s_add_i32 s11, s15, s11
	v_lshrrev_b32_e32 v4, 16, v2
	s_lshl_b64 s[10:11], s[10:11], 1
	s_add_u32 s6, s6, s10
	s_addc_u32 s7, s7, s11
	s_and_b32 vcc_lo, exec_lo, s14
	s_mov_b32 s10, 0
	s_cbranch_vccnz .LBB341_8
; %bb.5:
	v_mad_u64_u32 v[22:23], null, v17, s12, 0
	s_lshl_b64 s[14:15], s[12:13], 5
	v_mul_f16_sdwa v26, s9, v3 dst_sel:DWORD dst_unused:UNUSED_PAD src0_sel:DWORD src1_sel:WORD_1
	v_mul_f16_e32 v27, s9, v3
	v_mul_f16_sdwa v28, s9, v13 dst_sel:DWORD dst_unused:UNUSED_PAD src0_sel:DWORD src1_sel:WORD_1
	v_mul_f16_e32 v29, s9, v13
	v_mul_f16_sdwa v30, s9, v12 dst_sel:DWORD dst_unused:UNUSED_PAD src0_sel:DWORD src1_sel:WORD_1
	v_add3_u32 v23, v23, v20, v19
	v_mul_f16_e32 v31, s9, v12
	v_mul_f16_sdwa v32, s9, v11 dst_sel:DWORD dst_unused:UNUSED_PAD src0_sel:DWORD src1_sel:WORD_1
	v_mul_f16_e32 v33, s9, v11
	v_lshlrev_b64 v[22:23], 1, v[22:23]
	v_add_co_u32 v22, vcc_lo, s6, v22
	v_add_co_ci_u32_e64 v23, null, s7, v23, vcc_lo
	v_add_co_u32 v34, vcc_lo, v22, s14
	v_add_co_ci_u32_e64 v35, null, s15, v23, vcc_lo
	;; [unrolled: 2-line block ×4, first 2 shown]
	global_store_short v[22:23], v26, off
	global_store_short v[22:23], v27, off offset:32
	global_store_short v[22:23], v28, off offset:64
	;; [unrolled: 1-line block ×3, first 2 shown]
	global_store_short v[24:25], v30, off
	global_store_short v[24:25], v31, off offset:32
	v_add_co_u32 v26, vcc_lo, v34, s14
	v_add_co_ci_u32_e64 v27, null, s15, v35, vcc_lo
	v_mul_f16_sdwa v28, s9, v10 dst_sel:DWORD dst_unused:UNUSED_PAD src0_sel:DWORD src1_sel:WORD_1
	v_add_co_u32 v22, vcc_lo, v26, v0
	v_add_co_ci_u32_e64 v23, null, v27, v1, vcc_lo
	v_mul_f16_e32 v29, s9, v10
	v_mul_f16_sdwa v30, s9, v9 dst_sel:DWORD dst_unused:UNUSED_PAD src0_sel:DWORD src1_sel:WORD_1
	global_store_short v[24:25], v32, off offset:64
	global_store_short v[24:25], v33, off offset:96
	global_store_short v[22:23], v28, off
	global_store_short v[22:23], v29, off offset:32
	global_store_short v[22:23], v30, off offset:64
	v_add_co_u32 v24, vcc_lo, v26, s14
	v_add_co_ci_u32_e64 v25, null, s15, v27, vcc_lo
	v_mul_f16_e32 v28, s9, v9
	v_add_co_u32 v24, vcc_lo, v24, v0
	v_mul_f16_sdwa v26, s9, v8 dst_sel:DWORD dst_unused:UNUSED_PAD src0_sel:DWORD src1_sel:WORD_1
	v_add_co_ci_u32_e64 v25, null, v25, v1, vcc_lo
	v_mul_f16_e32 v27, s9, v8
	v_mul_f16_sdwa v29, s9, v2 dst_sel:DWORD dst_unused:UNUSED_PAD src0_sel:DWORD src1_sel:WORD_1
	v_mul_f16_e32 v30, s9, v2
	global_store_short v[22:23], v28, off offset:96
	global_store_short v[24:25], v26, off
	global_store_short v[24:25], v27, off offset:32
	global_store_short v[24:25], v29, off offset:64
	;; [unrolled: 1-line block ×3, first 2 shown]
	s_andn2_b32 vcc_lo, exec_lo, s10
	s_cbranch_vccnz .LBB341_7
.LBB341_6:
	v_mul_lo_u32 v23, v21, s2
	v_mul_lo_u32 v24, v17, s3
	v_mad_u64_u32 v[21:22], null, v17, s2, 0
	s_mul_i32 s5, s5, s8
	s_mul_hi_u32 s10, s4, s8
	s_mul_i32 s4, s4, s8
	s_add_i32 s5, s10, s5
	s_lshl_b64 s[4:5], s[4:5], 1
	v_add3_u32 v22, v22, v24, v23
	s_add_u32 s0, s0, s4
	s_addc_u32 s1, s1, s5
	v_mad_u64_u32 v[23:24], null, v17, s12, 0
	v_lshlrev_b64 v[21:22], 1, v[21:22]
	v_add3_u32 v24, v24, v20, v19
	v_add_co_u32 v25, vcc_lo, s0, v21
	v_add_co_ci_u32_e64 v26, null, s1, v22, vcc_lo
	v_lshlrev_b64 v[19:20], 1, v[23:24]
	v_add_co_u32 v21, vcc_lo, v25, v0
	v_add_co_ci_u32_e64 v22, null, v26, v1, vcc_lo
	s_lshl_b64 s[0:1], s[2:3], 5
	v_add_co_u32 v23, vcc_lo, s6, v19
	global_load_ushort v27, v[21:22], off
	v_add_co_ci_u32_e64 v24, null, s7, v20, vcc_lo
	v_add_co_u32 v19, vcc_lo, v23, v0
	s_lshl_b64 s[2:3], s[12:13], 5
	v_add_co_ci_u32_e64 v20, null, v24, v1, vcc_lo
	s_waitcnt vmcnt(0)
	v_mul_f16_e32 v17, s16, v27
	v_fmac_f16_e32 v17, s9, v18
	global_store_short v[19:20], v17, off
	global_load_ushort v17, v[21:22], off offset:32
	s_waitcnt vmcnt(0)
	v_mul_f16_e32 v17, s16, v17
	v_fmac_f16_e32 v17, s9, v3
	global_store_short v[19:20], v17, off offset:32
	global_load_ushort v3, v[21:22], off offset:64
	s_waitcnt vmcnt(0)
	v_mul_f16_e32 v3, s16, v3
	v_fmac_f16_e32 v3, s9, v16
	global_store_short v[19:20], v3, off offset:64
	global_load_ushort v3, v[21:22], off offset:96
	v_add_co_u32 v21, vcc_lo, v25, s0
	v_add_co_ci_u32_e64 v22, null, s1, v26, vcc_lo
	v_add_co_u32 v16, vcc_lo, v21, v0
	v_add_co_ci_u32_e64 v17, null, v22, v1, vcc_lo
	s_waitcnt vmcnt(0)
	v_mul_f16_e32 v3, s16, v3
	v_fmac_f16_e32 v3, s9, v13
	v_add_co_u32 v13, vcc_lo, v23, s2
	global_store_short v[19:20], v3, off offset:96
	global_load_ushort v3, v[16:17], off
	v_add_co_ci_u32_e64 v20, null, s3, v24, vcc_lo
	v_add_co_u32 v18, vcc_lo, v13, v0
	v_add_co_ci_u32_e64 v19, null, v20, v1, vcc_lo
	s_waitcnt vmcnt(0)
	v_mul_f16_e32 v3, s16, v3
	v_fmac_f16_e32 v3, s9, v15
	v_add_co_u32 v15, vcc_lo, v21, s0
	global_store_short v[18:19], v3, off
	global_load_ushort v3, v[16:17], off offset:32
	s_waitcnt vmcnt(0)
	v_mul_f16_e32 v3, s16, v3
	v_fmac_f16_e32 v3, s9, v12
	global_store_short v[18:19], v3, off offset:32
	global_load_ushort v3, v[16:17], off offset:64
	s_waitcnt vmcnt(0)
	v_mul_f16_e32 v3, s16, v3
	v_fmac_f16_e32 v3, s9, v14
	global_store_short v[18:19], v3, off offset:64
	global_load_ushort v3, v[16:17], off offset:96
	v_add_co_ci_u32_e64 v16, null, s1, v22, vcc_lo
	s_waitcnt vmcnt(0)
	v_mul_f16_e32 v3, s16, v3
	v_fmac_f16_e32 v3, s9, v11
	v_add_co_u32 v11, vcc_lo, v15, v0
	v_add_co_ci_u32_e64 v12, null, v16, v1, vcc_lo
	global_store_short v[18:19], v3, off offset:96
	v_add_co_u32 v17, vcc_lo, v13, s2
	global_load_ushort v3, v[11:12], off
	v_add_co_ci_u32_e64 v18, null, s3, v20, vcc_lo
	v_add_co_u32 v13, vcc_lo, v17, v0
	v_add_co_ci_u32_e64 v14, null, v18, v1, vcc_lo
	s_waitcnt vmcnt(0)
	v_mul_f16_e32 v3, s16, v3
	v_fmac_f16_e32 v3, s9, v7
	global_store_short v[13:14], v3, off
	global_load_ushort v3, v[11:12], off offset:32
	s_waitcnt vmcnt(0)
	v_mul_f16_e32 v3, s16, v3
	v_fmac_f16_e32 v3, s9, v10
	global_store_short v[13:14], v3, off offset:32
	global_load_ushort v3, v[11:12], off offset:64
	s_waitcnt vmcnt(0)
	v_mul_f16_e32 v3, s16, v3
	v_fmac_f16_e32 v3, s9, v6
	v_add_co_u32 v6, vcc_lo, v15, s0
	v_add_co_ci_u32_e64 v7, null, s1, v16, vcc_lo
	global_store_short v[13:14], v3, off offset:64
	global_load_ushort v3, v[11:12], off offset:96
	v_add_co_u32 v6, vcc_lo, v6, v0
	v_add_co_ci_u32_e64 v7, null, v7, v1, vcc_lo
	s_waitcnt vmcnt(0)
	v_mul_f16_e32 v3, s16, v3
	v_fmac_f16_e32 v3, s9, v9
	v_add_co_u32 v9, vcc_lo, v17, s2
	v_add_co_ci_u32_e64 v10, null, s3, v18, vcc_lo
	global_store_short v[13:14], v3, off offset:96
	global_load_ushort v3, v[6:7], off
	v_add_co_u32 v0, vcc_lo, v9, v0
	v_add_co_ci_u32_e64 v1, null, v10, v1, vcc_lo
	s_waitcnt vmcnt(0)
	v_mul_f16_e32 v3, s16, v3
	v_fmac_f16_e32 v3, s9, v5
	global_store_short v[0:1], v3, off
	global_load_ushort v3, v[6:7], off offset:32
	s_waitcnt vmcnt(0)
	v_mul_f16_e32 v3, s16, v3
	v_fmac_f16_e32 v3, s9, v8
	global_store_short v[0:1], v3, off offset:32
	global_load_ushort v3, v[6:7], off offset:64
	s_waitcnt vmcnt(0)
	v_mul_f16_e32 v3, s16, v3
	v_fmac_f16_e32 v3, s9, v4
	global_store_short v[0:1], v3, off offset:64
	;; [unrolled: 5-line block ×3, first 2 shown]
.LBB341_7:
	s_endpgm
.LBB341_8:
	s_branch .LBB341_6
	.section	.rodata,"a",@progbits
	.p2align	6, 0x0
	.amdhsa_kernel _ZN12_GLOBAL__N_127rocblas_gemm_batched_kernelIDF16_Li16ELi16ELi64ELi64ELi4ELi64ELi4ELi4ELi64ELc67ELc84EKDF16_S1_DF16_EEvlllT_PT11_llS4_llS2_PT12_llPT13_lli
		.amdhsa_group_segment_fixed_size 1024
		.amdhsa_private_segment_fixed_size 0
		.amdhsa_kernarg_size 140
		.amdhsa_user_sgpr_count 6
		.amdhsa_user_sgpr_private_segment_buffer 1
		.amdhsa_user_sgpr_dispatch_ptr 0
		.amdhsa_user_sgpr_queue_ptr 0
		.amdhsa_user_sgpr_kernarg_segment_ptr 1
		.amdhsa_user_sgpr_dispatch_id 0
		.amdhsa_user_sgpr_flat_scratch_init 0
		.amdhsa_user_sgpr_private_segment_size 0
		.amdhsa_wavefront_size32 1
		.amdhsa_uses_dynamic_stack 0
		.amdhsa_system_sgpr_private_segment_wavefront_offset 0
		.amdhsa_system_sgpr_workgroup_id_x 1
		.amdhsa_system_sgpr_workgroup_id_y 1
		.amdhsa_system_sgpr_workgroup_id_z 1
		.amdhsa_system_sgpr_workgroup_info 0
		.amdhsa_system_vgpr_workitem_id 1
		.amdhsa_next_free_vgpr 36
		.amdhsa_next_free_sgpr 24
		.amdhsa_reserve_vcc 1
		.amdhsa_reserve_flat_scratch 0
		.amdhsa_float_round_mode_32 0
		.amdhsa_float_round_mode_16_64 0
		.amdhsa_float_denorm_mode_32 3
		.amdhsa_float_denorm_mode_16_64 3
		.amdhsa_dx10_clamp 1
		.amdhsa_ieee_mode 1
		.amdhsa_fp16_overflow 0
		.amdhsa_workgroup_processor_mode 1
		.amdhsa_memory_ordered 1
		.amdhsa_forward_progress 1
		.amdhsa_shared_vgpr_count 0
		.amdhsa_exception_fp_ieee_invalid_op 0
		.amdhsa_exception_fp_denorm_src 0
		.amdhsa_exception_fp_ieee_div_zero 0
		.amdhsa_exception_fp_ieee_overflow 0
		.amdhsa_exception_fp_ieee_underflow 0
		.amdhsa_exception_fp_ieee_inexact 0
		.amdhsa_exception_int_div_zero 0
	.end_amdhsa_kernel
	.section	.text._ZN12_GLOBAL__N_127rocblas_gemm_batched_kernelIDF16_Li16ELi16ELi64ELi64ELi4ELi64ELi4ELi4ELi64ELc67ELc84EKDF16_S1_DF16_EEvlllT_PT11_llS4_llS2_PT12_llPT13_lli,"axG",@progbits,_ZN12_GLOBAL__N_127rocblas_gemm_batched_kernelIDF16_Li16ELi16ELi64ELi64ELi4ELi64ELi4ELi4ELi64ELc67ELc84EKDF16_S1_DF16_EEvlllT_PT11_llS4_llS2_PT12_llPT13_lli,comdat
.Lfunc_end341:
	.size	_ZN12_GLOBAL__N_127rocblas_gemm_batched_kernelIDF16_Li16ELi16ELi64ELi64ELi4ELi64ELi4ELi4ELi64ELc67ELc84EKDF16_S1_DF16_EEvlllT_PT11_llS4_llS2_PT12_llPT13_lli, .Lfunc_end341-_ZN12_GLOBAL__N_127rocblas_gemm_batched_kernelIDF16_Li16ELi16ELi64ELi64ELi4ELi64ELi4ELi4ELi64ELc67ELc84EKDF16_S1_DF16_EEvlllT_PT11_llS4_llS2_PT12_llPT13_lli
                                        ; -- End function
	.set _ZN12_GLOBAL__N_127rocblas_gemm_batched_kernelIDF16_Li16ELi16ELi64ELi64ELi4ELi64ELi4ELi4ELi64ELc67ELc84EKDF16_S1_DF16_EEvlllT_PT11_llS4_llS2_PT12_llPT13_lli.num_vgpr, 36
	.set _ZN12_GLOBAL__N_127rocblas_gemm_batched_kernelIDF16_Li16ELi16ELi64ELi64ELi4ELi64ELi4ELi4ELi64ELc67ELc84EKDF16_S1_DF16_EEvlllT_PT11_llS4_llS2_PT12_llPT13_lli.num_agpr, 0
	.set _ZN12_GLOBAL__N_127rocblas_gemm_batched_kernelIDF16_Li16ELi16ELi64ELi64ELi4ELi64ELi4ELi4ELi64ELc67ELc84EKDF16_S1_DF16_EEvlllT_PT11_llS4_llS2_PT12_llPT13_lli.numbered_sgpr, 24
	.set _ZN12_GLOBAL__N_127rocblas_gemm_batched_kernelIDF16_Li16ELi16ELi64ELi64ELi4ELi64ELi4ELi4ELi64ELc67ELc84EKDF16_S1_DF16_EEvlllT_PT11_llS4_llS2_PT12_llPT13_lli.num_named_barrier, 0
	.set _ZN12_GLOBAL__N_127rocblas_gemm_batched_kernelIDF16_Li16ELi16ELi64ELi64ELi4ELi64ELi4ELi4ELi64ELc67ELc84EKDF16_S1_DF16_EEvlllT_PT11_llS4_llS2_PT12_llPT13_lli.private_seg_size, 0
	.set _ZN12_GLOBAL__N_127rocblas_gemm_batched_kernelIDF16_Li16ELi16ELi64ELi64ELi4ELi64ELi4ELi4ELi64ELc67ELc84EKDF16_S1_DF16_EEvlllT_PT11_llS4_llS2_PT12_llPT13_lli.uses_vcc, 1
	.set _ZN12_GLOBAL__N_127rocblas_gemm_batched_kernelIDF16_Li16ELi16ELi64ELi64ELi4ELi64ELi4ELi4ELi64ELc67ELc84EKDF16_S1_DF16_EEvlllT_PT11_llS4_llS2_PT12_llPT13_lli.uses_flat_scratch, 0
	.set _ZN12_GLOBAL__N_127rocblas_gemm_batched_kernelIDF16_Li16ELi16ELi64ELi64ELi4ELi64ELi4ELi4ELi64ELc67ELc84EKDF16_S1_DF16_EEvlllT_PT11_llS4_llS2_PT12_llPT13_lli.has_dyn_sized_stack, 0
	.set _ZN12_GLOBAL__N_127rocblas_gemm_batched_kernelIDF16_Li16ELi16ELi64ELi64ELi4ELi64ELi4ELi4ELi64ELc67ELc84EKDF16_S1_DF16_EEvlllT_PT11_llS4_llS2_PT12_llPT13_lli.has_recursion, 0
	.set _ZN12_GLOBAL__N_127rocblas_gemm_batched_kernelIDF16_Li16ELi16ELi64ELi64ELi4ELi64ELi4ELi4ELi64ELc67ELc84EKDF16_S1_DF16_EEvlllT_PT11_llS4_llS2_PT12_llPT13_lli.has_indirect_call, 0
	.section	.AMDGPU.csdata,"",@progbits
; Kernel info:
; codeLenInByte = 2368
; TotalNumSgprs: 26
; NumVgprs: 36
; ScratchSize: 0
; MemoryBound: 0
; FloatMode: 240
; IeeeMode: 1
; LDSByteSize: 1024 bytes/workgroup (compile time only)
; SGPRBlocks: 0
; VGPRBlocks: 4
; NumSGPRsForWavesPerEU: 26
; NumVGPRsForWavesPerEU: 36
; Occupancy: 16
; WaveLimiterHint : 0
; COMPUTE_PGM_RSRC2:SCRATCH_EN: 0
; COMPUTE_PGM_RSRC2:USER_SGPR: 6
; COMPUTE_PGM_RSRC2:TRAP_HANDLER: 0
; COMPUTE_PGM_RSRC2:TGID_X_EN: 1
; COMPUTE_PGM_RSRC2:TGID_Y_EN: 1
; COMPUTE_PGM_RSRC2:TGID_Z_EN: 1
; COMPUTE_PGM_RSRC2:TIDIG_COMP_CNT: 1
	.section	.text._ZN12_GLOBAL__N_127rocblas_gemm_batched_kernelIDF16_Li16ELi16ELi64ELi64ELi4ELi64ELi4ELi4ELi64ELc78ELc67EKDF16_S1_DF16_EEvlllT_PT11_llS4_llS2_PT12_llPT13_lli,"axG",@progbits,_ZN12_GLOBAL__N_127rocblas_gemm_batched_kernelIDF16_Li16ELi16ELi64ELi64ELi4ELi64ELi4ELi4ELi64ELc78ELc67EKDF16_S1_DF16_EEvlllT_PT11_llS4_llS2_PT12_llPT13_lli,comdat
	.globl	_ZN12_GLOBAL__N_127rocblas_gemm_batched_kernelIDF16_Li16ELi16ELi64ELi64ELi4ELi64ELi4ELi4ELi64ELc78ELc67EKDF16_S1_DF16_EEvlllT_PT11_llS4_llS2_PT12_llPT13_lli ; -- Begin function _ZN12_GLOBAL__N_127rocblas_gemm_batched_kernelIDF16_Li16ELi16ELi64ELi64ELi4ELi64ELi4ELi4ELi64ELc78ELc67EKDF16_S1_DF16_EEvlllT_PT11_llS4_llS2_PT12_llPT13_lli
	.p2align	8
	.type	_ZN12_GLOBAL__N_127rocblas_gemm_batched_kernelIDF16_Li16ELi16ELi64ELi64ELi4ELi64ELi4ELi4ELi64ELc78ELc67EKDF16_S1_DF16_EEvlllT_PT11_llS4_llS2_PT12_llPT13_lli,@function
_ZN12_GLOBAL__N_127rocblas_gemm_batched_kernelIDF16_Li16ELi16ELi64ELi64ELi4ELi64ELi4ELi4ELi64ELc78ELc67EKDF16_S1_DF16_EEvlllT_PT11_llS4_llS2_PT12_llPT13_lli: ; @_ZN12_GLOBAL__N_127rocblas_gemm_batched_kernelIDF16_Li16ELi16ELi64ELi64ELi4ELi64ELi4ELi4ELi64ELc78ELc67EKDF16_S1_DF16_EEvlllT_PT11_llS4_llS2_PT12_llPT13_lli
; %bb.0:
	s_load_dwordx2 s[22:23], s[4:5], 0x10
	s_mov_b32 s0, s7
	v_mov_b32_e32 v3, 0
	s_ashr_i32 s7, s6, 31
	s_ashr_i32 s1, s0, 31
	s_lshl_b64 s[10:11], s[6:7], 6
	s_lshl_b64 s[20:21], s[0:1], 6
	s_waitcnt lgkmcnt(0)
	v_cmp_lt_i64_e64 s2, s[22:23], 1
	s_and_b32 vcc_lo, exec_lo, s2
	s_cbranch_vccnz .LBB342_3
; %bb.1:
	s_clause 0x1
	s_load_dwordx4 s[0:3], s[4:5], 0x40
	s_load_dwordx8 s[12:19], s[4:5], 0x20
	v_lshl_add_u32 v4, v1, 4, v0
	v_and_b32_e32 v8, 3, v0
	v_lshlrev_b32_e32 v14, 1, v0
	v_lshl_add_u32 v15, v1, 3, 0x200
	v_mov_b32_e32 v12, 0
	v_and_b32_e32 v10, 63, v4
	v_lshrrev_b32_e32 v2, 2, v4
	v_lshrrev_b32_e32 v9, 6, v4
	v_lshlrev_b32_e32 v4, 1, v8
	v_mov_b32_e32 v13, 0
	v_lshlrev_b32_e32 v5, 1, v10
	v_lshl_or_b32 v11, v2, 3, v4
	v_lshl_or_b32 v16, v9, 7, v5
	v_add_nc_u32_e32 v17, 0x200, v11
	s_waitcnt lgkmcnt(0)
	v_mad_u64_u32 v[4:5], null, s0, v8, v[2:3]
	v_mad_u64_u32 v[6:7], null, s14, v9, s[10:11]
	s_mul_i32 s3, s3, s8
	s_mul_hi_u32 s6, s2, s8
	s_mul_i32 s2, s2, s8
	s_add_i32 s3, s6, s3
	v_mov_b32_e32 v2, v5
	v_add_co_u32 v4, vcc_lo, v4, s20
	v_mov_b32_e32 v5, v7
	s_lshl_b64 s[2:3], s[2:3], 1
	v_mad_u64_u32 v[7:8], null, s1, v8, v[2:3]
	s_mul_i32 s7, s17, s8
	v_mad_u64_u32 v[8:9], null, s15, v9, v[5:6]
	s_mul_hi_u32 s9, s16, s8
	s_mul_i32 s6, s16, s8
	s_add_u32 s16, s18, s2
	v_add_co_ci_u32_e64 v5, null, s21, v7, vcc_lo
	v_add_co_u32 v6, vcc_lo, v6, v10
	v_add_co_ci_u32_e64 v7, null, 0, v8, vcc_lo
	v_lshlrev_b64 v[4:5], 1, v[4:5]
	s_addc_u32 s17, s19, s3
	s_add_i32 s7, s9, s7
	v_lshlrev_b64 v[6:7], 1, v[6:7]
	s_lshl_b64 s[2:3], s[6:7], 1
	s_lshl_b64 s[0:1], s[0:1], 3
	s_add_u32 s2, s12, s2
	v_add_co_u32 v4, vcc_lo, s16, v4
	s_addc_u32 s3, s13, s3
	v_add_co_ci_u32_e64 v5, null, s17, v5, vcc_lo
	v_add_co_u32 v6, vcc_lo, s2, v6
	v_add_co_ci_u32_e64 v7, null, s3, v7, vcc_lo
	v_mov_b32_e32 v2, 0
	v_mov_b32_e32 v8, 0
	;; [unrolled: 1-line block ×5, first 2 shown]
	s_lshl_b64 s[2:3], s[14:15], 3
	s_mov_b64 s[6:7], 0
.LBB342_2:                              ; =>This Inner Loop Header: Depth=1
	global_load_ushort v18, v[6:7], off
	global_load_ushort v19, v[4:5], off
	s_add_u32 s6, s6, 4
	s_addc_u32 s7, s7, 0
	v_add_co_u32 v4, vcc_lo, v4, s0
	v_cmp_lt_i64_e64 s9, s[6:7], s[22:23]
	v_add_co_ci_u32_e64 v5, null, s1, v5, vcc_lo
	v_add_co_u32 v6, vcc_lo, v6, s2
	v_add_co_ci_u32_e64 v7, null, s3, v7, vcc_lo
	s_and_b32 vcc_lo, exec_lo, s9
	s_waitcnt vmcnt(1)
	ds_write_b16 v16, v18
	s_waitcnt vmcnt(0)
	ds_write_b16 v17, v19
	s_waitcnt lgkmcnt(0)
	s_barrier
	buffer_gl0_inv
	ds_read_u16 v26, v14 offset:32
	ds_read_u16 v27, v14 offset:96
	;; [unrolled: 1-line block ×8, first 2 shown]
	ds_read2_b64 v[18:21], v15 offset1:16
	ds_read2_b64 v[22:25], v15 offset0:32 offset1:48
	s_waitcnt lgkmcnt(9)
	ds_read_u16_d16_hi v26, v14
	s_waitcnt lgkmcnt(9)
	ds_read_u16_d16_hi v27, v14 offset:64
	s_waitcnt lgkmcnt(9)
	ds_read_u16_d16_hi v28, v14 offset:128
	;; [unrolled: 2-line block ×7, first 2 shown]
	s_waitcnt lgkmcnt(0)
	s_barrier
	buffer_gl0_inv
	v_pk_fma_f16 v3, v26, v18, v3 op_sel_hi:[1,0,1]
	v_pk_fma_f16 v13, v27, v18, v13 op_sel_hi:[1,0,1]
	;; [unrolled: 1-line block ×8, first 2 shown]
	v_pk_fma_f16 v3, v28, v18, v3 op_sel:[0,1,0]
	v_pk_fma_f16 v13, v29, v18, v13 op_sel:[0,1,0]
	v_pk_fma_f16 v12, v28, v20, v12 op_sel:[0,1,0]
	v_pk_fma_f16 v11, v29, v20, v11 op_sel:[0,1,0]
	v_pk_fma_f16 v10, v28, v22, v10 op_sel:[0,1,0]
	v_pk_fma_f16 v9, v29, v22, v9 op_sel:[0,1,0]
	v_pk_fma_f16 v8, v28, v24, v8 op_sel:[0,1,0]
	v_pk_fma_f16 v2, v29, v24, v2 op_sel:[0,1,0]
	v_pk_fma_f16 v3, v30, v19, v3 op_sel_hi:[1,0,1]
	v_pk_fma_f16 v13, v31, v19, v13 op_sel_hi:[1,0,1]
	;; [unrolled: 1-line block ×8, first 2 shown]
	v_pk_fma_f16 v3, v32, v19, v3 op_sel:[0,1,0]
	v_pk_fma_f16 v13, v33, v19, v13 op_sel:[0,1,0]
	;; [unrolled: 1-line block ×8, first 2 shown]
	s_cbranch_vccnz .LBB342_2
	s_branch .LBB342_4
.LBB342_3:
	v_mov_b32_e32 v13, 0
	v_mov_b32_e32 v12, 0
	;; [unrolled: 1-line block ×7, first 2 shown]
.LBB342_4:
	s_clause 0x3
	s_load_dwordx4 s[12:15], s[4:5], 0x78
	s_load_dword s16, s[4:5], 0x50
	s_load_dword s9, s[4:5], 0x18
	s_load_dwordx8 s[0:7], s[4:5], 0x58
	v_add_co_u32 v17, s17, s20, v1
	v_add_co_ci_u32_e64 v21, null, s21, 0, s17
	v_add_co_u32 v0, s10, s10, v0
	v_add_co_ci_u32_e64 v1, null, s11, 0, s10
	v_lshrrev_b32_e32 v18, 16, v3
	v_lshrrev_b32_e32 v16, 16, v13
	;; [unrolled: 1-line block ×3, first 2 shown]
	v_lshlrev_b64 v[0:1], 1, v[0:1]
	v_lshrrev_b32_e32 v14, 16, v11
	v_lshrrev_b32_e32 v7, 16, v10
	;; [unrolled: 1-line block ×4, first 2 shown]
	s_waitcnt lgkmcnt(0)
	s_mul_i32 s11, s15, s8
	s_mul_hi_u32 s15, s14, s8
	v_mul_lo_u32 v19, v21, s12
	v_mul_lo_u32 v20, v17, s13
	s_mul_i32 s10, s14, s8
	v_cmp_neq_f16_e64 s14, s16, 0
	s_add_i32 s11, s15, s11
	v_lshrrev_b32_e32 v4, 16, v2
	s_lshl_b64 s[10:11], s[10:11], 1
	s_add_u32 s6, s6, s10
	s_addc_u32 s7, s7, s11
	s_and_b32 vcc_lo, exec_lo, s14
	s_mov_b32 s10, 0
	s_cbranch_vccnz .LBB342_8
; %bb.5:
	v_mad_u64_u32 v[22:23], null, v17, s12, 0
	s_lshl_b64 s[14:15], s[12:13], 5
	v_mul_f16_sdwa v26, s9, v3 dst_sel:DWORD dst_unused:UNUSED_PAD src0_sel:DWORD src1_sel:WORD_1
	v_mul_f16_e32 v27, s9, v3
	v_mul_f16_sdwa v28, s9, v13 dst_sel:DWORD dst_unused:UNUSED_PAD src0_sel:DWORD src1_sel:WORD_1
	v_mul_f16_e32 v29, s9, v13
	v_mul_f16_sdwa v30, s9, v12 dst_sel:DWORD dst_unused:UNUSED_PAD src0_sel:DWORD src1_sel:WORD_1
	v_add3_u32 v23, v23, v20, v19
	v_mul_f16_e32 v31, s9, v12
	v_mul_f16_sdwa v32, s9, v11 dst_sel:DWORD dst_unused:UNUSED_PAD src0_sel:DWORD src1_sel:WORD_1
	v_mul_f16_e32 v33, s9, v11
	v_lshlrev_b64 v[22:23], 1, v[22:23]
	v_add_co_u32 v22, vcc_lo, s6, v22
	v_add_co_ci_u32_e64 v23, null, s7, v23, vcc_lo
	v_add_co_u32 v34, vcc_lo, v22, s14
	v_add_co_ci_u32_e64 v35, null, s15, v23, vcc_lo
	;; [unrolled: 2-line block ×4, first 2 shown]
	global_store_short v[22:23], v26, off
	global_store_short v[22:23], v27, off offset:32
	global_store_short v[22:23], v28, off offset:64
	;; [unrolled: 1-line block ×3, first 2 shown]
	global_store_short v[24:25], v30, off
	global_store_short v[24:25], v31, off offset:32
	v_add_co_u32 v26, vcc_lo, v34, s14
	v_add_co_ci_u32_e64 v27, null, s15, v35, vcc_lo
	v_mul_f16_sdwa v28, s9, v10 dst_sel:DWORD dst_unused:UNUSED_PAD src0_sel:DWORD src1_sel:WORD_1
	v_add_co_u32 v22, vcc_lo, v26, v0
	v_add_co_ci_u32_e64 v23, null, v27, v1, vcc_lo
	v_mul_f16_e32 v29, s9, v10
	v_mul_f16_sdwa v30, s9, v9 dst_sel:DWORD dst_unused:UNUSED_PAD src0_sel:DWORD src1_sel:WORD_1
	global_store_short v[24:25], v32, off offset:64
	global_store_short v[24:25], v33, off offset:96
	global_store_short v[22:23], v28, off
	global_store_short v[22:23], v29, off offset:32
	global_store_short v[22:23], v30, off offset:64
	v_add_co_u32 v24, vcc_lo, v26, s14
	v_add_co_ci_u32_e64 v25, null, s15, v27, vcc_lo
	v_mul_f16_e32 v28, s9, v9
	v_add_co_u32 v24, vcc_lo, v24, v0
	v_mul_f16_sdwa v26, s9, v8 dst_sel:DWORD dst_unused:UNUSED_PAD src0_sel:DWORD src1_sel:WORD_1
	v_add_co_ci_u32_e64 v25, null, v25, v1, vcc_lo
	v_mul_f16_e32 v27, s9, v8
	v_mul_f16_sdwa v29, s9, v2 dst_sel:DWORD dst_unused:UNUSED_PAD src0_sel:DWORD src1_sel:WORD_1
	v_mul_f16_e32 v30, s9, v2
	global_store_short v[22:23], v28, off offset:96
	global_store_short v[24:25], v26, off
	global_store_short v[24:25], v27, off offset:32
	global_store_short v[24:25], v29, off offset:64
	;; [unrolled: 1-line block ×3, first 2 shown]
	s_andn2_b32 vcc_lo, exec_lo, s10
	s_cbranch_vccnz .LBB342_7
.LBB342_6:
	v_mul_lo_u32 v23, v21, s2
	v_mul_lo_u32 v24, v17, s3
	v_mad_u64_u32 v[21:22], null, v17, s2, 0
	s_mul_i32 s5, s5, s8
	s_mul_hi_u32 s10, s4, s8
	s_mul_i32 s4, s4, s8
	s_add_i32 s5, s10, s5
	s_lshl_b64 s[4:5], s[4:5], 1
	v_add3_u32 v22, v22, v24, v23
	s_add_u32 s0, s0, s4
	s_addc_u32 s1, s1, s5
	v_mad_u64_u32 v[23:24], null, v17, s12, 0
	v_lshlrev_b64 v[21:22], 1, v[21:22]
	v_add3_u32 v24, v24, v20, v19
	v_add_co_u32 v25, vcc_lo, s0, v21
	v_add_co_ci_u32_e64 v26, null, s1, v22, vcc_lo
	v_lshlrev_b64 v[19:20], 1, v[23:24]
	v_add_co_u32 v21, vcc_lo, v25, v0
	v_add_co_ci_u32_e64 v22, null, v26, v1, vcc_lo
	s_lshl_b64 s[0:1], s[2:3], 5
	v_add_co_u32 v23, vcc_lo, s6, v19
	global_load_ushort v27, v[21:22], off
	v_add_co_ci_u32_e64 v24, null, s7, v20, vcc_lo
	v_add_co_u32 v19, vcc_lo, v23, v0
	s_lshl_b64 s[2:3], s[12:13], 5
	v_add_co_ci_u32_e64 v20, null, v24, v1, vcc_lo
	s_waitcnt vmcnt(0)
	v_mul_f16_e32 v17, s16, v27
	v_fmac_f16_e32 v17, s9, v18
	global_store_short v[19:20], v17, off
	global_load_ushort v17, v[21:22], off offset:32
	s_waitcnt vmcnt(0)
	v_mul_f16_e32 v17, s16, v17
	v_fmac_f16_e32 v17, s9, v3
	global_store_short v[19:20], v17, off offset:32
	global_load_ushort v3, v[21:22], off offset:64
	s_waitcnt vmcnt(0)
	v_mul_f16_e32 v3, s16, v3
	v_fmac_f16_e32 v3, s9, v16
	global_store_short v[19:20], v3, off offset:64
	global_load_ushort v3, v[21:22], off offset:96
	v_add_co_u32 v21, vcc_lo, v25, s0
	v_add_co_ci_u32_e64 v22, null, s1, v26, vcc_lo
	v_add_co_u32 v16, vcc_lo, v21, v0
	v_add_co_ci_u32_e64 v17, null, v22, v1, vcc_lo
	s_waitcnt vmcnt(0)
	v_mul_f16_e32 v3, s16, v3
	v_fmac_f16_e32 v3, s9, v13
	v_add_co_u32 v13, vcc_lo, v23, s2
	global_store_short v[19:20], v3, off offset:96
	global_load_ushort v3, v[16:17], off
	v_add_co_ci_u32_e64 v20, null, s3, v24, vcc_lo
	v_add_co_u32 v18, vcc_lo, v13, v0
	v_add_co_ci_u32_e64 v19, null, v20, v1, vcc_lo
	s_waitcnt vmcnt(0)
	v_mul_f16_e32 v3, s16, v3
	v_fmac_f16_e32 v3, s9, v15
	v_add_co_u32 v15, vcc_lo, v21, s0
	global_store_short v[18:19], v3, off
	global_load_ushort v3, v[16:17], off offset:32
	s_waitcnt vmcnt(0)
	v_mul_f16_e32 v3, s16, v3
	v_fmac_f16_e32 v3, s9, v12
	global_store_short v[18:19], v3, off offset:32
	global_load_ushort v3, v[16:17], off offset:64
	s_waitcnt vmcnt(0)
	v_mul_f16_e32 v3, s16, v3
	v_fmac_f16_e32 v3, s9, v14
	global_store_short v[18:19], v3, off offset:64
	global_load_ushort v3, v[16:17], off offset:96
	v_add_co_ci_u32_e64 v16, null, s1, v22, vcc_lo
	s_waitcnt vmcnt(0)
	v_mul_f16_e32 v3, s16, v3
	v_fmac_f16_e32 v3, s9, v11
	v_add_co_u32 v11, vcc_lo, v15, v0
	v_add_co_ci_u32_e64 v12, null, v16, v1, vcc_lo
	global_store_short v[18:19], v3, off offset:96
	v_add_co_u32 v17, vcc_lo, v13, s2
	global_load_ushort v3, v[11:12], off
	v_add_co_ci_u32_e64 v18, null, s3, v20, vcc_lo
	v_add_co_u32 v13, vcc_lo, v17, v0
	v_add_co_ci_u32_e64 v14, null, v18, v1, vcc_lo
	s_waitcnt vmcnt(0)
	v_mul_f16_e32 v3, s16, v3
	v_fmac_f16_e32 v3, s9, v7
	global_store_short v[13:14], v3, off
	global_load_ushort v3, v[11:12], off offset:32
	s_waitcnt vmcnt(0)
	v_mul_f16_e32 v3, s16, v3
	v_fmac_f16_e32 v3, s9, v10
	global_store_short v[13:14], v3, off offset:32
	global_load_ushort v3, v[11:12], off offset:64
	s_waitcnt vmcnt(0)
	v_mul_f16_e32 v3, s16, v3
	v_fmac_f16_e32 v3, s9, v6
	v_add_co_u32 v6, vcc_lo, v15, s0
	v_add_co_ci_u32_e64 v7, null, s1, v16, vcc_lo
	global_store_short v[13:14], v3, off offset:64
	global_load_ushort v3, v[11:12], off offset:96
	v_add_co_u32 v6, vcc_lo, v6, v0
	v_add_co_ci_u32_e64 v7, null, v7, v1, vcc_lo
	s_waitcnt vmcnt(0)
	v_mul_f16_e32 v3, s16, v3
	v_fmac_f16_e32 v3, s9, v9
	v_add_co_u32 v9, vcc_lo, v17, s2
	v_add_co_ci_u32_e64 v10, null, s3, v18, vcc_lo
	global_store_short v[13:14], v3, off offset:96
	global_load_ushort v3, v[6:7], off
	v_add_co_u32 v0, vcc_lo, v9, v0
	v_add_co_ci_u32_e64 v1, null, v10, v1, vcc_lo
	s_waitcnt vmcnt(0)
	v_mul_f16_e32 v3, s16, v3
	v_fmac_f16_e32 v3, s9, v5
	global_store_short v[0:1], v3, off
	global_load_ushort v3, v[6:7], off offset:32
	s_waitcnt vmcnt(0)
	v_mul_f16_e32 v3, s16, v3
	v_fmac_f16_e32 v3, s9, v8
	global_store_short v[0:1], v3, off offset:32
	global_load_ushort v3, v[6:7], off offset:64
	s_waitcnt vmcnt(0)
	v_mul_f16_e32 v3, s16, v3
	v_fmac_f16_e32 v3, s9, v4
	global_store_short v[0:1], v3, off offset:64
	;; [unrolled: 5-line block ×3, first 2 shown]
.LBB342_7:
	s_endpgm
.LBB342_8:
	s_branch .LBB342_6
	.section	.rodata,"a",@progbits
	.p2align	6, 0x0
	.amdhsa_kernel _ZN12_GLOBAL__N_127rocblas_gemm_batched_kernelIDF16_Li16ELi16ELi64ELi64ELi4ELi64ELi4ELi4ELi64ELc78ELc67EKDF16_S1_DF16_EEvlllT_PT11_llS4_llS2_PT12_llPT13_lli
		.amdhsa_group_segment_fixed_size 1024
		.amdhsa_private_segment_fixed_size 0
		.amdhsa_kernarg_size 140
		.amdhsa_user_sgpr_count 6
		.amdhsa_user_sgpr_private_segment_buffer 1
		.amdhsa_user_sgpr_dispatch_ptr 0
		.amdhsa_user_sgpr_queue_ptr 0
		.amdhsa_user_sgpr_kernarg_segment_ptr 1
		.amdhsa_user_sgpr_dispatch_id 0
		.amdhsa_user_sgpr_flat_scratch_init 0
		.amdhsa_user_sgpr_private_segment_size 0
		.amdhsa_wavefront_size32 1
		.amdhsa_uses_dynamic_stack 0
		.amdhsa_system_sgpr_private_segment_wavefront_offset 0
		.amdhsa_system_sgpr_workgroup_id_x 1
		.amdhsa_system_sgpr_workgroup_id_y 1
		.amdhsa_system_sgpr_workgroup_id_z 1
		.amdhsa_system_sgpr_workgroup_info 0
		.amdhsa_system_vgpr_workitem_id 1
		.amdhsa_next_free_vgpr 36
		.amdhsa_next_free_sgpr 24
		.amdhsa_reserve_vcc 1
		.amdhsa_reserve_flat_scratch 0
		.amdhsa_float_round_mode_32 0
		.amdhsa_float_round_mode_16_64 0
		.amdhsa_float_denorm_mode_32 3
		.amdhsa_float_denorm_mode_16_64 3
		.amdhsa_dx10_clamp 1
		.amdhsa_ieee_mode 1
		.amdhsa_fp16_overflow 0
		.amdhsa_workgroup_processor_mode 1
		.amdhsa_memory_ordered 1
		.amdhsa_forward_progress 1
		.amdhsa_shared_vgpr_count 0
		.amdhsa_exception_fp_ieee_invalid_op 0
		.amdhsa_exception_fp_denorm_src 0
		.amdhsa_exception_fp_ieee_div_zero 0
		.amdhsa_exception_fp_ieee_overflow 0
		.amdhsa_exception_fp_ieee_underflow 0
		.amdhsa_exception_fp_ieee_inexact 0
		.amdhsa_exception_int_div_zero 0
	.end_amdhsa_kernel
	.section	.text._ZN12_GLOBAL__N_127rocblas_gemm_batched_kernelIDF16_Li16ELi16ELi64ELi64ELi4ELi64ELi4ELi4ELi64ELc78ELc67EKDF16_S1_DF16_EEvlllT_PT11_llS4_llS2_PT12_llPT13_lli,"axG",@progbits,_ZN12_GLOBAL__N_127rocblas_gemm_batched_kernelIDF16_Li16ELi16ELi64ELi64ELi4ELi64ELi4ELi4ELi64ELc78ELc67EKDF16_S1_DF16_EEvlllT_PT11_llS4_llS2_PT12_llPT13_lli,comdat
.Lfunc_end342:
	.size	_ZN12_GLOBAL__N_127rocblas_gemm_batched_kernelIDF16_Li16ELi16ELi64ELi64ELi4ELi64ELi4ELi4ELi64ELc78ELc67EKDF16_S1_DF16_EEvlllT_PT11_llS4_llS2_PT12_llPT13_lli, .Lfunc_end342-_ZN12_GLOBAL__N_127rocblas_gemm_batched_kernelIDF16_Li16ELi16ELi64ELi64ELi4ELi64ELi4ELi4ELi64ELc78ELc67EKDF16_S1_DF16_EEvlllT_PT11_llS4_llS2_PT12_llPT13_lli
                                        ; -- End function
	.set _ZN12_GLOBAL__N_127rocblas_gemm_batched_kernelIDF16_Li16ELi16ELi64ELi64ELi4ELi64ELi4ELi4ELi64ELc78ELc67EKDF16_S1_DF16_EEvlllT_PT11_llS4_llS2_PT12_llPT13_lli.num_vgpr, 36
	.set _ZN12_GLOBAL__N_127rocblas_gemm_batched_kernelIDF16_Li16ELi16ELi64ELi64ELi4ELi64ELi4ELi4ELi64ELc78ELc67EKDF16_S1_DF16_EEvlllT_PT11_llS4_llS2_PT12_llPT13_lli.num_agpr, 0
	.set _ZN12_GLOBAL__N_127rocblas_gemm_batched_kernelIDF16_Li16ELi16ELi64ELi64ELi4ELi64ELi4ELi4ELi64ELc78ELc67EKDF16_S1_DF16_EEvlllT_PT11_llS4_llS2_PT12_llPT13_lli.numbered_sgpr, 24
	.set _ZN12_GLOBAL__N_127rocblas_gemm_batched_kernelIDF16_Li16ELi16ELi64ELi64ELi4ELi64ELi4ELi4ELi64ELc78ELc67EKDF16_S1_DF16_EEvlllT_PT11_llS4_llS2_PT12_llPT13_lli.num_named_barrier, 0
	.set _ZN12_GLOBAL__N_127rocblas_gemm_batched_kernelIDF16_Li16ELi16ELi64ELi64ELi4ELi64ELi4ELi4ELi64ELc78ELc67EKDF16_S1_DF16_EEvlllT_PT11_llS4_llS2_PT12_llPT13_lli.private_seg_size, 0
	.set _ZN12_GLOBAL__N_127rocblas_gemm_batched_kernelIDF16_Li16ELi16ELi64ELi64ELi4ELi64ELi4ELi4ELi64ELc78ELc67EKDF16_S1_DF16_EEvlllT_PT11_llS4_llS2_PT12_llPT13_lli.uses_vcc, 1
	.set _ZN12_GLOBAL__N_127rocblas_gemm_batched_kernelIDF16_Li16ELi16ELi64ELi64ELi4ELi64ELi4ELi4ELi64ELc78ELc67EKDF16_S1_DF16_EEvlllT_PT11_llS4_llS2_PT12_llPT13_lli.uses_flat_scratch, 0
	.set _ZN12_GLOBAL__N_127rocblas_gemm_batched_kernelIDF16_Li16ELi16ELi64ELi64ELi4ELi64ELi4ELi4ELi64ELc78ELc67EKDF16_S1_DF16_EEvlllT_PT11_llS4_llS2_PT12_llPT13_lli.has_dyn_sized_stack, 0
	.set _ZN12_GLOBAL__N_127rocblas_gemm_batched_kernelIDF16_Li16ELi16ELi64ELi64ELi4ELi64ELi4ELi4ELi64ELc78ELc67EKDF16_S1_DF16_EEvlllT_PT11_llS4_llS2_PT12_llPT13_lli.has_recursion, 0
	.set _ZN12_GLOBAL__N_127rocblas_gemm_batched_kernelIDF16_Li16ELi16ELi64ELi64ELi4ELi64ELi4ELi4ELi64ELc78ELc67EKDF16_S1_DF16_EEvlllT_PT11_llS4_llS2_PT12_llPT13_lli.has_indirect_call, 0
	.section	.AMDGPU.csdata,"",@progbits
; Kernel info:
; codeLenInByte = 2332
; TotalNumSgprs: 26
; NumVgprs: 36
; ScratchSize: 0
; MemoryBound: 0
; FloatMode: 240
; IeeeMode: 1
; LDSByteSize: 1024 bytes/workgroup (compile time only)
; SGPRBlocks: 0
; VGPRBlocks: 4
; NumSGPRsForWavesPerEU: 26
; NumVGPRsForWavesPerEU: 36
; Occupancy: 16
; WaveLimiterHint : 0
; COMPUTE_PGM_RSRC2:SCRATCH_EN: 0
; COMPUTE_PGM_RSRC2:USER_SGPR: 6
; COMPUTE_PGM_RSRC2:TRAP_HANDLER: 0
; COMPUTE_PGM_RSRC2:TGID_X_EN: 1
; COMPUTE_PGM_RSRC2:TGID_Y_EN: 1
; COMPUTE_PGM_RSRC2:TGID_Z_EN: 1
; COMPUTE_PGM_RSRC2:TIDIG_COMP_CNT: 1
	.section	.text._ZN12_GLOBAL__N_127rocblas_gemm_batched_kernelIDF16_Li16ELi16ELi64ELi64ELi4ELi64ELi4ELi4ELi64ELc84ELc67EKDF16_S1_DF16_EEvlllT_PT11_llS4_llS2_PT12_llPT13_lli,"axG",@progbits,_ZN12_GLOBAL__N_127rocblas_gemm_batched_kernelIDF16_Li16ELi16ELi64ELi64ELi4ELi64ELi4ELi4ELi64ELc84ELc67EKDF16_S1_DF16_EEvlllT_PT11_llS4_llS2_PT12_llPT13_lli,comdat
	.globl	_ZN12_GLOBAL__N_127rocblas_gemm_batched_kernelIDF16_Li16ELi16ELi64ELi64ELi4ELi64ELi4ELi4ELi64ELc84ELc67EKDF16_S1_DF16_EEvlllT_PT11_llS4_llS2_PT12_llPT13_lli ; -- Begin function _ZN12_GLOBAL__N_127rocblas_gemm_batched_kernelIDF16_Li16ELi16ELi64ELi64ELi4ELi64ELi4ELi4ELi64ELc84ELc67EKDF16_S1_DF16_EEvlllT_PT11_llS4_llS2_PT12_llPT13_lli
	.p2align	8
	.type	_ZN12_GLOBAL__N_127rocblas_gemm_batched_kernelIDF16_Li16ELi16ELi64ELi64ELi4ELi64ELi4ELi4ELi64ELc84ELc67EKDF16_S1_DF16_EEvlllT_PT11_llS4_llS2_PT12_llPT13_lli,@function
_ZN12_GLOBAL__N_127rocblas_gemm_batched_kernelIDF16_Li16ELi16ELi64ELi64ELi4ELi64ELi4ELi4ELi64ELc84ELc67EKDF16_S1_DF16_EEvlllT_PT11_llS4_llS2_PT12_llPT13_lli: ; @_ZN12_GLOBAL__N_127rocblas_gemm_batched_kernelIDF16_Li16ELi16ELi64ELi64ELi4ELi64ELi4ELi4ELi64ELc84ELc67EKDF16_S1_DF16_EEvlllT_PT11_llS4_llS2_PT12_llPT13_lli
; %bb.0:
	s_load_dwordx2 s[22:23], s[4:5], 0x10
	s_mov_b32 s0, s7
	v_mov_b32_e32 v3, 0
	s_ashr_i32 s7, s6, 31
	s_ashr_i32 s1, s0, 31
	s_lshl_b64 s[10:11], s[6:7], 6
	s_lshl_b64 s[20:21], s[0:1], 6
	s_waitcnt lgkmcnt(0)
	v_cmp_lt_i64_e64 s2, s[22:23], 1
	s_and_b32 vcc_lo, exec_lo, s2
	s_cbranch_vccnz .LBB343_3
; %bb.1:
	s_clause 0x1
	s_load_dwordx4 s[0:3], s[4:5], 0x40
	s_load_dwordx8 s[12:19], s[4:5], 0x20
	v_lshl_add_u32 v4, v1, 4, v0
	v_and_b32_e32 v8, 3, v0
	v_lshlrev_b32_e32 v14, 1, v0
	v_lshl_add_u32 v15, v1, 3, 0x200
	v_lshrrev_b32_e32 v2, 2, v4
	v_and_b32_e32 v5, 63, v4
	v_lshlrev_b32_e32 v6, 1, v8
	v_lshrrev_b32_e32 v10, 6, v4
	v_lshlrev_b32_e32 v9, 1, v5
	v_lshl_or_b32 v11, v2, 3, v6
	v_add_co_u32 v6, s6, s10, v5
	v_add_co_ci_u32_e64 v7, null, s11, 0, s6
	v_lshl_or_b32 v16, v10, 7, v9
	s_waitcnt lgkmcnt(0)
	v_mad_u64_u32 v[4:5], null, s0, v8, v[2:3]
	v_mul_lo_u32 v12, s15, v6
	v_mul_lo_u32 v13, s14, v7
	v_mad_u64_u32 v[6:7], null, s14, v6, 0
	s_mul_i32 s3, s3, s8
	s_mul_hi_u32 s6, s2, s8
	v_mov_b32_e32 v2, v5
	s_mul_i32 s2, s2, s8
	s_add_i32 s3, s6, s3
	v_add_nc_u32_e32 v17, 0x200, v11
	v_add3_u32 v7, v7, v13, v12
	v_mad_u64_u32 v[8:9], null, s1, v8, v[2:3]
	s_lshl_b64 s[2:3], s[2:3], 1
	v_lshlrev_b32_e32 v2, 1, v10
	s_add_u32 s6, s18, s2
	s_addc_u32 s7, s19, s3
	s_mul_i32 s2, s17, s8
	s_mul_hi_u32 s3, s16, s8
	v_lshlrev_b64 v[5:6], 1, v[6:7]
	v_add_co_u32 v7, vcc_lo, v4, s20
	s_add_i32 s3, s3, s2
	s_mul_i32 s2, s16, s8
	v_add_co_ci_u32_e64 v8, null, s21, v8, vcc_lo
	s_lshl_b64 s[2:3], s[2:3], 1
	v_mov_b32_e32 v10, 0
	v_add_co_u32 v9, vcc_lo, v5, s2
	v_add_co_ci_u32_e64 v6, null, s3, v6, vcc_lo
	v_lshlrev_b64 v[4:5], 1, v[7:8]
	v_add_co_u32 v2, vcc_lo, v9, v2
	v_add_co_ci_u32_e64 v7, null, 0, v6, vcc_lo
	v_mov_b32_e32 v8, 0
	v_add_co_u32 v4, vcc_lo, s6, v4
	v_add_co_ci_u32_e64 v5, null, s7, v5, vcc_lo
	v_add_co_u32 v6, vcc_lo, s12, v2
	v_add_co_ci_u32_e64 v7, null, s13, v7, vcc_lo
	v_mov_b32_e32 v2, 0
	v_mov_b32_e32 v9, 0
	v_mov_b32_e32 v11, 0
	v_mov_b32_e32 v12, 0
	v_mov_b32_e32 v13, 0
	s_lshl_b64 s[0:1], s[0:1], 3
	s_mov_b64 s[2:3], 0
.LBB343_2:                              ; =>This Inner Loop Header: Depth=1
	global_load_ushort v18, v[6:7], off
	global_load_ushort v19, v[4:5], off
	s_add_u32 s2, s2, 4
	s_addc_u32 s3, s3, 0
	v_add_co_u32 v4, vcc_lo, v4, s0
	v_cmp_lt_i64_e64 s6, s[2:3], s[22:23]
	v_add_co_ci_u32_e64 v5, null, s1, v5, vcc_lo
	v_add_co_u32 v6, vcc_lo, v6, 8
	v_add_co_ci_u32_e64 v7, null, 0, v7, vcc_lo
	s_and_b32 vcc_lo, exec_lo, s6
	s_waitcnt vmcnt(1)
	ds_write_b16 v16, v18
	s_waitcnt vmcnt(0)
	ds_write_b16 v17, v19
	s_waitcnt lgkmcnt(0)
	s_barrier
	buffer_gl0_inv
	ds_read_u16 v26, v14 offset:32
	ds_read_u16 v27, v14 offset:96
	ds_read_u16 v28, v14 offset:160
	ds_read_u16 v29, v14 offset:224
	ds_read_u16 v30, v14 offset:288
	ds_read_u16 v31, v14 offset:352
	ds_read_u16 v32, v14 offset:416
	ds_read_u16 v33, v14 offset:480
	ds_read2_b64 v[18:21], v15 offset1:16
	ds_read2_b64 v[22:25], v15 offset0:32 offset1:48
	s_waitcnt lgkmcnt(9)
	ds_read_u16_d16_hi v26, v14
	s_waitcnt lgkmcnt(9)
	ds_read_u16_d16_hi v27, v14 offset:64
	s_waitcnt lgkmcnt(9)
	ds_read_u16_d16_hi v28, v14 offset:128
	;; [unrolled: 2-line block ×7, first 2 shown]
	s_waitcnt lgkmcnt(0)
	s_barrier
	buffer_gl0_inv
	v_pk_fma_f16 v3, v26, v18, v3 op_sel_hi:[1,0,1]
	v_pk_fma_f16 v13, v27, v18, v13 op_sel_hi:[1,0,1]
	;; [unrolled: 1-line block ×8, first 2 shown]
	v_pk_fma_f16 v3, v28, v18, v3 op_sel:[0,1,0]
	v_pk_fma_f16 v13, v29, v18, v13 op_sel:[0,1,0]
	;; [unrolled: 1-line block ×8, first 2 shown]
	v_pk_fma_f16 v3, v30, v19, v3 op_sel_hi:[1,0,1]
	v_pk_fma_f16 v13, v31, v19, v13 op_sel_hi:[1,0,1]
	;; [unrolled: 1-line block ×8, first 2 shown]
	v_pk_fma_f16 v3, v32, v19, v3 op_sel:[0,1,0]
	v_pk_fma_f16 v13, v33, v19, v13 op_sel:[0,1,0]
	;; [unrolled: 1-line block ×8, first 2 shown]
	s_cbranch_vccnz .LBB343_2
	s_branch .LBB343_4
.LBB343_3:
	v_mov_b32_e32 v13, 0
	v_mov_b32_e32 v12, 0
	;; [unrolled: 1-line block ×7, first 2 shown]
.LBB343_4:
	s_clause 0x3
	s_load_dwordx4 s[12:15], s[4:5], 0x78
	s_load_dword s16, s[4:5], 0x50
	s_load_dword s9, s[4:5], 0x18
	s_load_dwordx8 s[0:7], s[4:5], 0x58
	v_add_co_u32 v17, s17, s20, v1
	v_add_co_ci_u32_e64 v21, null, s21, 0, s17
	v_add_co_u32 v0, s10, s10, v0
	v_add_co_ci_u32_e64 v1, null, s11, 0, s10
	v_lshrrev_b32_e32 v18, 16, v3
	v_lshrrev_b32_e32 v16, 16, v13
	;; [unrolled: 1-line block ×3, first 2 shown]
	v_lshlrev_b64 v[0:1], 1, v[0:1]
	v_lshrrev_b32_e32 v14, 16, v11
	v_lshrrev_b32_e32 v7, 16, v10
	v_lshrrev_b32_e32 v6, 16, v9
	v_lshrrev_b32_e32 v5, 16, v8
	s_waitcnt lgkmcnt(0)
	s_mul_i32 s11, s15, s8
	s_mul_hi_u32 s15, s14, s8
	v_mul_lo_u32 v19, v21, s12
	v_mul_lo_u32 v20, v17, s13
	s_mul_i32 s10, s14, s8
	v_cmp_neq_f16_e64 s14, s16, 0
	s_add_i32 s11, s15, s11
	v_lshrrev_b32_e32 v4, 16, v2
	s_lshl_b64 s[10:11], s[10:11], 1
	s_add_u32 s6, s6, s10
	s_addc_u32 s7, s7, s11
	s_and_b32 vcc_lo, exec_lo, s14
	s_mov_b32 s10, 0
	s_cbranch_vccnz .LBB343_8
; %bb.5:
	v_mad_u64_u32 v[22:23], null, v17, s12, 0
	s_lshl_b64 s[14:15], s[12:13], 5
	v_mul_f16_sdwa v26, s9, v3 dst_sel:DWORD dst_unused:UNUSED_PAD src0_sel:DWORD src1_sel:WORD_1
	v_mul_f16_e32 v27, s9, v3
	v_mul_f16_sdwa v28, s9, v13 dst_sel:DWORD dst_unused:UNUSED_PAD src0_sel:DWORD src1_sel:WORD_1
	v_mul_f16_e32 v29, s9, v13
	v_mul_f16_sdwa v30, s9, v12 dst_sel:DWORD dst_unused:UNUSED_PAD src0_sel:DWORD src1_sel:WORD_1
	v_add3_u32 v23, v23, v20, v19
	v_mul_f16_e32 v31, s9, v12
	v_mul_f16_sdwa v32, s9, v11 dst_sel:DWORD dst_unused:UNUSED_PAD src0_sel:DWORD src1_sel:WORD_1
	v_mul_f16_e32 v33, s9, v11
	v_lshlrev_b64 v[22:23], 1, v[22:23]
	v_add_co_u32 v22, vcc_lo, s6, v22
	v_add_co_ci_u32_e64 v23, null, s7, v23, vcc_lo
	v_add_co_u32 v34, vcc_lo, v22, s14
	v_add_co_ci_u32_e64 v35, null, s15, v23, vcc_lo
	;; [unrolled: 2-line block ×4, first 2 shown]
	global_store_short v[22:23], v26, off
	global_store_short v[22:23], v27, off offset:32
	global_store_short v[22:23], v28, off offset:64
	;; [unrolled: 1-line block ×3, first 2 shown]
	global_store_short v[24:25], v30, off
	global_store_short v[24:25], v31, off offset:32
	v_add_co_u32 v26, vcc_lo, v34, s14
	v_add_co_ci_u32_e64 v27, null, s15, v35, vcc_lo
	v_mul_f16_sdwa v28, s9, v10 dst_sel:DWORD dst_unused:UNUSED_PAD src0_sel:DWORD src1_sel:WORD_1
	v_add_co_u32 v22, vcc_lo, v26, v0
	v_add_co_ci_u32_e64 v23, null, v27, v1, vcc_lo
	v_mul_f16_e32 v29, s9, v10
	v_mul_f16_sdwa v30, s9, v9 dst_sel:DWORD dst_unused:UNUSED_PAD src0_sel:DWORD src1_sel:WORD_1
	global_store_short v[24:25], v32, off offset:64
	global_store_short v[24:25], v33, off offset:96
	global_store_short v[22:23], v28, off
	global_store_short v[22:23], v29, off offset:32
	global_store_short v[22:23], v30, off offset:64
	v_add_co_u32 v24, vcc_lo, v26, s14
	v_add_co_ci_u32_e64 v25, null, s15, v27, vcc_lo
	v_mul_f16_e32 v28, s9, v9
	v_add_co_u32 v24, vcc_lo, v24, v0
	v_mul_f16_sdwa v26, s9, v8 dst_sel:DWORD dst_unused:UNUSED_PAD src0_sel:DWORD src1_sel:WORD_1
	v_add_co_ci_u32_e64 v25, null, v25, v1, vcc_lo
	v_mul_f16_e32 v27, s9, v8
	v_mul_f16_sdwa v29, s9, v2 dst_sel:DWORD dst_unused:UNUSED_PAD src0_sel:DWORD src1_sel:WORD_1
	v_mul_f16_e32 v30, s9, v2
	global_store_short v[22:23], v28, off offset:96
	global_store_short v[24:25], v26, off
	global_store_short v[24:25], v27, off offset:32
	global_store_short v[24:25], v29, off offset:64
	global_store_short v[24:25], v30, off offset:96
	s_andn2_b32 vcc_lo, exec_lo, s10
	s_cbranch_vccnz .LBB343_7
.LBB343_6:
	v_mul_lo_u32 v23, v21, s2
	v_mul_lo_u32 v24, v17, s3
	v_mad_u64_u32 v[21:22], null, v17, s2, 0
	s_mul_i32 s5, s5, s8
	s_mul_hi_u32 s10, s4, s8
	s_mul_i32 s4, s4, s8
	s_add_i32 s5, s10, s5
	s_lshl_b64 s[4:5], s[4:5], 1
	v_add3_u32 v22, v22, v24, v23
	s_add_u32 s0, s0, s4
	s_addc_u32 s1, s1, s5
	v_mad_u64_u32 v[23:24], null, v17, s12, 0
	v_lshlrev_b64 v[21:22], 1, v[21:22]
	v_add3_u32 v24, v24, v20, v19
	v_add_co_u32 v25, vcc_lo, s0, v21
	v_add_co_ci_u32_e64 v26, null, s1, v22, vcc_lo
	v_lshlrev_b64 v[19:20], 1, v[23:24]
	v_add_co_u32 v21, vcc_lo, v25, v0
	v_add_co_ci_u32_e64 v22, null, v26, v1, vcc_lo
	s_lshl_b64 s[0:1], s[2:3], 5
	v_add_co_u32 v23, vcc_lo, s6, v19
	global_load_ushort v27, v[21:22], off
	v_add_co_ci_u32_e64 v24, null, s7, v20, vcc_lo
	v_add_co_u32 v19, vcc_lo, v23, v0
	s_lshl_b64 s[2:3], s[12:13], 5
	v_add_co_ci_u32_e64 v20, null, v24, v1, vcc_lo
	s_waitcnt vmcnt(0)
	v_mul_f16_e32 v17, s16, v27
	v_fmac_f16_e32 v17, s9, v18
	global_store_short v[19:20], v17, off
	global_load_ushort v17, v[21:22], off offset:32
	s_waitcnt vmcnt(0)
	v_mul_f16_e32 v17, s16, v17
	v_fmac_f16_e32 v17, s9, v3
	global_store_short v[19:20], v17, off offset:32
	global_load_ushort v3, v[21:22], off offset:64
	s_waitcnt vmcnt(0)
	v_mul_f16_e32 v3, s16, v3
	v_fmac_f16_e32 v3, s9, v16
	global_store_short v[19:20], v3, off offset:64
	global_load_ushort v3, v[21:22], off offset:96
	v_add_co_u32 v21, vcc_lo, v25, s0
	v_add_co_ci_u32_e64 v22, null, s1, v26, vcc_lo
	v_add_co_u32 v16, vcc_lo, v21, v0
	v_add_co_ci_u32_e64 v17, null, v22, v1, vcc_lo
	s_waitcnt vmcnt(0)
	v_mul_f16_e32 v3, s16, v3
	v_fmac_f16_e32 v3, s9, v13
	v_add_co_u32 v13, vcc_lo, v23, s2
	global_store_short v[19:20], v3, off offset:96
	global_load_ushort v3, v[16:17], off
	v_add_co_ci_u32_e64 v20, null, s3, v24, vcc_lo
	v_add_co_u32 v18, vcc_lo, v13, v0
	v_add_co_ci_u32_e64 v19, null, v20, v1, vcc_lo
	s_waitcnt vmcnt(0)
	v_mul_f16_e32 v3, s16, v3
	v_fmac_f16_e32 v3, s9, v15
	v_add_co_u32 v15, vcc_lo, v21, s0
	global_store_short v[18:19], v3, off
	global_load_ushort v3, v[16:17], off offset:32
	s_waitcnt vmcnt(0)
	v_mul_f16_e32 v3, s16, v3
	v_fmac_f16_e32 v3, s9, v12
	global_store_short v[18:19], v3, off offset:32
	global_load_ushort v3, v[16:17], off offset:64
	s_waitcnt vmcnt(0)
	v_mul_f16_e32 v3, s16, v3
	v_fmac_f16_e32 v3, s9, v14
	global_store_short v[18:19], v3, off offset:64
	global_load_ushort v3, v[16:17], off offset:96
	v_add_co_ci_u32_e64 v16, null, s1, v22, vcc_lo
	s_waitcnt vmcnt(0)
	v_mul_f16_e32 v3, s16, v3
	v_fmac_f16_e32 v3, s9, v11
	v_add_co_u32 v11, vcc_lo, v15, v0
	v_add_co_ci_u32_e64 v12, null, v16, v1, vcc_lo
	global_store_short v[18:19], v3, off offset:96
	v_add_co_u32 v17, vcc_lo, v13, s2
	global_load_ushort v3, v[11:12], off
	v_add_co_ci_u32_e64 v18, null, s3, v20, vcc_lo
	v_add_co_u32 v13, vcc_lo, v17, v0
	v_add_co_ci_u32_e64 v14, null, v18, v1, vcc_lo
	s_waitcnt vmcnt(0)
	v_mul_f16_e32 v3, s16, v3
	v_fmac_f16_e32 v3, s9, v7
	global_store_short v[13:14], v3, off
	global_load_ushort v3, v[11:12], off offset:32
	s_waitcnt vmcnt(0)
	v_mul_f16_e32 v3, s16, v3
	v_fmac_f16_e32 v3, s9, v10
	global_store_short v[13:14], v3, off offset:32
	global_load_ushort v3, v[11:12], off offset:64
	s_waitcnt vmcnt(0)
	v_mul_f16_e32 v3, s16, v3
	v_fmac_f16_e32 v3, s9, v6
	v_add_co_u32 v6, vcc_lo, v15, s0
	v_add_co_ci_u32_e64 v7, null, s1, v16, vcc_lo
	global_store_short v[13:14], v3, off offset:64
	global_load_ushort v3, v[11:12], off offset:96
	v_add_co_u32 v6, vcc_lo, v6, v0
	v_add_co_ci_u32_e64 v7, null, v7, v1, vcc_lo
	s_waitcnt vmcnt(0)
	v_mul_f16_e32 v3, s16, v3
	v_fmac_f16_e32 v3, s9, v9
	v_add_co_u32 v9, vcc_lo, v17, s2
	v_add_co_ci_u32_e64 v10, null, s3, v18, vcc_lo
	global_store_short v[13:14], v3, off offset:96
	global_load_ushort v3, v[6:7], off
	v_add_co_u32 v0, vcc_lo, v9, v0
	v_add_co_ci_u32_e64 v1, null, v10, v1, vcc_lo
	s_waitcnt vmcnt(0)
	v_mul_f16_e32 v3, s16, v3
	v_fmac_f16_e32 v3, s9, v5
	global_store_short v[0:1], v3, off
	global_load_ushort v3, v[6:7], off offset:32
	s_waitcnt vmcnt(0)
	v_mul_f16_e32 v3, s16, v3
	v_fmac_f16_e32 v3, s9, v8
	global_store_short v[0:1], v3, off offset:32
	global_load_ushort v3, v[6:7], off offset:64
	s_waitcnt vmcnt(0)
	v_mul_f16_e32 v3, s16, v3
	v_fmac_f16_e32 v3, s9, v4
	global_store_short v[0:1], v3, off offset:64
	;; [unrolled: 5-line block ×3, first 2 shown]
.LBB343_7:
	s_endpgm
.LBB343_8:
	s_branch .LBB343_6
	.section	.rodata,"a",@progbits
	.p2align	6, 0x0
	.amdhsa_kernel _ZN12_GLOBAL__N_127rocblas_gemm_batched_kernelIDF16_Li16ELi16ELi64ELi64ELi4ELi64ELi4ELi4ELi64ELc84ELc67EKDF16_S1_DF16_EEvlllT_PT11_llS4_llS2_PT12_llPT13_lli
		.amdhsa_group_segment_fixed_size 1024
		.amdhsa_private_segment_fixed_size 0
		.amdhsa_kernarg_size 140
		.amdhsa_user_sgpr_count 6
		.amdhsa_user_sgpr_private_segment_buffer 1
		.amdhsa_user_sgpr_dispatch_ptr 0
		.amdhsa_user_sgpr_queue_ptr 0
		.amdhsa_user_sgpr_kernarg_segment_ptr 1
		.amdhsa_user_sgpr_dispatch_id 0
		.amdhsa_user_sgpr_flat_scratch_init 0
		.amdhsa_user_sgpr_private_segment_size 0
		.amdhsa_wavefront_size32 1
		.amdhsa_uses_dynamic_stack 0
		.amdhsa_system_sgpr_private_segment_wavefront_offset 0
		.amdhsa_system_sgpr_workgroup_id_x 1
		.amdhsa_system_sgpr_workgroup_id_y 1
		.amdhsa_system_sgpr_workgroup_id_z 1
		.amdhsa_system_sgpr_workgroup_info 0
		.amdhsa_system_vgpr_workitem_id 1
		.amdhsa_next_free_vgpr 36
		.amdhsa_next_free_sgpr 24
		.amdhsa_reserve_vcc 1
		.amdhsa_reserve_flat_scratch 0
		.amdhsa_float_round_mode_32 0
		.amdhsa_float_round_mode_16_64 0
		.amdhsa_float_denorm_mode_32 3
		.amdhsa_float_denorm_mode_16_64 3
		.amdhsa_dx10_clamp 1
		.amdhsa_ieee_mode 1
		.amdhsa_fp16_overflow 0
		.amdhsa_workgroup_processor_mode 1
		.amdhsa_memory_ordered 1
		.amdhsa_forward_progress 1
		.amdhsa_shared_vgpr_count 0
		.amdhsa_exception_fp_ieee_invalid_op 0
		.amdhsa_exception_fp_denorm_src 0
		.amdhsa_exception_fp_ieee_div_zero 0
		.amdhsa_exception_fp_ieee_overflow 0
		.amdhsa_exception_fp_ieee_underflow 0
		.amdhsa_exception_fp_ieee_inexact 0
		.amdhsa_exception_int_div_zero 0
	.end_amdhsa_kernel
	.section	.text._ZN12_GLOBAL__N_127rocblas_gemm_batched_kernelIDF16_Li16ELi16ELi64ELi64ELi4ELi64ELi4ELi4ELi64ELc84ELc67EKDF16_S1_DF16_EEvlllT_PT11_llS4_llS2_PT12_llPT13_lli,"axG",@progbits,_ZN12_GLOBAL__N_127rocblas_gemm_batched_kernelIDF16_Li16ELi16ELi64ELi64ELi4ELi64ELi4ELi4ELi64ELc84ELc67EKDF16_S1_DF16_EEvlllT_PT11_llS4_llS2_PT12_llPT13_lli,comdat
.Lfunc_end343:
	.size	_ZN12_GLOBAL__N_127rocblas_gemm_batched_kernelIDF16_Li16ELi16ELi64ELi64ELi4ELi64ELi4ELi4ELi64ELc84ELc67EKDF16_S1_DF16_EEvlllT_PT11_llS4_llS2_PT12_llPT13_lli, .Lfunc_end343-_ZN12_GLOBAL__N_127rocblas_gemm_batched_kernelIDF16_Li16ELi16ELi64ELi64ELi4ELi64ELi4ELi4ELi64ELc84ELc67EKDF16_S1_DF16_EEvlllT_PT11_llS4_llS2_PT12_llPT13_lli
                                        ; -- End function
	.set _ZN12_GLOBAL__N_127rocblas_gemm_batched_kernelIDF16_Li16ELi16ELi64ELi64ELi4ELi64ELi4ELi4ELi64ELc84ELc67EKDF16_S1_DF16_EEvlllT_PT11_llS4_llS2_PT12_llPT13_lli.num_vgpr, 36
	.set _ZN12_GLOBAL__N_127rocblas_gemm_batched_kernelIDF16_Li16ELi16ELi64ELi64ELi4ELi64ELi4ELi4ELi64ELc84ELc67EKDF16_S1_DF16_EEvlllT_PT11_llS4_llS2_PT12_llPT13_lli.num_agpr, 0
	.set _ZN12_GLOBAL__N_127rocblas_gemm_batched_kernelIDF16_Li16ELi16ELi64ELi64ELi4ELi64ELi4ELi4ELi64ELc84ELc67EKDF16_S1_DF16_EEvlllT_PT11_llS4_llS2_PT12_llPT13_lli.numbered_sgpr, 24
	.set _ZN12_GLOBAL__N_127rocblas_gemm_batched_kernelIDF16_Li16ELi16ELi64ELi64ELi4ELi64ELi4ELi4ELi64ELc84ELc67EKDF16_S1_DF16_EEvlllT_PT11_llS4_llS2_PT12_llPT13_lli.num_named_barrier, 0
	.set _ZN12_GLOBAL__N_127rocblas_gemm_batched_kernelIDF16_Li16ELi16ELi64ELi64ELi4ELi64ELi4ELi4ELi64ELc84ELc67EKDF16_S1_DF16_EEvlllT_PT11_llS4_llS2_PT12_llPT13_lli.private_seg_size, 0
	.set _ZN12_GLOBAL__N_127rocblas_gemm_batched_kernelIDF16_Li16ELi16ELi64ELi64ELi4ELi64ELi4ELi4ELi64ELc84ELc67EKDF16_S1_DF16_EEvlllT_PT11_llS4_llS2_PT12_llPT13_lli.uses_vcc, 1
	.set _ZN12_GLOBAL__N_127rocblas_gemm_batched_kernelIDF16_Li16ELi16ELi64ELi64ELi4ELi64ELi4ELi4ELi64ELc84ELc67EKDF16_S1_DF16_EEvlllT_PT11_llS4_llS2_PT12_llPT13_lli.uses_flat_scratch, 0
	.set _ZN12_GLOBAL__N_127rocblas_gemm_batched_kernelIDF16_Li16ELi16ELi64ELi64ELi4ELi64ELi4ELi4ELi64ELc84ELc67EKDF16_S1_DF16_EEvlllT_PT11_llS4_llS2_PT12_llPT13_lli.has_dyn_sized_stack, 0
	.set _ZN12_GLOBAL__N_127rocblas_gemm_batched_kernelIDF16_Li16ELi16ELi64ELi64ELi4ELi64ELi4ELi4ELi64ELc84ELc67EKDF16_S1_DF16_EEvlllT_PT11_llS4_llS2_PT12_llPT13_lli.has_recursion, 0
	.set _ZN12_GLOBAL__N_127rocblas_gemm_batched_kernelIDF16_Li16ELi16ELi64ELi64ELi4ELi64ELi4ELi4ELi64ELc84ELc67EKDF16_S1_DF16_EEvlllT_PT11_llS4_llS2_PT12_llPT13_lli.has_indirect_call, 0
	.section	.AMDGPU.csdata,"",@progbits
; Kernel info:
; codeLenInByte = 2368
; TotalNumSgprs: 26
; NumVgprs: 36
; ScratchSize: 0
; MemoryBound: 0
; FloatMode: 240
; IeeeMode: 1
; LDSByteSize: 1024 bytes/workgroup (compile time only)
; SGPRBlocks: 0
; VGPRBlocks: 4
; NumSGPRsForWavesPerEU: 26
; NumVGPRsForWavesPerEU: 36
; Occupancy: 16
; WaveLimiterHint : 0
; COMPUTE_PGM_RSRC2:SCRATCH_EN: 0
; COMPUTE_PGM_RSRC2:USER_SGPR: 6
; COMPUTE_PGM_RSRC2:TRAP_HANDLER: 0
; COMPUTE_PGM_RSRC2:TGID_X_EN: 1
; COMPUTE_PGM_RSRC2:TGID_Y_EN: 1
; COMPUTE_PGM_RSRC2:TGID_Z_EN: 1
; COMPUTE_PGM_RSRC2:TIDIG_COMP_CNT: 1
	.section	.text._ZN12_GLOBAL__N_127rocblas_gemm_batched_kernelIDF16_Li16ELi16ELi32ELi32ELi8ELi32ELi8ELi8ELi32ELc78ELc78EKDF16_S1_DF16_EEvlllT_PT11_llS4_llS2_PT12_llPT13_lli,"axG",@progbits,_ZN12_GLOBAL__N_127rocblas_gemm_batched_kernelIDF16_Li16ELi16ELi32ELi32ELi8ELi32ELi8ELi8ELi32ELc78ELc78EKDF16_S1_DF16_EEvlllT_PT11_llS4_llS2_PT12_llPT13_lli,comdat
	.globl	_ZN12_GLOBAL__N_127rocblas_gemm_batched_kernelIDF16_Li16ELi16ELi32ELi32ELi8ELi32ELi8ELi8ELi32ELc78ELc78EKDF16_S1_DF16_EEvlllT_PT11_llS4_llS2_PT12_llPT13_lli ; -- Begin function _ZN12_GLOBAL__N_127rocblas_gemm_batched_kernelIDF16_Li16ELi16ELi32ELi32ELi8ELi32ELi8ELi8ELi32ELc78ELc78EKDF16_S1_DF16_EEvlllT_PT11_llS4_llS2_PT12_llPT13_lli
	.p2align	8
	.type	_ZN12_GLOBAL__N_127rocblas_gemm_batched_kernelIDF16_Li16ELi16ELi32ELi32ELi8ELi32ELi8ELi8ELi32ELc78ELc78EKDF16_S1_DF16_EEvlllT_PT11_llS4_llS2_PT12_llPT13_lli,@function
_ZN12_GLOBAL__N_127rocblas_gemm_batched_kernelIDF16_Li16ELi16ELi32ELi32ELi8ELi32ELi8ELi8ELi32ELc78ELc78EKDF16_S1_DF16_EEvlllT_PT11_llS4_llS2_PT12_llPT13_lli: ; @_ZN12_GLOBAL__N_127rocblas_gemm_batched_kernelIDF16_Li16ELi16ELi32ELi32ELi8ELi32ELi8ELi8ELi32ELc78ELc78EKDF16_S1_DF16_EEvlllT_PT11_llS4_llS2_PT12_llPT13_lli
; %bb.0:
	s_load_dwordx2 s[20:21], s[4:5], 0x10
	s_mov_b32 s0, s7
	s_ashr_i32 s7, s6, 31
	s_ashr_i32 s1, s0, 31
	s_lshl_b64 s[6:7], s[6:7], 5
	s_lshl_b64 s[10:11], s[0:1], 5
	s_waitcnt lgkmcnt(0)
	v_cmp_lt_i64_e64 s2, s[20:21], 1
	s_and_b32 vcc_lo, exec_lo, s2
	s_cbranch_vccnz .LBB344_3
; %bb.1:
	v_lshlrev_b32_e32 v4, 4, v1
	s_clause 0x1
	s_load_dwordx4 s[0:3], s[4:5], 0x40
	s_load_dwordx8 s[12:19], s[4:5], 0x20
	v_and_b32_e32 v3, 7, v0
	v_lshlrev_b32_e32 v8, 1, v0
	v_add_nc_u32_e32 v2, v4, v0
	v_add_nc_u32_e32 v9, 0x200, v4
	v_lshlrev_b32_e32 v7, 1, v3
	v_lshrrev_b32_e32 v5, 3, v2
	v_and_b32_e32 v12, 31, v2
	v_lshrrev_b32_e32 v13, 5, v2
	v_add_co_u32 v3, s9, v5, s10
	v_add_co_ci_u32_e64 v6, null, 0, s11, s9
	v_lshl_or_b32 v11, v5, 4, v7
	v_lshlrev_b32_e32 v10, 1, v12
	s_waitcnt lgkmcnt(0)
	v_mul_lo_u32 v14, s1, v3
	v_mul_lo_u32 v6, s0, v6
	v_mad_u64_u32 v[2:3], null, s0, v3, 0
	v_mad_u64_u32 v[4:5], null, s14, v13, s[6:7]
	s_mul_i32 s1, s3, s8
	s_mul_hi_u32 s3, s2, s8
	s_mul_i32 s0, s2, s8
	s_add_i32 s1, s3, s1
	v_add3_u32 v3, v3, v6, v14
	s_lshl_b64 s[0:1], s[0:1], 1
	v_mad_u64_u32 v[5:6], null, s15, v13, v[5:6]
	v_lshl_or_b32 v10, v13, 6, v10
	v_lshlrev_b64 v[2:3], 1, v[2:3]
	s_mul_i32 s2, s17, s8
	s_mul_hi_u32 s3, s16, s8
	v_add_nc_u32_e32 v11, 0x200, v11
	v_add_co_u32 v6, vcc_lo, v2, s0
	v_add_co_ci_u32_e64 v13, null, s1, v3, vcc_lo
	v_add_co_u32 v2, vcc_lo, v4, v12
	v_add_co_ci_u32_e64 v3, null, 0, v5, vcc_lo
	v_add_co_u32 v6, vcc_lo, v6, v7
	s_add_i32 s1, s3, s2
	s_mul_i32 s0, s16, s8
	v_lshlrev_b64 v[4:5], 1, v[2:3]
	v_add_co_ci_u32_e64 v7, null, 0, v13, vcc_lo
	s_lshl_b64 s[0:1], s[0:1], 1
	v_add_co_u32 v2, vcc_lo, s18, v6
	s_add_u32 s0, s12, s0
	v_add_co_ci_u32_e64 v3, null, s19, v7, vcc_lo
	s_addc_u32 s1, s13, s1
	v_add_co_u32 v4, vcc_lo, s0, v4
	v_add_co_ci_u32_e64 v5, null, s1, v5, vcc_lo
	v_mov_b32_e32 v6, 0
	v_mov_b32_e32 v7, 0
	s_lshl_b64 s[0:1], s[14:15], 4
	s_mov_b64 s[2:3], 0
.LBB344_2:                              ; =>This Inner Loop Header: Depth=1
	global_load_ushort v12, v[4:5], off
	global_load_ushort v13, v[2:3], off
	s_add_u32 s2, s2, 8
	s_addc_u32 s3, s3, 0
	v_add_co_u32 v2, vcc_lo, v2, 16
	v_cmp_lt_i64_e64 s9, s[2:3], s[20:21]
	v_add_co_ci_u32_e64 v3, null, 0, v3, vcc_lo
	v_add_co_u32 v4, vcc_lo, v4, s0
	v_add_co_ci_u32_e64 v5, null, s1, v5, vcc_lo
	s_and_b32 vcc_lo, exec_lo, s9
	s_waitcnt vmcnt(1)
	ds_write_b16 v10, v12
	s_waitcnt vmcnt(0)
	ds_write_b16 v11, v13
	s_waitcnt lgkmcnt(0)
	s_barrier
	buffer_gl0_inv
	ds_read_u16 v20, v8 offset:32
	ds_read_u16 v21, v8 offset:96
	;; [unrolled: 1-line block ×3, first 2 shown]
	ds_read_b128 v[12:15], v9
	ds_read_b128 v[16:19], v9 offset:256
	ds_read_u16 v23, v8 offset:224
	ds_read_u16 v24, v8 offset:288
	;; [unrolled: 1-line block ×5, first 2 shown]
	s_waitcnt lgkmcnt(9)
	ds_read_u16_d16_hi v20, v8
	s_waitcnt lgkmcnt(9)
	ds_read_u16_d16_hi v21, v8 offset:64
	s_waitcnt lgkmcnt(9)
	ds_read_u16_d16_hi v22, v8 offset:128
	;; [unrolled: 2-line block ×7, first 2 shown]
	s_waitcnt lgkmcnt(0)
	s_barrier
	buffer_gl0_inv
	v_pk_fma_f16 v7, v20, v12, v7 op_sel_hi:[1,0,1]
	v_pk_fma_f16 v6, v20, v16, v6 op_sel_hi:[1,0,1]
	v_pk_fma_f16 v7, v21, v12, v7 op_sel:[0,1,0]
	v_pk_fma_f16 v6, v21, v16, v6 op_sel:[0,1,0]
	v_pk_fma_f16 v7, v22, v13, v7 op_sel_hi:[1,0,1]
	v_pk_fma_f16 v6, v22, v17, v6 op_sel_hi:[1,0,1]
	v_pk_fma_f16 v7, v23, v13, v7 op_sel:[0,1,0]
	v_pk_fma_f16 v6, v23, v17, v6 op_sel:[0,1,0]
	;; [unrolled: 4-line block ×4, first 2 shown]
	s_cbranch_vccnz .LBB344_2
	s_branch .LBB344_4
.LBB344_3:
	v_mov_b32_e32 v7, 0
	v_mov_b32_e32 v6, 0
.LBB344_4:
	s_clause 0x3
	s_load_dwordx4 s[0:3], s[4:5], 0x78
	s_load_dword s9, s[4:5], 0x50
	s_load_dwordx8 s[12:19], s[4:5], 0x58
	s_load_dword s4, s[4:5], 0x18
	v_add_co_u32 v10, s5, s6, v0
	v_add_co_ci_u32_e64 v11, null, s7, 0, s5
	v_add_co_u32 v4, s5, s10, v1
	v_add_co_ci_u32_e64 v9, null, s11, 0, s5
	v_lshlrev_b64 v[0:1], 1, v[10:11]
	v_lshrrev_b32_e32 v3, 16, v7
	v_lshrrev_b32_e32 v2, 16, v6
	s_waitcnt lgkmcnt(0)
	s_mul_i32 s3, s3, s8
	s_mul_hi_u32 s5, s2, s8
	v_mul_lo_u32 v5, v9, s0
	v_mul_lo_u32 v8, v4, s1
	s_mul_i32 s2, s2, s8
	v_cmp_neq_f16_e64 s6, s9, 0
	s_add_i32 s3, s5, s3
	s_mov_b32 s5, 0
	s_lshl_b64 s[2:3], s[2:3], 1
	s_add_u32 s2, s18, s2
	s_addc_u32 s3, s19, s3
	s_and_b32 vcc_lo, exec_lo, s6
	s_cbranch_vccnz .LBB344_8
; %bb.5:
	v_mad_u64_u32 v[10:11], null, v4, s0, 0
	s_lshl_b64 s[6:7], s[0:1], 5
	v_mul_f16_sdwa v14, s4, v7 dst_sel:DWORD dst_unused:UNUSED_PAD src0_sel:DWORD src1_sel:WORD_1
	v_mul_f16_e32 v15, s4, v7
	v_mul_f16_sdwa v16, s4, v6 dst_sel:DWORD dst_unused:UNUSED_PAD src0_sel:DWORD src1_sel:WORD_1
	v_mul_f16_e32 v17, s4, v6
	v_add3_u32 v11, v11, v8, v5
	v_lshlrev_b64 v[10:11], 1, v[10:11]
	v_add_co_u32 v10, vcc_lo, s2, v10
	v_add_co_ci_u32_e64 v11, null, s3, v11, vcc_lo
	v_add_co_u32 v12, vcc_lo, v10, s6
	v_add_co_ci_u32_e64 v13, null, s7, v11, vcc_lo
	;; [unrolled: 2-line block ×4, first 2 shown]
	global_store_short v[10:11], v14, off
	global_store_short v[10:11], v15, off offset:32
	global_store_short v[12:13], v16, off
	global_store_short v[12:13], v17, off offset:32
	s_andn2_b32 vcc_lo, exec_lo, s5
	s_cbranch_vccnz .LBB344_7
.LBB344_6:
	v_mul_lo_u32 v11, v9, s14
	v_mul_lo_u32 v12, v4, s15
	v_mad_u64_u32 v[9:10], null, v4, s14, 0
	s_mul_i32 s5, s17, s8
	s_mul_hi_u32 s7, s16, s8
	s_mul_i32 s6, s16, s8
	s_add_i32 s7, s7, s5
	s_lshl_b64 s[6:7], s[6:7], 1
	v_add3_u32 v10, v10, v12, v11
	s_add_u32 s5, s12, s6
	s_addc_u32 s6, s13, s7
	v_mad_u64_u32 v[11:12], null, v4, s0, 0
	v_lshlrev_b64 v[9:10], 1, v[9:10]
	s_lshl_b64 s[0:1], s[0:1], 5
	v_add3_u32 v12, v12, v8, v5
	v_add_co_u32 v13, vcc_lo, s5, v9
	v_add_co_ci_u32_e64 v14, null, s6, v10, vcc_lo
	v_lshlrev_b64 v[4:5], 1, v[11:12]
	v_add_co_u32 v9, vcc_lo, v13, v0
	v_add_co_ci_u32_e64 v10, null, v14, v1, vcc_lo
	v_add_co_u32 v11, vcc_lo, s2, v4
	global_load_ushort v15, v[9:10], off
	v_add_co_ci_u32_e64 v12, null, s3, v5, vcc_lo
	v_add_co_u32 v4, vcc_lo, v11, v0
	s_lshl_b64 s[2:3], s[14:15], 5
	v_add_co_ci_u32_e64 v5, null, v12, v1, vcc_lo
	s_waitcnt vmcnt(0)
	v_mul_f16_e32 v8, s9, v15
	v_fmac_f16_e32 v8, s4, v3
	global_store_short v[4:5], v8, off
	global_load_ushort v3, v[9:10], off offset:32
	v_add_co_u32 v8, vcc_lo, v13, s2
	v_add_co_ci_u32_e64 v9, null, s3, v14, vcc_lo
	s_waitcnt vmcnt(0)
	v_mul_f16_e32 v3, s9, v3
	v_fmac_f16_e32 v3, s4, v7
	v_add_co_u32 v7, vcc_lo, v8, v0
	v_add_co_ci_u32_e64 v8, null, v9, v1, vcc_lo
	global_store_short v[4:5], v3, off offset:32
	v_add_co_u32 v4, vcc_lo, v11, s0
	global_load_ushort v3, v[7:8], off
	v_add_co_ci_u32_e64 v5, null, s1, v12, vcc_lo
	v_add_co_u32 v0, vcc_lo, v4, v0
	v_add_co_ci_u32_e64 v1, null, v5, v1, vcc_lo
	s_waitcnt vmcnt(0)
	v_mul_f16_e32 v3, s9, v3
	v_fmac_f16_e32 v3, s4, v2
	global_store_short v[0:1], v3, off
	global_load_ushort v2, v[7:8], off offset:32
	s_waitcnt vmcnt(0)
	v_mul_f16_e32 v2, s9, v2
	v_fmac_f16_e32 v2, s4, v6
	global_store_short v[0:1], v2, off offset:32
.LBB344_7:
	s_endpgm
.LBB344_8:
	s_branch .LBB344_6
	.section	.rodata,"a",@progbits
	.p2align	6, 0x0
	.amdhsa_kernel _ZN12_GLOBAL__N_127rocblas_gemm_batched_kernelIDF16_Li16ELi16ELi32ELi32ELi8ELi32ELi8ELi8ELi32ELc78ELc78EKDF16_S1_DF16_EEvlllT_PT11_llS4_llS2_PT12_llPT13_lli
		.amdhsa_group_segment_fixed_size 1024
		.amdhsa_private_segment_fixed_size 0
		.amdhsa_kernarg_size 140
		.amdhsa_user_sgpr_count 6
		.amdhsa_user_sgpr_private_segment_buffer 1
		.amdhsa_user_sgpr_dispatch_ptr 0
		.amdhsa_user_sgpr_queue_ptr 0
		.amdhsa_user_sgpr_kernarg_segment_ptr 1
		.amdhsa_user_sgpr_dispatch_id 0
		.amdhsa_user_sgpr_flat_scratch_init 0
		.amdhsa_user_sgpr_private_segment_size 0
		.amdhsa_wavefront_size32 1
		.amdhsa_uses_dynamic_stack 0
		.amdhsa_system_sgpr_private_segment_wavefront_offset 0
		.amdhsa_system_sgpr_workgroup_id_x 1
		.amdhsa_system_sgpr_workgroup_id_y 1
		.amdhsa_system_sgpr_workgroup_id_z 1
		.amdhsa_system_sgpr_workgroup_info 0
		.amdhsa_system_vgpr_workitem_id 1
		.amdhsa_next_free_vgpr 28
		.amdhsa_next_free_sgpr 22
		.amdhsa_reserve_vcc 1
		.amdhsa_reserve_flat_scratch 0
		.amdhsa_float_round_mode_32 0
		.amdhsa_float_round_mode_16_64 0
		.amdhsa_float_denorm_mode_32 3
		.amdhsa_float_denorm_mode_16_64 3
		.amdhsa_dx10_clamp 1
		.amdhsa_ieee_mode 1
		.amdhsa_fp16_overflow 0
		.amdhsa_workgroup_processor_mode 1
		.amdhsa_memory_ordered 1
		.amdhsa_forward_progress 1
		.amdhsa_shared_vgpr_count 0
		.amdhsa_exception_fp_ieee_invalid_op 0
		.amdhsa_exception_fp_denorm_src 0
		.amdhsa_exception_fp_ieee_div_zero 0
		.amdhsa_exception_fp_ieee_overflow 0
		.amdhsa_exception_fp_ieee_underflow 0
		.amdhsa_exception_fp_ieee_inexact 0
		.amdhsa_exception_int_div_zero 0
	.end_amdhsa_kernel
	.section	.text._ZN12_GLOBAL__N_127rocblas_gemm_batched_kernelIDF16_Li16ELi16ELi32ELi32ELi8ELi32ELi8ELi8ELi32ELc78ELc78EKDF16_S1_DF16_EEvlllT_PT11_llS4_llS2_PT12_llPT13_lli,"axG",@progbits,_ZN12_GLOBAL__N_127rocblas_gemm_batched_kernelIDF16_Li16ELi16ELi32ELi32ELi8ELi32ELi8ELi8ELi32ELc78ELc78EKDF16_S1_DF16_EEvlllT_PT11_llS4_llS2_PT12_llPT13_lli,comdat
.Lfunc_end344:
	.size	_ZN12_GLOBAL__N_127rocblas_gemm_batched_kernelIDF16_Li16ELi16ELi32ELi32ELi8ELi32ELi8ELi8ELi32ELc78ELc78EKDF16_S1_DF16_EEvlllT_PT11_llS4_llS2_PT12_llPT13_lli, .Lfunc_end344-_ZN12_GLOBAL__N_127rocblas_gemm_batched_kernelIDF16_Li16ELi16ELi32ELi32ELi8ELi32ELi8ELi8ELi32ELc78ELc78EKDF16_S1_DF16_EEvlllT_PT11_llS4_llS2_PT12_llPT13_lli
                                        ; -- End function
	.set _ZN12_GLOBAL__N_127rocblas_gemm_batched_kernelIDF16_Li16ELi16ELi32ELi32ELi8ELi32ELi8ELi8ELi32ELc78ELc78EKDF16_S1_DF16_EEvlllT_PT11_llS4_llS2_PT12_llPT13_lli.num_vgpr, 28
	.set _ZN12_GLOBAL__N_127rocblas_gemm_batched_kernelIDF16_Li16ELi16ELi32ELi32ELi8ELi32ELi8ELi8ELi32ELc78ELc78EKDF16_S1_DF16_EEvlllT_PT11_llS4_llS2_PT12_llPT13_lli.num_agpr, 0
	.set _ZN12_GLOBAL__N_127rocblas_gemm_batched_kernelIDF16_Li16ELi16ELi32ELi32ELi8ELi32ELi8ELi8ELi32ELc78ELc78EKDF16_S1_DF16_EEvlllT_PT11_llS4_llS2_PT12_llPT13_lli.numbered_sgpr, 22
	.set _ZN12_GLOBAL__N_127rocblas_gemm_batched_kernelIDF16_Li16ELi16ELi32ELi32ELi8ELi32ELi8ELi8ELi32ELc78ELc78EKDF16_S1_DF16_EEvlllT_PT11_llS4_llS2_PT12_llPT13_lli.num_named_barrier, 0
	.set _ZN12_GLOBAL__N_127rocblas_gemm_batched_kernelIDF16_Li16ELi16ELi32ELi32ELi8ELi32ELi8ELi8ELi32ELc78ELc78EKDF16_S1_DF16_EEvlllT_PT11_llS4_llS2_PT12_llPT13_lli.private_seg_size, 0
	.set _ZN12_GLOBAL__N_127rocblas_gemm_batched_kernelIDF16_Li16ELi16ELi32ELi32ELi8ELi32ELi8ELi8ELi32ELc78ELc78EKDF16_S1_DF16_EEvlllT_PT11_llS4_llS2_PT12_llPT13_lli.uses_vcc, 1
	.set _ZN12_GLOBAL__N_127rocblas_gemm_batched_kernelIDF16_Li16ELi16ELi32ELi32ELi8ELi32ELi8ELi8ELi32ELc78ELc78EKDF16_S1_DF16_EEvlllT_PT11_llS4_llS2_PT12_llPT13_lli.uses_flat_scratch, 0
	.set _ZN12_GLOBAL__N_127rocblas_gemm_batched_kernelIDF16_Li16ELi16ELi32ELi32ELi8ELi32ELi8ELi8ELi32ELc78ELc78EKDF16_S1_DF16_EEvlllT_PT11_llS4_llS2_PT12_llPT13_lli.has_dyn_sized_stack, 0
	.set _ZN12_GLOBAL__N_127rocblas_gemm_batched_kernelIDF16_Li16ELi16ELi32ELi32ELi8ELi32ELi8ELi8ELi32ELc78ELc78EKDF16_S1_DF16_EEvlllT_PT11_llS4_llS2_PT12_llPT13_lli.has_recursion, 0
	.set _ZN12_GLOBAL__N_127rocblas_gemm_batched_kernelIDF16_Li16ELi16ELi32ELi32ELi8ELi32ELi8ELi8ELi32ELc78ELc78EKDF16_S1_DF16_EEvlllT_PT11_llS4_llS2_PT12_llPT13_lli.has_indirect_call, 0
	.section	.AMDGPU.csdata,"",@progbits
; Kernel info:
; codeLenInByte = 1464
; TotalNumSgprs: 24
; NumVgprs: 28
; ScratchSize: 0
; MemoryBound: 0
; FloatMode: 240
; IeeeMode: 1
; LDSByteSize: 1024 bytes/workgroup (compile time only)
; SGPRBlocks: 0
; VGPRBlocks: 3
; NumSGPRsForWavesPerEU: 24
; NumVGPRsForWavesPerEU: 28
; Occupancy: 16
; WaveLimiterHint : 0
; COMPUTE_PGM_RSRC2:SCRATCH_EN: 0
; COMPUTE_PGM_RSRC2:USER_SGPR: 6
; COMPUTE_PGM_RSRC2:TRAP_HANDLER: 0
; COMPUTE_PGM_RSRC2:TGID_X_EN: 1
; COMPUTE_PGM_RSRC2:TGID_Y_EN: 1
; COMPUTE_PGM_RSRC2:TGID_Z_EN: 1
; COMPUTE_PGM_RSRC2:TIDIG_COMP_CNT: 1
	.section	.text._ZN12_GLOBAL__N_127rocblas_gemm_batched_kernelIDF16_Li16ELi16ELi32ELi32ELi8ELi32ELi8ELi8ELi32ELc84ELc78EKDF16_S1_DF16_EEvlllT_PT11_llS4_llS2_PT12_llPT13_lli,"axG",@progbits,_ZN12_GLOBAL__N_127rocblas_gemm_batched_kernelIDF16_Li16ELi16ELi32ELi32ELi8ELi32ELi8ELi8ELi32ELc84ELc78EKDF16_S1_DF16_EEvlllT_PT11_llS4_llS2_PT12_llPT13_lli,comdat
	.globl	_ZN12_GLOBAL__N_127rocblas_gemm_batched_kernelIDF16_Li16ELi16ELi32ELi32ELi8ELi32ELi8ELi8ELi32ELc84ELc78EKDF16_S1_DF16_EEvlllT_PT11_llS4_llS2_PT12_llPT13_lli ; -- Begin function _ZN12_GLOBAL__N_127rocblas_gemm_batched_kernelIDF16_Li16ELi16ELi32ELi32ELi8ELi32ELi8ELi8ELi32ELc84ELc78EKDF16_S1_DF16_EEvlllT_PT11_llS4_llS2_PT12_llPT13_lli
	.p2align	8
	.type	_ZN12_GLOBAL__N_127rocblas_gemm_batched_kernelIDF16_Li16ELi16ELi32ELi32ELi8ELi32ELi8ELi8ELi32ELc84ELc78EKDF16_S1_DF16_EEvlllT_PT11_llS4_llS2_PT12_llPT13_lli,@function
_ZN12_GLOBAL__N_127rocblas_gemm_batched_kernelIDF16_Li16ELi16ELi32ELi32ELi8ELi32ELi8ELi8ELi32ELc84ELc78EKDF16_S1_DF16_EEvlllT_PT11_llS4_llS2_PT12_llPT13_lli: ; @_ZN12_GLOBAL__N_127rocblas_gemm_batched_kernelIDF16_Li16ELi16ELi32ELi32ELi8ELi32ELi8ELi8ELi32ELc84ELc78EKDF16_S1_DF16_EEvlllT_PT11_llS4_llS2_PT12_llPT13_lli
; %bb.0:
	s_load_dwordx2 s[20:21], s[4:5], 0x10
	s_mov_b32 s0, s7
	s_ashr_i32 s7, s6, 31
	s_ashr_i32 s1, s0, 31
	s_lshl_b64 s[6:7], s[6:7], 5
	s_lshl_b64 s[10:11], s[0:1], 5
	s_waitcnt lgkmcnt(0)
	v_cmp_lt_i64_e64 s2, s[20:21], 1
	s_and_b32 vcc_lo, exec_lo, s2
	s_cbranch_vccnz .LBB345_3
; %bb.1:
	v_lshlrev_b32_e32 v6, 4, v1
	s_clause 0x1
	s_load_dwordx4 s[0:3], s[4:5], 0x40
	s_load_dwordx8 s[12:19], s[4:5], 0x20
	v_and_b32_e32 v3, 7, v0
	v_add_nc_u32_e32 v2, v6, v0
	v_lshlrev_b32_e32 v7, 1, v3
	v_lshrrev_b32_e32 v4, 3, v2
	v_and_b32_e32 v3, 31, v2
	v_lshrrev_b32_e32 v12, 5, v2
	v_add_co_u32 v2, s9, v4, s10
	v_add_co_ci_u32_e64 v5, null, 0, s11, s9
	v_add_co_u32 v10, s9, s6, v3
	v_lshl_or_b32 v4, v4, 4, v7
	v_add_co_ci_u32_e64 v11, null, s7, 0, s9
	v_lshlrev_b32_e32 v8, 1, v3
	s_waitcnt lgkmcnt(0)
	v_mul_lo_u32 v13, s1, v2
	v_mul_lo_u32 v14, s0, v5
	v_mad_u64_u32 v[2:3], null, s0, v2, 0
	v_add_nc_u32_e32 v9, 0x200, v4
	v_mul_lo_u32 v15, s15, v10
	v_mul_lo_u32 v16, s14, v11
	v_mad_u64_u32 v[4:5], null, s14, v10, 0
	s_mul_i32 s0, s3, s8
	v_add3_u32 v3, v3, v14, v13
	s_mul_hi_u32 s1, s2, s8
	s_mul_hi_u32 s3, s16, s8
	s_add_i32 s1, s1, s0
	s_mul_i32 s0, s2, s8
	v_add3_u32 v5, v5, v16, v15
	v_lshlrev_b64 v[2:3], 1, v[2:3]
	s_lshl_b64 s[0:1], s[0:1], 1
	s_mul_i32 s2, s17, s8
	v_add_nc_u32_e32 v11, 0x200, v6
	v_lshlrev_b64 v[4:5], 1, v[4:5]
	s_add_i32 s3, s3, s2
	s_mul_i32 s2, s16, s8
	v_add_co_u32 v2, vcc_lo, v2, s0
	v_add_co_ci_u32_e64 v3, null, s1, v3, vcc_lo
	s_lshl_b64 s[0:1], s[2:3], 1
	v_lshlrev_b32_e32 v6, 1, v12
	v_add_co_u32 v4, vcc_lo, v4, s0
	v_add_co_ci_u32_e64 v5, null, s1, v5, vcc_lo
	v_add_co_u32 v2, vcc_lo, v2, v7
	v_add_co_ci_u32_e64 v3, null, 0, v3, vcc_lo
	;; [unrolled: 2-line block ×4, first 2 shown]
	v_add_co_u32 v4, vcc_lo, s12, v4
	v_lshl_or_b32 v8, v12, 6, v8
	v_lshlrev_b32_e32 v10, 1, v0
	v_add_co_ci_u32_e64 v5, null, s13, v5, vcc_lo
	v_mov_b32_e32 v6, 0
	v_mov_b32_e32 v7, 0
	s_mov_b64 s[0:1], 0
.LBB345_2:                              ; =>This Inner Loop Header: Depth=1
	global_load_ushort v12, v[4:5], off
	global_load_ushort v13, v[2:3], off
	s_add_u32 s0, s0, 8
	s_addc_u32 s1, s1, 0
	v_add_co_u32 v2, vcc_lo, v2, 16
	v_cmp_lt_i64_e64 s2, s[0:1], s[20:21]
	v_add_co_ci_u32_e64 v3, null, 0, v3, vcc_lo
	v_add_co_u32 v4, vcc_lo, v4, 16
	v_add_co_ci_u32_e64 v5, null, 0, v5, vcc_lo
	s_and_b32 vcc_lo, exec_lo, s2
	s_waitcnt vmcnt(1)
	ds_write_b16 v8, v12
	s_waitcnt vmcnt(0)
	ds_write_b16 v9, v13
	s_waitcnt lgkmcnt(0)
	s_barrier
	buffer_gl0_inv
	ds_read_u16 v20, v10 offset:32
	ds_read_u16 v21, v10 offset:96
	;; [unrolled: 1-line block ×3, first 2 shown]
	ds_read_b128 v[12:15], v11
	ds_read_b128 v[16:19], v11 offset:256
	ds_read_u16 v23, v10 offset:224
	ds_read_u16 v24, v10 offset:288
	;; [unrolled: 1-line block ×5, first 2 shown]
	s_waitcnt lgkmcnt(9)
	ds_read_u16_d16_hi v20, v10
	s_waitcnt lgkmcnt(9)
	ds_read_u16_d16_hi v21, v10 offset:64
	s_waitcnt lgkmcnt(9)
	ds_read_u16_d16_hi v22, v10 offset:128
	;; [unrolled: 2-line block ×7, first 2 shown]
	s_waitcnt lgkmcnt(0)
	s_barrier
	buffer_gl0_inv
	v_pk_fma_f16 v7, v20, v12, v7 op_sel_hi:[1,0,1]
	v_pk_fma_f16 v6, v20, v16, v6 op_sel_hi:[1,0,1]
	v_pk_fma_f16 v7, v21, v12, v7 op_sel:[0,1,0]
	v_pk_fma_f16 v6, v21, v16, v6 op_sel:[0,1,0]
	v_pk_fma_f16 v7, v22, v13, v7 op_sel_hi:[1,0,1]
	v_pk_fma_f16 v6, v22, v17, v6 op_sel_hi:[1,0,1]
	v_pk_fma_f16 v7, v23, v13, v7 op_sel:[0,1,0]
	v_pk_fma_f16 v6, v23, v17, v6 op_sel:[0,1,0]
	;; [unrolled: 4-line block ×4, first 2 shown]
	s_cbranch_vccnz .LBB345_2
	s_branch .LBB345_4
.LBB345_3:
	v_mov_b32_e32 v7, 0
	v_mov_b32_e32 v6, 0
.LBB345_4:
	s_clause 0x3
	s_load_dwordx4 s[0:3], s[4:5], 0x78
	s_load_dword s9, s[4:5], 0x50
	s_load_dwordx8 s[12:19], s[4:5], 0x58
	s_load_dword s4, s[4:5], 0x18
	v_add_co_u32 v10, s5, s6, v0
	v_add_co_ci_u32_e64 v11, null, s7, 0, s5
	v_add_co_u32 v4, s5, s10, v1
	v_add_co_ci_u32_e64 v9, null, s11, 0, s5
	v_lshlrev_b64 v[0:1], 1, v[10:11]
	v_lshrrev_b32_e32 v3, 16, v7
	v_lshrrev_b32_e32 v2, 16, v6
	s_waitcnt lgkmcnt(0)
	s_mul_i32 s3, s3, s8
	s_mul_hi_u32 s5, s2, s8
	v_mul_lo_u32 v5, v9, s0
	v_mul_lo_u32 v8, v4, s1
	s_mul_i32 s2, s2, s8
	v_cmp_neq_f16_e64 s6, s9, 0
	s_add_i32 s3, s5, s3
	s_mov_b32 s5, 0
	s_lshl_b64 s[2:3], s[2:3], 1
	s_add_u32 s2, s18, s2
	s_addc_u32 s3, s19, s3
	s_and_b32 vcc_lo, exec_lo, s6
	s_cbranch_vccnz .LBB345_8
; %bb.5:
	v_mad_u64_u32 v[10:11], null, v4, s0, 0
	s_lshl_b64 s[6:7], s[0:1], 5
	v_mul_f16_sdwa v14, s4, v7 dst_sel:DWORD dst_unused:UNUSED_PAD src0_sel:DWORD src1_sel:WORD_1
	v_mul_f16_e32 v15, s4, v7
	v_mul_f16_sdwa v16, s4, v6 dst_sel:DWORD dst_unused:UNUSED_PAD src0_sel:DWORD src1_sel:WORD_1
	v_mul_f16_e32 v17, s4, v6
	v_add3_u32 v11, v11, v8, v5
	v_lshlrev_b64 v[10:11], 1, v[10:11]
	v_add_co_u32 v10, vcc_lo, s2, v10
	v_add_co_ci_u32_e64 v11, null, s3, v11, vcc_lo
	v_add_co_u32 v12, vcc_lo, v10, s6
	v_add_co_ci_u32_e64 v13, null, s7, v11, vcc_lo
	v_add_co_u32 v10, vcc_lo, v10, v0
	v_add_co_ci_u32_e64 v11, null, v11, v1, vcc_lo
	v_add_co_u32 v12, vcc_lo, v12, v0
	v_add_co_ci_u32_e64 v13, null, v13, v1, vcc_lo
	global_store_short v[10:11], v14, off
	global_store_short v[10:11], v15, off offset:32
	global_store_short v[12:13], v16, off
	global_store_short v[12:13], v17, off offset:32
	s_andn2_b32 vcc_lo, exec_lo, s5
	s_cbranch_vccnz .LBB345_7
.LBB345_6:
	v_mul_lo_u32 v11, v9, s14
	v_mul_lo_u32 v12, v4, s15
	v_mad_u64_u32 v[9:10], null, v4, s14, 0
	s_mul_i32 s5, s17, s8
	s_mul_hi_u32 s7, s16, s8
	s_mul_i32 s6, s16, s8
	s_add_i32 s7, s7, s5
	s_lshl_b64 s[6:7], s[6:7], 1
	v_add3_u32 v10, v10, v12, v11
	s_add_u32 s5, s12, s6
	s_addc_u32 s6, s13, s7
	v_mad_u64_u32 v[11:12], null, v4, s0, 0
	v_lshlrev_b64 v[9:10], 1, v[9:10]
	s_lshl_b64 s[0:1], s[0:1], 5
	v_add3_u32 v12, v12, v8, v5
	v_add_co_u32 v13, vcc_lo, s5, v9
	v_add_co_ci_u32_e64 v14, null, s6, v10, vcc_lo
	v_lshlrev_b64 v[4:5], 1, v[11:12]
	v_add_co_u32 v9, vcc_lo, v13, v0
	v_add_co_ci_u32_e64 v10, null, v14, v1, vcc_lo
	v_add_co_u32 v11, vcc_lo, s2, v4
	global_load_ushort v15, v[9:10], off
	v_add_co_ci_u32_e64 v12, null, s3, v5, vcc_lo
	v_add_co_u32 v4, vcc_lo, v11, v0
	s_lshl_b64 s[2:3], s[14:15], 5
	v_add_co_ci_u32_e64 v5, null, v12, v1, vcc_lo
	s_waitcnt vmcnt(0)
	v_mul_f16_e32 v8, s9, v15
	v_fmac_f16_e32 v8, s4, v3
	global_store_short v[4:5], v8, off
	global_load_ushort v3, v[9:10], off offset:32
	v_add_co_u32 v8, vcc_lo, v13, s2
	v_add_co_ci_u32_e64 v9, null, s3, v14, vcc_lo
	s_waitcnt vmcnt(0)
	v_mul_f16_e32 v3, s9, v3
	v_fmac_f16_e32 v3, s4, v7
	v_add_co_u32 v7, vcc_lo, v8, v0
	v_add_co_ci_u32_e64 v8, null, v9, v1, vcc_lo
	global_store_short v[4:5], v3, off offset:32
	v_add_co_u32 v4, vcc_lo, v11, s0
	global_load_ushort v3, v[7:8], off
	v_add_co_ci_u32_e64 v5, null, s1, v12, vcc_lo
	v_add_co_u32 v0, vcc_lo, v4, v0
	v_add_co_ci_u32_e64 v1, null, v5, v1, vcc_lo
	s_waitcnt vmcnt(0)
	v_mul_f16_e32 v3, s9, v3
	v_fmac_f16_e32 v3, s4, v2
	global_store_short v[0:1], v3, off
	global_load_ushort v2, v[7:8], off offset:32
	s_waitcnt vmcnt(0)
	v_mul_f16_e32 v2, s9, v2
	v_fmac_f16_e32 v2, s4, v6
	global_store_short v[0:1], v2, off offset:32
.LBB345_7:
	s_endpgm
.LBB345_8:
	s_branch .LBB345_6
	.section	.rodata,"a",@progbits
	.p2align	6, 0x0
	.amdhsa_kernel _ZN12_GLOBAL__N_127rocblas_gemm_batched_kernelIDF16_Li16ELi16ELi32ELi32ELi8ELi32ELi8ELi8ELi32ELc84ELc78EKDF16_S1_DF16_EEvlllT_PT11_llS4_llS2_PT12_llPT13_lli
		.amdhsa_group_segment_fixed_size 1024
		.amdhsa_private_segment_fixed_size 0
		.amdhsa_kernarg_size 140
		.amdhsa_user_sgpr_count 6
		.amdhsa_user_sgpr_private_segment_buffer 1
		.amdhsa_user_sgpr_dispatch_ptr 0
		.amdhsa_user_sgpr_queue_ptr 0
		.amdhsa_user_sgpr_kernarg_segment_ptr 1
		.amdhsa_user_sgpr_dispatch_id 0
		.amdhsa_user_sgpr_flat_scratch_init 0
		.amdhsa_user_sgpr_private_segment_size 0
		.amdhsa_wavefront_size32 1
		.amdhsa_uses_dynamic_stack 0
		.amdhsa_system_sgpr_private_segment_wavefront_offset 0
		.amdhsa_system_sgpr_workgroup_id_x 1
		.amdhsa_system_sgpr_workgroup_id_y 1
		.amdhsa_system_sgpr_workgroup_id_z 1
		.amdhsa_system_sgpr_workgroup_info 0
		.amdhsa_system_vgpr_workitem_id 1
		.amdhsa_next_free_vgpr 28
		.amdhsa_next_free_sgpr 22
		.amdhsa_reserve_vcc 1
		.amdhsa_reserve_flat_scratch 0
		.amdhsa_float_round_mode_32 0
		.amdhsa_float_round_mode_16_64 0
		.amdhsa_float_denorm_mode_32 3
		.amdhsa_float_denorm_mode_16_64 3
		.amdhsa_dx10_clamp 1
		.amdhsa_ieee_mode 1
		.amdhsa_fp16_overflow 0
		.amdhsa_workgroup_processor_mode 1
		.amdhsa_memory_ordered 1
		.amdhsa_forward_progress 1
		.amdhsa_shared_vgpr_count 0
		.amdhsa_exception_fp_ieee_invalid_op 0
		.amdhsa_exception_fp_denorm_src 0
		.amdhsa_exception_fp_ieee_div_zero 0
		.amdhsa_exception_fp_ieee_overflow 0
		.amdhsa_exception_fp_ieee_underflow 0
		.amdhsa_exception_fp_ieee_inexact 0
		.amdhsa_exception_int_div_zero 0
	.end_amdhsa_kernel
	.section	.text._ZN12_GLOBAL__N_127rocblas_gemm_batched_kernelIDF16_Li16ELi16ELi32ELi32ELi8ELi32ELi8ELi8ELi32ELc84ELc78EKDF16_S1_DF16_EEvlllT_PT11_llS4_llS2_PT12_llPT13_lli,"axG",@progbits,_ZN12_GLOBAL__N_127rocblas_gemm_batched_kernelIDF16_Li16ELi16ELi32ELi32ELi8ELi32ELi8ELi8ELi32ELc84ELc78EKDF16_S1_DF16_EEvlllT_PT11_llS4_llS2_PT12_llPT13_lli,comdat
.Lfunc_end345:
	.size	_ZN12_GLOBAL__N_127rocblas_gemm_batched_kernelIDF16_Li16ELi16ELi32ELi32ELi8ELi32ELi8ELi8ELi32ELc84ELc78EKDF16_S1_DF16_EEvlllT_PT11_llS4_llS2_PT12_llPT13_lli, .Lfunc_end345-_ZN12_GLOBAL__N_127rocblas_gemm_batched_kernelIDF16_Li16ELi16ELi32ELi32ELi8ELi32ELi8ELi8ELi32ELc84ELc78EKDF16_S1_DF16_EEvlllT_PT11_llS4_llS2_PT12_llPT13_lli
                                        ; -- End function
	.set _ZN12_GLOBAL__N_127rocblas_gemm_batched_kernelIDF16_Li16ELi16ELi32ELi32ELi8ELi32ELi8ELi8ELi32ELc84ELc78EKDF16_S1_DF16_EEvlllT_PT11_llS4_llS2_PT12_llPT13_lli.num_vgpr, 28
	.set _ZN12_GLOBAL__N_127rocblas_gemm_batched_kernelIDF16_Li16ELi16ELi32ELi32ELi8ELi32ELi8ELi8ELi32ELc84ELc78EKDF16_S1_DF16_EEvlllT_PT11_llS4_llS2_PT12_llPT13_lli.num_agpr, 0
	.set _ZN12_GLOBAL__N_127rocblas_gemm_batched_kernelIDF16_Li16ELi16ELi32ELi32ELi8ELi32ELi8ELi8ELi32ELc84ELc78EKDF16_S1_DF16_EEvlllT_PT11_llS4_llS2_PT12_llPT13_lli.numbered_sgpr, 22
	.set _ZN12_GLOBAL__N_127rocblas_gemm_batched_kernelIDF16_Li16ELi16ELi32ELi32ELi8ELi32ELi8ELi8ELi32ELc84ELc78EKDF16_S1_DF16_EEvlllT_PT11_llS4_llS2_PT12_llPT13_lli.num_named_barrier, 0
	.set _ZN12_GLOBAL__N_127rocblas_gemm_batched_kernelIDF16_Li16ELi16ELi32ELi32ELi8ELi32ELi8ELi8ELi32ELc84ELc78EKDF16_S1_DF16_EEvlllT_PT11_llS4_llS2_PT12_llPT13_lli.private_seg_size, 0
	.set _ZN12_GLOBAL__N_127rocblas_gemm_batched_kernelIDF16_Li16ELi16ELi32ELi32ELi8ELi32ELi8ELi8ELi32ELc84ELc78EKDF16_S1_DF16_EEvlllT_PT11_llS4_llS2_PT12_llPT13_lli.uses_vcc, 1
	.set _ZN12_GLOBAL__N_127rocblas_gemm_batched_kernelIDF16_Li16ELi16ELi32ELi32ELi8ELi32ELi8ELi8ELi32ELc84ELc78EKDF16_S1_DF16_EEvlllT_PT11_llS4_llS2_PT12_llPT13_lli.uses_flat_scratch, 0
	.set _ZN12_GLOBAL__N_127rocblas_gemm_batched_kernelIDF16_Li16ELi16ELi32ELi32ELi8ELi32ELi8ELi8ELi32ELc84ELc78EKDF16_S1_DF16_EEvlllT_PT11_llS4_llS2_PT12_llPT13_lli.has_dyn_sized_stack, 0
	.set _ZN12_GLOBAL__N_127rocblas_gemm_batched_kernelIDF16_Li16ELi16ELi32ELi32ELi8ELi32ELi8ELi8ELi32ELc84ELc78EKDF16_S1_DF16_EEvlllT_PT11_llS4_llS2_PT12_llPT13_lli.has_recursion, 0
	.set _ZN12_GLOBAL__N_127rocblas_gemm_batched_kernelIDF16_Li16ELi16ELi32ELi32ELi8ELi32ELi8ELi8ELi32ELc84ELc78EKDF16_S1_DF16_EEvlllT_PT11_llS4_llS2_PT12_llPT13_lli.has_indirect_call, 0
	.section	.AMDGPU.csdata,"",@progbits
; Kernel info:
; codeLenInByte = 1504
; TotalNumSgprs: 24
; NumVgprs: 28
; ScratchSize: 0
; MemoryBound: 0
; FloatMode: 240
; IeeeMode: 1
; LDSByteSize: 1024 bytes/workgroup (compile time only)
; SGPRBlocks: 0
; VGPRBlocks: 3
; NumSGPRsForWavesPerEU: 24
; NumVGPRsForWavesPerEU: 28
; Occupancy: 16
; WaveLimiterHint : 0
; COMPUTE_PGM_RSRC2:SCRATCH_EN: 0
; COMPUTE_PGM_RSRC2:USER_SGPR: 6
; COMPUTE_PGM_RSRC2:TRAP_HANDLER: 0
; COMPUTE_PGM_RSRC2:TGID_X_EN: 1
; COMPUTE_PGM_RSRC2:TGID_Y_EN: 1
; COMPUTE_PGM_RSRC2:TGID_Z_EN: 1
; COMPUTE_PGM_RSRC2:TIDIG_COMP_CNT: 1
	.section	.text._ZN12_GLOBAL__N_127rocblas_gemm_batched_kernelIDF16_Li16ELi16ELi32ELi32ELi8ELi32ELi8ELi8ELi32ELc78ELc84EKDF16_S1_DF16_EEvlllT_PT11_llS4_llS2_PT12_llPT13_lli,"axG",@progbits,_ZN12_GLOBAL__N_127rocblas_gemm_batched_kernelIDF16_Li16ELi16ELi32ELi32ELi8ELi32ELi8ELi8ELi32ELc78ELc84EKDF16_S1_DF16_EEvlllT_PT11_llS4_llS2_PT12_llPT13_lli,comdat
	.globl	_ZN12_GLOBAL__N_127rocblas_gemm_batched_kernelIDF16_Li16ELi16ELi32ELi32ELi8ELi32ELi8ELi8ELi32ELc78ELc84EKDF16_S1_DF16_EEvlllT_PT11_llS4_llS2_PT12_llPT13_lli ; -- Begin function _ZN12_GLOBAL__N_127rocblas_gemm_batched_kernelIDF16_Li16ELi16ELi32ELi32ELi8ELi32ELi8ELi8ELi32ELc78ELc84EKDF16_S1_DF16_EEvlllT_PT11_llS4_llS2_PT12_llPT13_lli
	.p2align	8
	.type	_ZN12_GLOBAL__N_127rocblas_gemm_batched_kernelIDF16_Li16ELi16ELi32ELi32ELi8ELi32ELi8ELi8ELi32ELc78ELc84EKDF16_S1_DF16_EEvlllT_PT11_llS4_llS2_PT12_llPT13_lli,@function
_ZN12_GLOBAL__N_127rocblas_gemm_batched_kernelIDF16_Li16ELi16ELi32ELi32ELi8ELi32ELi8ELi8ELi32ELc78ELc84EKDF16_S1_DF16_EEvlllT_PT11_llS4_llS2_PT12_llPT13_lli: ; @_ZN12_GLOBAL__N_127rocblas_gemm_batched_kernelIDF16_Li16ELi16ELi32ELi32ELi8ELi32ELi8ELi8ELi32ELc78ELc84EKDF16_S1_DF16_EEvlllT_PT11_llS4_llS2_PT12_llPT13_lli
; %bb.0:
	s_load_dwordx2 s[20:21], s[4:5], 0x10
	s_mov_b32 s0, s7
	v_mov_b32_e32 v3, 0
	s_ashr_i32 s7, s6, 31
	s_ashr_i32 s1, s0, 31
	s_lshl_b64 s[6:7], s[6:7], 5
	s_lshl_b64 s[10:11], s[0:1], 5
	s_waitcnt lgkmcnt(0)
	v_cmp_lt_i64_e64 s2, s[20:21], 1
	s_and_b32 vcc_lo, exec_lo, s2
	s_cbranch_vccnz .LBB346_3
; %bb.1:
	v_lshlrev_b32_e32 v4, 4, v1
	s_clause 0x1
	s_load_dwordx4 s[0:3], s[4:5], 0x40
	s_load_dwordx8 s[12:19], s[4:5], 0x20
	v_and_b32_e32 v12, 7, v0
	v_lshlrev_b32_e32 v8, 1, v0
	v_add_nc_u32_e32 v5, v4, v0
	v_add_nc_u32_e32 v9, 0x200, v4
	v_lshlrev_b32_e32 v6, 1, v12
	v_and_b32_e32 v15, 31, v5
	v_lshrrev_b32_e32 v2, 3, v5
	v_lshrrev_b32_e32 v14, 5, v5
	v_lshlrev_b32_e32 v5, 1, v15
	v_lshl_or_b32 v6, v2, 4, v6
	v_lshl_or_b32 v10, v14, 6, v5
	s_waitcnt lgkmcnt(0)
	v_mad_u64_u32 v[4:5], null, s0, v12, v[2:3]
	v_add_nc_u32_e32 v11, 0x200, v6
	v_mad_u64_u32 v[6:7], null, s14, v14, s[6:7]
	s_mul_i32 s3, s3, s8
	s_mul_hi_u32 s9, s2, s8
	s_mul_i32 s2, s2, s8
	v_mov_b32_e32 v2, v5
	v_add_co_u32 v4, vcc_lo, v4, s10
	v_mov_b32_e32 v5, v7
	s_add_i32 s3, s9, s3
	v_mad_u64_u32 v[12:13], null, s1, v12, v[2:3]
	s_lshl_b64 s[2:3], s[2:3], 1
	v_mad_u64_u32 v[13:14], null, s15, v14, v[5:6]
	s_mul_i32 s17, s17, s8
	s_mul_hi_u32 s9, s16, s8
	s_add_u32 s18, s18, s2
	v_add_co_ci_u32_e64 v5, null, s11, v12, vcc_lo
	v_add_co_u32 v6, vcc_lo, v6, v15
	v_add_co_ci_u32_e64 v7, null, 0, v13, vcc_lo
	v_lshlrev_b64 v[4:5], 1, v[4:5]
	s_mul_i32 s16, s16, s8
	s_addc_u32 s19, s19, s3
	s_add_i32 s17, s9, s17
	v_lshlrev_b64 v[6:7], 1, v[6:7]
	s_lshl_b64 s[2:3], s[16:17], 1
	s_lshl_b64 s[0:1], s[0:1], 4
	s_add_u32 s2, s12, s2
	v_add_co_u32 v4, vcc_lo, s18, v4
	v_add_co_ci_u32_e64 v5, null, s19, v5, vcc_lo
	s_addc_u32 s3, s13, s3
	v_add_co_u32 v6, vcc_lo, s2, v6
	v_add_co_ci_u32_e64 v7, null, s3, v7, vcc_lo
	v_mov_b32_e32 v2, 0
	s_lshl_b64 s[2:3], s[14:15], 4
	s_mov_b64 s[12:13], 0
.LBB346_2:                              ; =>This Inner Loop Header: Depth=1
	global_load_ushort v12, v[6:7], off
	global_load_ushort v13, v[4:5], off
	s_add_u32 s12, s12, 8
	s_addc_u32 s13, s13, 0
	v_add_co_u32 v4, vcc_lo, v4, s0
	v_cmp_lt_i64_e64 s9, s[12:13], s[20:21]
	v_add_co_ci_u32_e64 v5, null, s1, v5, vcc_lo
	v_add_co_u32 v6, vcc_lo, v6, s2
	v_add_co_ci_u32_e64 v7, null, s3, v7, vcc_lo
	s_and_b32 vcc_lo, exec_lo, s9
	s_waitcnt vmcnt(1)
	ds_write_b16 v10, v12
	s_waitcnt vmcnt(0)
	ds_write_b16 v11, v13
	s_waitcnt lgkmcnt(0)
	s_barrier
	buffer_gl0_inv
	ds_read_u16 v20, v8 offset:32
	ds_read_u16 v21, v8 offset:96
	;; [unrolled: 1-line block ×3, first 2 shown]
	ds_read_b128 v[12:15], v9
	ds_read_b128 v[16:19], v9 offset:256
	ds_read_u16 v23, v8 offset:224
	ds_read_u16 v24, v8 offset:288
	;; [unrolled: 1-line block ×5, first 2 shown]
	s_waitcnt lgkmcnt(9)
	ds_read_u16_d16_hi v20, v8
	s_waitcnt lgkmcnt(9)
	ds_read_u16_d16_hi v21, v8 offset:64
	s_waitcnt lgkmcnt(9)
	ds_read_u16_d16_hi v22, v8 offset:128
	;; [unrolled: 2-line block ×7, first 2 shown]
	s_waitcnt lgkmcnt(0)
	s_barrier
	buffer_gl0_inv
	v_pk_fma_f16 v3, v20, v12, v3 op_sel_hi:[1,0,1]
	v_pk_fma_f16 v2, v20, v16, v2 op_sel_hi:[1,0,1]
	v_pk_fma_f16 v3, v21, v12, v3 op_sel:[0,1,0]
	v_pk_fma_f16 v2, v21, v16, v2 op_sel:[0,1,0]
	v_pk_fma_f16 v3, v22, v13, v3 op_sel_hi:[1,0,1]
	v_pk_fma_f16 v2, v22, v17, v2 op_sel_hi:[1,0,1]
	v_pk_fma_f16 v3, v23, v13, v3 op_sel:[0,1,0]
	v_pk_fma_f16 v2, v23, v17, v2 op_sel:[0,1,0]
	;; [unrolled: 4-line block ×4, first 2 shown]
	s_cbranch_vccnz .LBB346_2
	s_branch .LBB346_4
.LBB346_3:
	v_mov_b32_e32 v2, 0
.LBB346_4:
	s_clause 0x3
	s_load_dwordx4 s[0:3], s[4:5], 0x78
	s_load_dword s9, s[4:5], 0x50
	s_load_dwordx8 s[12:19], s[4:5], 0x58
	s_load_dword s4, s[4:5], 0x18
	v_add_co_u32 v7, s5, s6, v0
	v_add_co_ci_u32_e64 v8, null, s7, 0, s5
	v_add_co_u32 v6, s5, s10, v1
	v_add_co_ci_u32_e64 v9, null, s11, 0, s5
	v_lshlrev_b64 v[0:1], 1, v[7:8]
	v_lshrrev_b32_e32 v5, 16, v3
	v_lshrrev_b32_e32 v4, 16, v2
	s_waitcnt lgkmcnt(0)
	s_mul_i32 s3, s3, s8
	s_mul_hi_u32 s5, s2, s8
	v_mul_lo_u32 v7, v9, s0
	v_mul_lo_u32 v8, v6, s1
	s_mul_i32 s2, s2, s8
	v_cmp_neq_f16_e64 s6, s9, 0
	s_add_i32 s3, s5, s3
	s_mov_b32 s5, 0
	s_lshl_b64 s[2:3], s[2:3], 1
	s_add_u32 s2, s18, s2
	s_addc_u32 s3, s19, s3
	s_and_b32 vcc_lo, exec_lo, s6
	s_cbranch_vccnz .LBB346_8
; %bb.5:
	v_mad_u64_u32 v[10:11], null, v6, s0, 0
	s_lshl_b64 s[6:7], s[0:1], 5
	v_mul_f16_sdwa v14, s4, v3 dst_sel:DWORD dst_unused:UNUSED_PAD src0_sel:DWORD src1_sel:WORD_1
	v_mul_f16_e32 v15, s4, v3
	v_mul_f16_sdwa v16, s4, v2 dst_sel:DWORD dst_unused:UNUSED_PAD src0_sel:DWORD src1_sel:WORD_1
	v_mul_f16_e32 v17, s4, v2
	v_add3_u32 v11, v11, v8, v7
	v_lshlrev_b64 v[10:11], 1, v[10:11]
	v_add_co_u32 v10, vcc_lo, s2, v10
	v_add_co_ci_u32_e64 v11, null, s3, v11, vcc_lo
	v_add_co_u32 v12, vcc_lo, v10, s6
	v_add_co_ci_u32_e64 v13, null, s7, v11, vcc_lo
	;; [unrolled: 2-line block ×4, first 2 shown]
	global_store_short v[10:11], v14, off
	global_store_short v[10:11], v15, off offset:32
	global_store_short v[12:13], v16, off
	global_store_short v[12:13], v17, off offset:32
	s_andn2_b32 vcc_lo, exec_lo, s5
	s_cbranch_vccnz .LBB346_7
.LBB346_6:
	v_mul_lo_u32 v11, v9, s14
	v_mul_lo_u32 v12, v6, s15
	v_mad_u64_u32 v[9:10], null, v6, s14, 0
	s_mul_i32 s5, s17, s8
	s_mul_hi_u32 s7, s16, s8
	s_mul_i32 s6, s16, s8
	s_add_i32 s7, s7, s5
	s_lshl_b64 s[6:7], s[6:7], 1
	v_add3_u32 v10, v10, v12, v11
	s_add_u32 s5, s12, s6
	s_addc_u32 s6, s13, s7
	v_mad_u64_u32 v[11:12], null, v6, s0, 0
	v_lshlrev_b64 v[9:10], 1, v[9:10]
	s_lshl_b64 s[0:1], s[0:1], 5
	v_add3_u32 v12, v12, v8, v7
	v_add_co_u32 v13, vcc_lo, s5, v9
	v_add_co_ci_u32_e64 v14, null, s6, v10, vcc_lo
	v_lshlrev_b64 v[6:7], 1, v[11:12]
	v_add_co_u32 v9, vcc_lo, v13, v0
	v_add_co_ci_u32_e64 v10, null, v14, v1, vcc_lo
	v_add_co_u32 v11, vcc_lo, s2, v6
	global_load_ushort v15, v[9:10], off
	v_add_co_ci_u32_e64 v12, null, s3, v7, vcc_lo
	v_add_co_u32 v6, vcc_lo, v11, v0
	s_lshl_b64 s[2:3], s[14:15], 5
	v_add_co_ci_u32_e64 v7, null, v12, v1, vcc_lo
	s_waitcnt vmcnt(0)
	v_mul_f16_e32 v8, s9, v15
	v_fmac_f16_e32 v8, s4, v5
	global_store_short v[6:7], v8, off
	global_load_ushort v5, v[9:10], off offset:32
	v_add_co_u32 v8, vcc_lo, v13, s2
	v_add_co_ci_u32_e64 v9, null, s3, v14, vcc_lo
	v_add_co_u32 v8, vcc_lo, v8, v0
	v_add_co_ci_u32_e64 v9, null, v9, v1, vcc_lo
	s_waitcnt vmcnt(0)
	v_mul_f16_e32 v5, s9, v5
	v_fmac_f16_e32 v5, s4, v3
	global_store_short v[6:7], v5, off offset:32
	global_load_ushort v3, v[8:9], off
	v_add_co_u32 v5, vcc_lo, v11, s0
	v_add_co_ci_u32_e64 v6, null, s1, v12, vcc_lo
	v_add_co_u32 v0, vcc_lo, v5, v0
	v_add_co_ci_u32_e64 v1, null, v6, v1, vcc_lo
	s_waitcnt vmcnt(0)
	v_mul_f16_e32 v3, s9, v3
	v_fmac_f16_e32 v3, s4, v4
	global_store_short v[0:1], v3, off
	global_load_ushort v3, v[8:9], off offset:32
	s_waitcnt vmcnt(0)
	v_mul_f16_e32 v3, s9, v3
	v_fmac_f16_e32 v3, s4, v2
	global_store_short v[0:1], v3, off offset:32
.LBB346_7:
	s_endpgm
.LBB346_8:
	s_branch .LBB346_6
	.section	.rodata,"a",@progbits
	.p2align	6, 0x0
	.amdhsa_kernel _ZN12_GLOBAL__N_127rocblas_gemm_batched_kernelIDF16_Li16ELi16ELi32ELi32ELi8ELi32ELi8ELi8ELi32ELc78ELc84EKDF16_S1_DF16_EEvlllT_PT11_llS4_llS2_PT12_llPT13_lli
		.amdhsa_group_segment_fixed_size 1024
		.amdhsa_private_segment_fixed_size 0
		.amdhsa_kernarg_size 140
		.amdhsa_user_sgpr_count 6
		.amdhsa_user_sgpr_private_segment_buffer 1
		.amdhsa_user_sgpr_dispatch_ptr 0
		.amdhsa_user_sgpr_queue_ptr 0
		.amdhsa_user_sgpr_kernarg_segment_ptr 1
		.amdhsa_user_sgpr_dispatch_id 0
		.amdhsa_user_sgpr_flat_scratch_init 0
		.amdhsa_user_sgpr_private_segment_size 0
		.amdhsa_wavefront_size32 1
		.amdhsa_uses_dynamic_stack 0
		.amdhsa_system_sgpr_private_segment_wavefront_offset 0
		.amdhsa_system_sgpr_workgroup_id_x 1
		.amdhsa_system_sgpr_workgroup_id_y 1
		.amdhsa_system_sgpr_workgroup_id_z 1
		.amdhsa_system_sgpr_workgroup_info 0
		.amdhsa_system_vgpr_workitem_id 1
		.amdhsa_next_free_vgpr 28
		.amdhsa_next_free_sgpr 22
		.amdhsa_reserve_vcc 1
		.amdhsa_reserve_flat_scratch 0
		.amdhsa_float_round_mode_32 0
		.amdhsa_float_round_mode_16_64 0
		.amdhsa_float_denorm_mode_32 3
		.amdhsa_float_denorm_mode_16_64 3
		.amdhsa_dx10_clamp 1
		.amdhsa_ieee_mode 1
		.amdhsa_fp16_overflow 0
		.amdhsa_workgroup_processor_mode 1
		.amdhsa_memory_ordered 1
		.amdhsa_forward_progress 1
		.amdhsa_shared_vgpr_count 0
		.amdhsa_exception_fp_ieee_invalid_op 0
		.amdhsa_exception_fp_denorm_src 0
		.amdhsa_exception_fp_ieee_div_zero 0
		.amdhsa_exception_fp_ieee_overflow 0
		.amdhsa_exception_fp_ieee_underflow 0
		.amdhsa_exception_fp_ieee_inexact 0
		.amdhsa_exception_int_div_zero 0
	.end_amdhsa_kernel
	.section	.text._ZN12_GLOBAL__N_127rocblas_gemm_batched_kernelIDF16_Li16ELi16ELi32ELi32ELi8ELi32ELi8ELi8ELi32ELc78ELc84EKDF16_S1_DF16_EEvlllT_PT11_llS4_llS2_PT12_llPT13_lli,"axG",@progbits,_ZN12_GLOBAL__N_127rocblas_gemm_batched_kernelIDF16_Li16ELi16ELi32ELi32ELi8ELi32ELi8ELi8ELi32ELc78ELc84EKDF16_S1_DF16_EEvlllT_PT11_llS4_llS2_PT12_llPT13_lli,comdat
.Lfunc_end346:
	.size	_ZN12_GLOBAL__N_127rocblas_gemm_batched_kernelIDF16_Li16ELi16ELi32ELi32ELi8ELi32ELi8ELi8ELi32ELc78ELc84EKDF16_S1_DF16_EEvlllT_PT11_llS4_llS2_PT12_llPT13_lli, .Lfunc_end346-_ZN12_GLOBAL__N_127rocblas_gemm_batched_kernelIDF16_Li16ELi16ELi32ELi32ELi8ELi32ELi8ELi8ELi32ELc78ELc84EKDF16_S1_DF16_EEvlllT_PT11_llS4_llS2_PT12_llPT13_lli
                                        ; -- End function
	.set _ZN12_GLOBAL__N_127rocblas_gemm_batched_kernelIDF16_Li16ELi16ELi32ELi32ELi8ELi32ELi8ELi8ELi32ELc78ELc84EKDF16_S1_DF16_EEvlllT_PT11_llS4_llS2_PT12_llPT13_lli.num_vgpr, 28
	.set _ZN12_GLOBAL__N_127rocblas_gemm_batched_kernelIDF16_Li16ELi16ELi32ELi32ELi8ELi32ELi8ELi8ELi32ELc78ELc84EKDF16_S1_DF16_EEvlllT_PT11_llS4_llS2_PT12_llPT13_lli.num_agpr, 0
	.set _ZN12_GLOBAL__N_127rocblas_gemm_batched_kernelIDF16_Li16ELi16ELi32ELi32ELi8ELi32ELi8ELi8ELi32ELc78ELc84EKDF16_S1_DF16_EEvlllT_PT11_llS4_llS2_PT12_llPT13_lli.numbered_sgpr, 22
	.set _ZN12_GLOBAL__N_127rocblas_gemm_batched_kernelIDF16_Li16ELi16ELi32ELi32ELi8ELi32ELi8ELi8ELi32ELc78ELc84EKDF16_S1_DF16_EEvlllT_PT11_llS4_llS2_PT12_llPT13_lli.num_named_barrier, 0
	.set _ZN12_GLOBAL__N_127rocblas_gemm_batched_kernelIDF16_Li16ELi16ELi32ELi32ELi8ELi32ELi8ELi8ELi32ELc78ELc84EKDF16_S1_DF16_EEvlllT_PT11_llS4_llS2_PT12_llPT13_lli.private_seg_size, 0
	.set _ZN12_GLOBAL__N_127rocblas_gemm_batched_kernelIDF16_Li16ELi16ELi32ELi32ELi8ELi32ELi8ELi8ELi32ELc78ELc84EKDF16_S1_DF16_EEvlllT_PT11_llS4_llS2_PT12_llPT13_lli.uses_vcc, 1
	.set _ZN12_GLOBAL__N_127rocblas_gemm_batched_kernelIDF16_Li16ELi16ELi32ELi32ELi8ELi32ELi8ELi8ELi32ELc78ELc84EKDF16_S1_DF16_EEvlllT_PT11_llS4_llS2_PT12_llPT13_lli.uses_flat_scratch, 0
	.set _ZN12_GLOBAL__N_127rocblas_gemm_batched_kernelIDF16_Li16ELi16ELi32ELi32ELi8ELi32ELi8ELi8ELi32ELc78ELc84EKDF16_S1_DF16_EEvlllT_PT11_llS4_llS2_PT12_llPT13_lli.has_dyn_sized_stack, 0
	.set _ZN12_GLOBAL__N_127rocblas_gemm_batched_kernelIDF16_Li16ELi16ELi32ELi32ELi8ELi32ELi8ELi8ELi32ELc78ELc84EKDF16_S1_DF16_EEvlllT_PT11_llS4_llS2_PT12_llPT13_lli.has_recursion, 0
	.set _ZN12_GLOBAL__N_127rocblas_gemm_batched_kernelIDF16_Li16ELi16ELi32ELi32ELi8ELi32ELi8ELi8ELi32ELc78ELc84EKDF16_S1_DF16_EEvlllT_PT11_llS4_llS2_PT12_llPT13_lli.has_indirect_call, 0
	.section	.AMDGPU.csdata,"",@progbits
; Kernel info:
; codeLenInByte = 1432
; TotalNumSgprs: 24
; NumVgprs: 28
; ScratchSize: 0
; MemoryBound: 0
; FloatMode: 240
; IeeeMode: 1
; LDSByteSize: 1024 bytes/workgroup (compile time only)
; SGPRBlocks: 0
; VGPRBlocks: 3
; NumSGPRsForWavesPerEU: 24
; NumVGPRsForWavesPerEU: 28
; Occupancy: 16
; WaveLimiterHint : 0
; COMPUTE_PGM_RSRC2:SCRATCH_EN: 0
; COMPUTE_PGM_RSRC2:USER_SGPR: 6
; COMPUTE_PGM_RSRC2:TRAP_HANDLER: 0
; COMPUTE_PGM_RSRC2:TGID_X_EN: 1
; COMPUTE_PGM_RSRC2:TGID_Y_EN: 1
; COMPUTE_PGM_RSRC2:TGID_Z_EN: 1
; COMPUTE_PGM_RSRC2:TIDIG_COMP_CNT: 1
	.section	.text._ZN12_GLOBAL__N_127rocblas_gemm_batched_kernelIDF16_Li16ELi16ELi32ELi32ELi8ELi32ELi8ELi8ELi32ELc84ELc84EKDF16_S1_DF16_EEvlllT_PT11_llS4_llS2_PT12_llPT13_lli,"axG",@progbits,_ZN12_GLOBAL__N_127rocblas_gemm_batched_kernelIDF16_Li16ELi16ELi32ELi32ELi8ELi32ELi8ELi8ELi32ELc84ELc84EKDF16_S1_DF16_EEvlllT_PT11_llS4_llS2_PT12_llPT13_lli,comdat
	.globl	_ZN12_GLOBAL__N_127rocblas_gemm_batched_kernelIDF16_Li16ELi16ELi32ELi32ELi8ELi32ELi8ELi8ELi32ELc84ELc84EKDF16_S1_DF16_EEvlllT_PT11_llS4_llS2_PT12_llPT13_lli ; -- Begin function _ZN12_GLOBAL__N_127rocblas_gemm_batched_kernelIDF16_Li16ELi16ELi32ELi32ELi8ELi32ELi8ELi8ELi32ELc84ELc84EKDF16_S1_DF16_EEvlllT_PT11_llS4_llS2_PT12_llPT13_lli
	.p2align	8
	.type	_ZN12_GLOBAL__N_127rocblas_gemm_batched_kernelIDF16_Li16ELi16ELi32ELi32ELi8ELi32ELi8ELi8ELi32ELc84ELc84EKDF16_S1_DF16_EEvlllT_PT11_llS4_llS2_PT12_llPT13_lli,@function
_ZN12_GLOBAL__N_127rocblas_gemm_batched_kernelIDF16_Li16ELi16ELi32ELi32ELi8ELi32ELi8ELi8ELi32ELc84ELc84EKDF16_S1_DF16_EEvlllT_PT11_llS4_llS2_PT12_llPT13_lli: ; @_ZN12_GLOBAL__N_127rocblas_gemm_batched_kernelIDF16_Li16ELi16ELi32ELi32ELi8ELi32ELi8ELi8ELi32ELc84ELc84EKDF16_S1_DF16_EEvlllT_PT11_llS4_llS2_PT12_llPT13_lli
; %bb.0:
	s_load_dwordx2 s[20:21], s[4:5], 0x10
	s_mov_b32 s0, s7
	v_mov_b32_e32 v3, 0
	s_ashr_i32 s7, s6, 31
	s_ashr_i32 s1, s0, 31
	s_lshl_b64 s[6:7], s[6:7], 5
	s_lshl_b64 s[10:11], s[0:1], 5
	s_waitcnt lgkmcnt(0)
	v_cmp_lt_i64_e64 s2, s[20:21], 1
	s_and_b32 vcc_lo, exec_lo, s2
	s_cbranch_vccnz .LBB347_3
; %bb.1:
	v_lshlrev_b32_e32 v4, 4, v1
	s_clause 0x1
	s_load_dwordx8 s[12:19], s[4:5], 0x20
	s_load_dwordx4 s[0:3], s[4:5], 0x40
	v_and_b32_e32 v12, 7, v0
	v_lshlrev_b32_e32 v8, 1, v0
	v_add_nc_u32_e32 v5, v4, v0
	v_add_nc_u32_e32 v9, 0x200, v4
	v_lshlrev_b32_e32 v6, 1, v12
	v_and_b32_e32 v7, 31, v5
	v_lshrrev_b32_e32 v2, 3, v5
	v_lshrrev_b32_e32 v15, 5, v5
	v_lshlrev_b32_e32 v4, 1, v7
	v_lshl_or_b32 v11, v2, 4, v6
	v_add_co_u32 v6, s9, s6, v7
	v_add_co_ci_u32_e64 v7, null, s7, 0, s9
	v_lshl_or_b32 v10, v15, 6, v4
	s_waitcnt lgkmcnt(0)
	v_mad_u64_u32 v[4:5], null, s0, v12, v[2:3]
	v_mul_lo_u32 v13, s15, v6
	v_mul_lo_u32 v14, s14, v7
	v_mad_u64_u32 v[6:7], null, s14, v6, 0
	s_mul_i32 s3, s3, s8
	s_mul_hi_u32 s9, s2, s8
	v_mov_b32_e32 v2, v5
	s_mul_i32 s2, s2, s8
	s_add_i32 s3, s9, s3
	v_add_nc_u32_e32 v11, 0x200, v11
	v_add3_u32 v7, v7, v14, v13
	v_mad_u64_u32 v[12:13], null, s1, v12, v[2:3]
	s_lshl_b64 s[2:3], s[2:3], 1
	v_add_co_u32 v13, vcc_lo, v4, s10
	s_add_u32 s9, s18, s2
	s_addc_u32 s14, s19, s3
	s_mul_i32 s2, s17, s8
	s_mul_hi_u32 s3, s16, s8
	v_lshlrev_b64 v[5:6], 1, v[6:7]
	s_add_i32 s3, s3, s2
	s_mul_i32 s2, s16, s8
	v_add_co_ci_u32_e64 v14, null, s11, v12, vcc_lo
	s_lshl_b64 s[2:3], s[2:3], 1
	v_lshlrev_b32_e32 v2, 1, v15
	v_add_co_u32 v7, vcc_lo, v5, s2
	v_add_co_ci_u32_e64 v6, null, s3, v6, vcc_lo
	v_lshlrev_b64 v[4:5], 1, v[13:14]
	v_add_co_u32 v2, vcc_lo, v7, v2
	v_add_co_ci_u32_e64 v7, null, 0, v6, vcc_lo
	s_lshl_b64 s[0:1], s[0:1], 4
	v_add_co_u32 v4, vcc_lo, s9, v4
	v_add_co_ci_u32_e64 v5, null, s14, v5, vcc_lo
	v_add_co_u32 v6, vcc_lo, s12, v2
	v_add_co_ci_u32_e64 v7, null, s13, v7, vcc_lo
	v_mov_b32_e32 v2, 0
	s_mov_b64 s[2:3], 0
.LBB347_2:                              ; =>This Inner Loop Header: Depth=1
	global_load_ushort v12, v[6:7], off
	global_load_ushort v13, v[4:5], off
	s_add_u32 s2, s2, 8
	s_addc_u32 s3, s3, 0
	v_add_co_u32 v4, vcc_lo, v4, s0
	v_cmp_lt_i64_e64 s9, s[2:3], s[20:21]
	v_add_co_ci_u32_e64 v5, null, s1, v5, vcc_lo
	v_add_co_u32 v6, vcc_lo, v6, 16
	v_add_co_ci_u32_e64 v7, null, 0, v7, vcc_lo
	s_and_b32 vcc_lo, exec_lo, s9
	s_waitcnt vmcnt(1)
	ds_write_b16 v10, v12
	s_waitcnt vmcnt(0)
	ds_write_b16 v11, v13
	s_waitcnt lgkmcnt(0)
	s_barrier
	buffer_gl0_inv
	ds_read_u16 v20, v8 offset:32
	ds_read_u16 v21, v8 offset:96
	ds_read_u16 v22, v8 offset:160
	ds_read_b128 v[12:15], v9
	ds_read_b128 v[16:19], v9 offset:256
	ds_read_u16 v23, v8 offset:224
	ds_read_u16 v24, v8 offset:288
	;; [unrolled: 1-line block ×5, first 2 shown]
	s_waitcnt lgkmcnt(9)
	ds_read_u16_d16_hi v20, v8
	s_waitcnt lgkmcnt(9)
	ds_read_u16_d16_hi v21, v8 offset:64
	s_waitcnt lgkmcnt(9)
	ds_read_u16_d16_hi v22, v8 offset:128
	;; [unrolled: 2-line block ×7, first 2 shown]
	s_waitcnt lgkmcnt(0)
	s_barrier
	buffer_gl0_inv
	v_pk_fma_f16 v3, v20, v12, v3 op_sel_hi:[1,0,1]
	v_pk_fma_f16 v2, v20, v16, v2 op_sel_hi:[1,0,1]
	v_pk_fma_f16 v3, v21, v12, v3 op_sel:[0,1,0]
	v_pk_fma_f16 v2, v21, v16, v2 op_sel:[0,1,0]
	v_pk_fma_f16 v3, v22, v13, v3 op_sel_hi:[1,0,1]
	v_pk_fma_f16 v2, v22, v17, v2 op_sel_hi:[1,0,1]
	v_pk_fma_f16 v3, v23, v13, v3 op_sel:[0,1,0]
	v_pk_fma_f16 v2, v23, v17, v2 op_sel:[0,1,0]
	;; [unrolled: 4-line block ×4, first 2 shown]
	s_cbranch_vccnz .LBB347_2
	s_branch .LBB347_4
.LBB347_3:
	v_mov_b32_e32 v2, 0
.LBB347_4:
	s_clause 0x3
	s_load_dwordx4 s[0:3], s[4:5], 0x78
	s_load_dword s9, s[4:5], 0x50
	s_load_dwordx8 s[12:19], s[4:5], 0x58
	s_load_dword s4, s[4:5], 0x18
	v_add_co_u32 v7, s5, s6, v0
	v_add_co_ci_u32_e64 v8, null, s7, 0, s5
	v_add_co_u32 v6, s5, s10, v1
	v_add_co_ci_u32_e64 v9, null, s11, 0, s5
	v_lshlrev_b64 v[0:1], 1, v[7:8]
	v_lshrrev_b32_e32 v5, 16, v3
	v_lshrrev_b32_e32 v4, 16, v2
	s_waitcnt lgkmcnt(0)
	s_mul_i32 s3, s3, s8
	s_mul_hi_u32 s5, s2, s8
	v_mul_lo_u32 v7, v9, s0
	v_mul_lo_u32 v8, v6, s1
	s_mul_i32 s2, s2, s8
	v_cmp_neq_f16_e64 s6, s9, 0
	s_add_i32 s3, s5, s3
	s_mov_b32 s5, 0
	s_lshl_b64 s[2:3], s[2:3], 1
	s_add_u32 s2, s18, s2
	s_addc_u32 s3, s19, s3
	s_and_b32 vcc_lo, exec_lo, s6
	s_cbranch_vccnz .LBB347_8
; %bb.5:
	v_mad_u64_u32 v[10:11], null, v6, s0, 0
	s_lshl_b64 s[6:7], s[0:1], 5
	v_mul_f16_sdwa v14, s4, v3 dst_sel:DWORD dst_unused:UNUSED_PAD src0_sel:DWORD src1_sel:WORD_1
	v_mul_f16_e32 v15, s4, v3
	v_mul_f16_sdwa v16, s4, v2 dst_sel:DWORD dst_unused:UNUSED_PAD src0_sel:DWORD src1_sel:WORD_1
	v_mul_f16_e32 v17, s4, v2
	v_add3_u32 v11, v11, v8, v7
	v_lshlrev_b64 v[10:11], 1, v[10:11]
	v_add_co_u32 v10, vcc_lo, s2, v10
	v_add_co_ci_u32_e64 v11, null, s3, v11, vcc_lo
	v_add_co_u32 v12, vcc_lo, v10, s6
	v_add_co_ci_u32_e64 v13, null, s7, v11, vcc_lo
	;; [unrolled: 2-line block ×4, first 2 shown]
	global_store_short v[10:11], v14, off
	global_store_short v[10:11], v15, off offset:32
	global_store_short v[12:13], v16, off
	global_store_short v[12:13], v17, off offset:32
	s_andn2_b32 vcc_lo, exec_lo, s5
	s_cbranch_vccnz .LBB347_7
.LBB347_6:
	v_mul_lo_u32 v11, v9, s14
	v_mul_lo_u32 v12, v6, s15
	v_mad_u64_u32 v[9:10], null, v6, s14, 0
	s_mul_i32 s5, s17, s8
	s_mul_hi_u32 s7, s16, s8
	s_mul_i32 s6, s16, s8
	s_add_i32 s7, s7, s5
	s_lshl_b64 s[6:7], s[6:7], 1
	v_add3_u32 v10, v10, v12, v11
	s_add_u32 s5, s12, s6
	s_addc_u32 s6, s13, s7
	v_mad_u64_u32 v[11:12], null, v6, s0, 0
	v_lshlrev_b64 v[9:10], 1, v[9:10]
	s_lshl_b64 s[0:1], s[0:1], 5
	v_add3_u32 v12, v12, v8, v7
	v_add_co_u32 v13, vcc_lo, s5, v9
	v_add_co_ci_u32_e64 v14, null, s6, v10, vcc_lo
	v_lshlrev_b64 v[6:7], 1, v[11:12]
	v_add_co_u32 v9, vcc_lo, v13, v0
	v_add_co_ci_u32_e64 v10, null, v14, v1, vcc_lo
	v_add_co_u32 v11, vcc_lo, s2, v6
	global_load_ushort v15, v[9:10], off
	v_add_co_ci_u32_e64 v12, null, s3, v7, vcc_lo
	v_add_co_u32 v6, vcc_lo, v11, v0
	s_lshl_b64 s[2:3], s[14:15], 5
	v_add_co_ci_u32_e64 v7, null, v12, v1, vcc_lo
	s_waitcnt vmcnt(0)
	v_mul_f16_e32 v8, s9, v15
	v_fmac_f16_e32 v8, s4, v5
	global_store_short v[6:7], v8, off
	global_load_ushort v5, v[9:10], off offset:32
	v_add_co_u32 v8, vcc_lo, v13, s2
	v_add_co_ci_u32_e64 v9, null, s3, v14, vcc_lo
	v_add_co_u32 v8, vcc_lo, v8, v0
	v_add_co_ci_u32_e64 v9, null, v9, v1, vcc_lo
	s_waitcnt vmcnt(0)
	v_mul_f16_e32 v5, s9, v5
	v_fmac_f16_e32 v5, s4, v3
	global_store_short v[6:7], v5, off offset:32
	global_load_ushort v3, v[8:9], off
	v_add_co_u32 v5, vcc_lo, v11, s0
	v_add_co_ci_u32_e64 v6, null, s1, v12, vcc_lo
	v_add_co_u32 v0, vcc_lo, v5, v0
	v_add_co_ci_u32_e64 v1, null, v6, v1, vcc_lo
	s_waitcnt vmcnt(0)
	v_mul_f16_e32 v3, s9, v3
	v_fmac_f16_e32 v3, s4, v4
	global_store_short v[0:1], v3, off
	global_load_ushort v3, v[8:9], off offset:32
	s_waitcnt vmcnt(0)
	v_mul_f16_e32 v3, s9, v3
	v_fmac_f16_e32 v3, s4, v2
	global_store_short v[0:1], v3, off offset:32
.LBB347_7:
	s_endpgm
.LBB347_8:
	s_branch .LBB347_6
	.section	.rodata,"a",@progbits
	.p2align	6, 0x0
	.amdhsa_kernel _ZN12_GLOBAL__N_127rocblas_gemm_batched_kernelIDF16_Li16ELi16ELi32ELi32ELi8ELi32ELi8ELi8ELi32ELc84ELc84EKDF16_S1_DF16_EEvlllT_PT11_llS4_llS2_PT12_llPT13_lli
		.amdhsa_group_segment_fixed_size 1024
		.amdhsa_private_segment_fixed_size 0
		.amdhsa_kernarg_size 140
		.amdhsa_user_sgpr_count 6
		.amdhsa_user_sgpr_private_segment_buffer 1
		.amdhsa_user_sgpr_dispatch_ptr 0
		.amdhsa_user_sgpr_queue_ptr 0
		.amdhsa_user_sgpr_kernarg_segment_ptr 1
		.amdhsa_user_sgpr_dispatch_id 0
		.amdhsa_user_sgpr_flat_scratch_init 0
		.amdhsa_user_sgpr_private_segment_size 0
		.amdhsa_wavefront_size32 1
		.amdhsa_uses_dynamic_stack 0
		.amdhsa_system_sgpr_private_segment_wavefront_offset 0
		.amdhsa_system_sgpr_workgroup_id_x 1
		.amdhsa_system_sgpr_workgroup_id_y 1
		.amdhsa_system_sgpr_workgroup_id_z 1
		.amdhsa_system_sgpr_workgroup_info 0
		.amdhsa_system_vgpr_workitem_id 1
		.amdhsa_next_free_vgpr 28
		.amdhsa_next_free_sgpr 22
		.amdhsa_reserve_vcc 1
		.amdhsa_reserve_flat_scratch 0
		.amdhsa_float_round_mode_32 0
		.amdhsa_float_round_mode_16_64 0
		.amdhsa_float_denorm_mode_32 3
		.amdhsa_float_denorm_mode_16_64 3
		.amdhsa_dx10_clamp 1
		.amdhsa_ieee_mode 1
		.amdhsa_fp16_overflow 0
		.amdhsa_workgroup_processor_mode 1
		.amdhsa_memory_ordered 1
		.amdhsa_forward_progress 1
		.amdhsa_shared_vgpr_count 0
		.amdhsa_exception_fp_ieee_invalid_op 0
		.amdhsa_exception_fp_denorm_src 0
		.amdhsa_exception_fp_ieee_div_zero 0
		.amdhsa_exception_fp_ieee_overflow 0
		.amdhsa_exception_fp_ieee_underflow 0
		.amdhsa_exception_fp_ieee_inexact 0
		.amdhsa_exception_int_div_zero 0
	.end_amdhsa_kernel
	.section	.text._ZN12_GLOBAL__N_127rocblas_gemm_batched_kernelIDF16_Li16ELi16ELi32ELi32ELi8ELi32ELi8ELi8ELi32ELc84ELc84EKDF16_S1_DF16_EEvlllT_PT11_llS4_llS2_PT12_llPT13_lli,"axG",@progbits,_ZN12_GLOBAL__N_127rocblas_gemm_batched_kernelIDF16_Li16ELi16ELi32ELi32ELi8ELi32ELi8ELi8ELi32ELc84ELc84EKDF16_S1_DF16_EEvlllT_PT11_llS4_llS2_PT12_llPT13_lli,comdat
.Lfunc_end347:
	.size	_ZN12_GLOBAL__N_127rocblas_gemm_batched_kernelIDF16_Li16ELi16ELi32ELi32ELi8ELi32ELi8ELi8ELi32ELc84ELc84EKDF16_S1_DF16_EEvlllT_PT11_llS4_llS2_PT12_llPT13_lli, .Lfunc_end347-_ZN12_GLOBAL__N_127rocblas_gemm_batched_kernelIDF16_Li16ELi16ELi32ELi32ELi8ELi32ELi8ELi8ELi32ELc84ELc84EKDF16_S1_DF16_EEvlllT_PT11_llS4_llS2_PT12_llPT13_lli
                                        ; -- End function
	.set _ZN12_GLOBAL__N_127rocblas_gemm_batched_kernelIDF16_Li16ELi16ELi32ELi32ELi8ELi32ELi8ELi8ELi32ELc84ELc84EKDF16_S1_DF16_EEvlllT_PT11_llS4_llS2_PT12_llPT13_lli.num_vgpr, 28
	.set _ZN12_GLOBAL__N_127rocblas_gemm_batched_kernelIDF16_Li16ELi16ELi32ELi32ELi8ELi32ELi8ELi8ELi32ELc84ELc84EKDF16_S1_DF16_EEvlllT_PT11_llS4_llS2_PT12_llPT13_lli.num_agpr, 0
	.set _ZN12_GLOBAL__N_127rocblas_gemm_batched_kernelIDF16_Li16ELi16ELi32ELi32ELi8ELi32ELi8ELi8ELi32ELc84ELc84EKDF16_S1_DF16_EEvlllT_PT11_llS4_llS2_PT12_llPT13_lli.numbered_sgpr, 22
	.set _ZN12_GLOBAL__N_127rocblas_gemm_batched_kernelIDF16_Li16ELi16ELi32ELi32ELi8ELi32ELi8ELi8ELi32ELc84ELc84EKDF16_S1_DF16_EEvlllT_PT11_llS4_llS2_PT12_llPT13_lli.num_named_barrier, 0
	.set _ZN12_GLOBAL__N_127rocblas_gemm_batched_kernelIDF16_Li16ELi16ELi32ELi32ELi8ELi32ELi8ELi8ELi32ELc84ELc84EKDF16_S1_DF16_EEvlllT_PT11_llS4_llS2_PT12_llPT13_lli.private_seg_size, 0
	.set _ZN12_GLOBAL__N_127rocblas_gemm_batched_kernelIDF16_Li16ELi16ELi32ELi32ELi8ELi32ELi8ELi8ELi32ELc84ELc84EKDF16_S1_DF16_EEvlllT_PT11_llS4_llS2_PT12_llPT13_lli.uses_vcc, 1
	.set _ZN12_GLOBAL__N_127rocblas_gemm_batched_kernelIDF16_Li16ELi16ELi32ELi32ELi8ELi32ELi8ELi8ELi32ELc84ELc84EKDF16_S1_DF16_EEvlllT_PT11_llS4_llS2_PT12_llPT13_lli.uses_flat_scratch, 0
	.set _ZN12_GLOBAL__N_127rocblas_gemm_batched_kernelIDF16_Li16ELi16ELi32ELi32ELi8ELi32ELi8ELi8ELi32ELc84ELc84EKDF16_S1_DF16_EEvlllT_PT11_llS4_llS2_PT12_llPT13_lli.has_dyn_sized_stack, 0
	.set _ZN12_GLOBAL__N_127rocblas_gemm_batched_kernelIDF16_Li16ELi16ELi32ELi32ELi8ELi32ELi8ELi8ELi32ELc84ELc84EKDF16_S1_DF16_EEvlllT_PT11_llS4_llS2_PT12_llPT13_lli.has_recursion, 0
	.set _ZN12_GLOBAL__N_127rocblas_gemm_batched_kernelIDF16_Li16ELi16ELi32ELi32ELi8ELi32ELi8ELi8ELi32ELc84ELc84EKDF16_S1_DF16_EEvlllT_PT11_llS4_llS2_PT12_llPT13_lli.has_indirect_call, 0
	.section	.AMDGPU.csdata,"",@progbits
; Kernel info:
; codeLenInByte = 1468
; TotalNumSgprs: 24
; NumVgprs: 28
; ScratchSize: 0
; MemoryBound: 0
; FloatMode: 240
; IeeeMode: 1
; LDSByteSize: 1024 bytes/workgroup (compile time only)
; SGPRBlocks: 0
; VGPRBlocks: 3
; NumSGPRsForWavesPerEU: 24
; NumVGPRsForWavesPerEU: 28
; Occupancy: 16
; WaveLimiterHint : 0
; COMPUTE_PGM_RSRC2:SCRATCH_EN: 0
; COMPUTE_PGM_RSRC2:USER_SGPR: 6
; COMPUTE_PGM_RSRC2:TRAP_HANDLER: 0
; COMPUTE_PGM_RSRC2:TGID_X_EN: 1
; COMPUTE_PGM_RSRC2:TGID_Y_EN: 1
; COMPUTE_PGM_RSRC2:TGID_Z_EN: 1
; COMPUTE_PGM_RSRC2:TIDIG_COMP_CNT: 1
	.section	.text._ZN12_GLOBAL__N_127rocblas_gemm_batched_kernelIDF16_Li16ELi16ELi32ELi32ELi8ELi32ELi8ELi8ELi32ELc67ELc67EKDF16_S1_DF16_EEvlllT_PT11_llS4_llS2_PT12_llPT13_lli,"axG",@progbits,_ZN12_GLOBAL__N_127rocblas_gemm_batched_kernelIDF16_Li16ELi16ELi32ELi32ELi8ELi32ELi8ELi8ELi32ELc67ELc67EKDF16_S1_DF16_EEvlllT_PT11_llS4_llS2_PT12_llPT13_lli,comdat
	.globl	_ZN12_GLOBAL__N_127rocblas_gemm_batched_kernelIDF16_Li16ELi16ELi32ELi32ELi8ELi32ELi8ELi8ELi32ELc67ELc67EKDF16_S1_DF16_EEvlllT_PT11_llS4_llS2_PT12_llPT13_lli ; -- Begin function _ZN12_GLOBAL__N_127rocblas_gemm_batched_kernelIDF16_Li16ELi16ELi32ELi32ELi8ELi32ELi8ELi8ELi32ELc67ELc67EKDF16_S1_DF16_EEvlllT_PT11_llS4_llS2_PT12_llPT13_lli
	.p2align	8
	.type	_ZN12_GLOBAL__N_127rocblas_gemm_batched_kernelIDF16_Li16ELi16ELi32ELi32ELi8ELi32ELi8ELi8ELi32ELc67ELc67EKDF16_S1_DF16_EEvlllT_PT11_llS4_llS2_PT12_llPT13_lli,@function
_ZN12_GLOBAL__N_127rocblas_gemm_batched_kernelIDF16_Li16ELi16ELi32ELi32ELi8ELi32ELi8ELi8ELi32ELc67ELc67EKDF16_S1_DF16_EEvlllT_PT11_llS4_llS2_PT12_llPT13_lli: ; @_ZN12_GLOBAL__N_127rocblas_gemm_batched_kernelIDF16_Li16ELi16ELi32ELi32ELi8ELi32ELi8ELi8ELi32ELc67ELc67EKDF16_S1_DF16_EEvlllT_PT11_llS4_llS2_PT12_llPT13_lli
; %bb.0:
	s_load_dwordx2 s[20:21], s[4:5], 0x10
	s_mov_b32 s0, s7
	v_mov_b32_e32 v3, 0
	s_ashr_i32 s7, s6, 31
	s_ashr_i32 s1, s0, 31
	s_lshl_b64 s[6:7], s[6:7], 5
	s_lshl_b64 s[10:11], s[0:1], 5
	s_waitcnt lgkmcnt(0)
	v_cmp_lt_i64_e64 s2, s[20:21], 1
	s_and_b32 vcc_lo, exec_lo, s2
	s_cbranch_vccnz .LBB348_3
; %bb.1:
	v_lshlrev_b32_e32 v4, 4, v1
	s_clause 0x1
	s_load_dwordx8 s[12:19], s[4:5], 0x20
	s_load_dwordx4 s[0:3], s[4:5], 0x40
	v_and_b32_e32 v12, 7, v0
	v_lshlrev_b32_e32 v8, 1, v0
	v_add_nc_u32_e32 v5, v4, v0
	v_add_nc_u32_e32 v9, 0x200, v4
	v_lshlrev_b32_e32 v6, 1, v12
	v_and_b32_e32 v7, 31, v5
	v_lshrrev_b32_e32 v2, 3, v5
	v_lshrrev_b32_e32 v15, 5, v5
	v_lshlrev_b32_e32 v4, 1, v7
	v_lshl_or_b32 v11, v2, 4, v6
	v_add_co_u32 v6, s9, s6, v7
	v_add_co_ci_u32_e64 v7, null, s7, 0, s9
	v_lshl_or_b32 v10, v15, 6, v4
	s_waitcnt lgkmcnt(0)
	v_mad_u64_u32 v[4:5], null, s0, v12, v[2:3]
	v_mul_lo_u32 v13, s15, v6
	v_mul_lo_u32 v14, s14, v7
	v_mad_u64_u32 v[6:7], null, s14, v6, 0
	s_mul_i32 s3, s3, s8
	s_mul_hi_u32 s9, s2, s8
	v_mov_b32_e32 v2, v5
	s_mul_i32 s2, s2, s8
	s_add_i32 s3, s9, s3
	v_add_nc_u32_e32 v11, 0x200, v11
	v_add3_u32 v7, v7, v14, v13
	v_mad_u64_u32 v[12:13], null, s1, v12, v[2:3]
	s_lshl_b64 s[2:3], s[2:3], 1
	v_add_co_u32 v13, vcc_lo, v4, s10
	s_add_u32 s9, s18, s2
	s_addc_u32 s14, s19, s3
	s_mul_i32 s2, s17, s8
	s_mul_hi_u32 s3, s16, s8
	v_lshlrev_b64 v[5:6], 1, v[6:7]
	s_add_i32 s3, s3, s2
	s_mul_i32 s2, s16, s8
	v_add_co_ci_u32_e64 v14, null, s11, v12, vcc_lo
	s_lshl_b64 s[2:3], s[2:3], 1
	v_lshlrev_b32_e32 v2, 1, v15
	v_add_co_u32 v7, vcc_lo, v5, s2
	v_add_co_ci_u32_e64 v6, null, s3, v6, vcc_lo
	v_lshlrev_b64 v[4:5], 1, v[13:14]
	v_add_co_u32 v2, vcc_lo, v7, v2
	v_add_co_ci_u32_e64 v7, null, 0, v6, vcc_lo
	s_lshl_b64 s[0:1], s[0:1], 4
	v_add_co_u32 v4, vcc_lo, s9, v4
	v_add_co_ci_u32_e64 v5, null, s14, v5, vcc_lo
	v_add_co_u32 v6, vcc_lo, s12, v2
	v_add_co_ci_u32_e64 v7, null, s13, v7, vcc_lo
	v_mov_b32_e32 v2, 0
	s_mov_b64 s[2:3], 0
.LBB348_2:                              ; =>This Inner Loop Header: Depth=1
	global_load_ushort v12, v[6:7], off
	global_load_ushort v13, v[4:5], off
	s_add_u32 s2, s2, 8
	s_addc_u32 s3, s3, 0
	v_add_co_u32 v4, vcc_lo, v4, s0
	v_cmp_lt_i64_e64 s9, s[2:3], s[20:21]
	v_add_co_ci_u32_e64 v5, null, s1, v5, vcc_lo
	v_add_co_u32 v6, vcc_lo, v6, 16
	v_add_co_ci_u32_e64 v7, null, 0, v7, vcc_lo
	s_and_b32 vcc_lo, exec_lo, s9
	s_waitcnt vmcnt(1)
	ds_write_b16 v10, v12
	s_waitcnt vmcnt(0)
	ds_write_b16 v11, v13
	s_waitcnt lgkmcnt(0)
	s_barrier
	buffer_gl0_inv
	ds_read_u16 v20, v8 offset:32
	ds_read_u16 v21, v8 offset:96
	;; [unrolled: 1-line block ×3, first 2 shown]
	ds_read_b128 v[12:15], v9
	ds_read_b128 v[16:19], v9 offset:256
	ds_read_u16 v23, v8 offset:224
	ds_read_u16 v24, v8 offset:288
	;; [unrolled: 1-line block ×5, first 2 shown]
	s_waitcnt lgkmcnt(9)
	ds_read_u16_d16_hi v20, v8
	s_waitcnt lgkmcnt(9)
	ds_read_u16_d16_hi v21, v8 offset:64
	s_waitcnt lgkmcnt(9)
	ds_read_u16_d16_hi v22, v8 offset:128
	;; [unrolled: 2-line block ×7, first 2 shown]
	s_waitcnt lgkmcnt(0)
	s_barrier
	buffer_gl0_inv
	v_pk_fma_f16 v3, v20, v12, v3 op_sel_hi:[1,0,1]
	v_pk_fma_f16 v2, v20, v16, v2 op_sel_hi:[1,0,1]
	v_pk_fma_f16 v3, v21, v12, v3 op_sel:[0,1,0]
	v_pk_fma_f16 v2, v21, v16, v2 op_sel:[0,1,0]
	v_pk_fma_f16 v3, v22, v13, v3 op_sel_hi:[1,0,1]
	v_pk_fma_f16 v2, v22, v17, v2 op_sel_hi:[1,0,1]
	v_pk_fma_f16 v3, v23, v13, v3 op_sel:[0,1,0]
	v_pk_fma_f16 v2, v23, v17, v2 op_sel:[0,1,0]
	;; [unrolled: 4-line block ×4, first 2 shown]
	s_cbranch_vccnz .LBB348_2
	s_branch .LBB348_4
.LBB348_3:
	v_mov_b32_e32 v2, 0
.LBB348_4:
	s_clause 0x3
	s_load_dwordx4 s[0:3], s[4:5], 0x78
	s_load_dword s9, s[4:5], 0x50
	s_load_dwordx8 s[12:19], s[4:5], 0x58
	s_load_dword s4, s[4:5], 0x18
	v_add_co_u32 v7, s5, s6, v0
	v_add_co_ci_u32_e64 v8, null, s7, 0, s5
	v_add_co_u32 v6, s5, s10, v1
	v_add_co_ci_u32_e64 v9, null, s11, 0, s5
	v_lshlrev_b64 v[0:1], 1, v[7:8]
	v_lshrrev_b32_e32 v5, 16, v3
	v_lshrrev_b32_e32 v4, 16, v2
	s_waitcnt lgkmcnt(0)
	s_mul_i32 s3, s3, s8
	s_mul_hi_u32 s5, s2, s8
	v_mul_lo_u32 v7, v9, s0
	v_mul_lo_u32 v8, v6, s1
	s_mul_i32 s2, s2, s8
	v_cmp_neq_f16_e64 s6, s9, 0
	s_add_i32 s3, s5, s3
	s_mov_b32 s5, 0
	s_lshl_b64 s[2:3], s[2:3], 1
	s_add_u32 s2, s18, s2
	s_addc_u32 s3, s19, s3
	s_and_b32 vcc_lo, exec_lo, s6
	s_cbranch_vccnz .LBB348_8
; %bb.5:
	v_mad_u64_u32 v[10:11], null, v6, s0, 0
	s_lshl_b64 s[6:7], s[0:1], 5
	v_mul_f16_sdwa v14, s4, v3 dst_sel:DWORD dst_unused:UNUSED_PAD src0_sel:DWORD src1_sel:WORD_1
	v_mul_f16_e32 v15, s4, v3
	v_mul_f16_sdwa v16, s4, v2 dst_sel:DWORD dst_unused:UNUSED_PAD src0_sel:DWORD src1_sel:WORD_1
	v_mul_f16_e32 v17, s4, v2
	v_add3_u32 v11, v11, v8, v7
	v_lshlrev_b64 v[10:11], 1, v[10:11]
	v_add_co_u32 v10, vcc_lo, s2, v10
	v_add_co_ci_u32_e64 v11, null, s3, v11, vcc_lo
	v_add_co_u32 v12, vcc_lo, v10, s6
	v_add_co_ci_u32_e64 v13, null, s7, v11, vcc_lo
	;; [unrolled: 2-line block ×4, first 2 shown]
	global_store_short v[10:11], v14, off
	global_store_short v[10:11], v15, off offset:32
	global_store_short v[12:13], v16, off
	global_store_short v[12:13], v17, off offset:32
	s_andn2_b32 vcc_lo, exec_lo, s5
	s_cbranch_vccnz .LBB348_7
.LBB348_6:
	v_mul_lo_u32 v11, v9, s14
	v_mul_lo_u32 v12, v6, s15
	v_mad_u64_u32 v[9:10], null, v6, s14, 0
	s_mul_i32 s5, s17, s8
	s_mul_hi_u32 s7, s16, s8
	s_mul_i32 s6, s16, s8
	s_add_i32 s7, s7, s5
	s_lshl_b64 s[6:7], s[6:7], 1
	v_add3_u32 v10, v10, v12, v11
	s_add_u32 s5, s12, s6
	s_addc_u32 s6, s13, s7
	v_mad_u64_u32 v[11:12], null, v6, s0, 0
	v_lshlrev_b64 v[9:10], 1, v[9:10]
	s_lshl_b64 s[0:1], s[0:1], 5
	v_add3_u32 v12, v12, v8, v7
	v_add_co_u32 v13, vcc_lo, s5, v9
	v_add_co_ci_u32_e64 v14, null, s6, v10, vcc_lo
	v_lshlrev_b64 v[6:7], 1, v[11:12]
	v_add_co_u32 v9, vcc_lo, v13, v0
	v_add_co_ci_u32_e64 v10, null, v14, v1, vcc_lo
	v_add_co_u32 v11, vcc_lo, s2, v6
	global_load_ushort v15, v[9:10], off
	v_add_co_ci_u32_e64 v12, null, s3, v7, vcc_lo
	v_add_co_u32 v6, vcc_lo, v11, v0
	s_lshl_b64 s[2:3], s[14:15], 5
	v_add_co_ci_u32_e64 v7, null, v12, v1, vcc_lo
	s_waitcnt vmcnt(0)
	v_mul_f16_e32 v8, s9, v15
	v_fmac_f16_e32 v8, s4, v5
	global_store_short v[6:7], v8, off
	global_load_ushort v5, v[9:10], off offset:32
	v_add_co_u32 v8, vcc_lo, v13, s2
	v_add_co_ci_u32_e64 v9, null, s3, v14, vcc_lo
	v_add_co_u32 v8, vcc_lo, v8, v0
	v_add_co_ci_u32_e64 v9, null, v9, v1, vcc_lo
	s_waitcnt vmcnt(0)
	v_mul_f16_e32 v5, s9, v5
	v_fmac_f16_e32 v5, s4, v3
	global_store_short v[6:7], v5, off offset:32
	global_load_ushort v3, v[8:9], off
	v_add_co_u32 v5, vcc_lo, v11, s0
	v_add_co_ci_u32_e64 v6, null, s1, v12, vcc_lo
	v_add_co_u32 v0, vcc_lo, v5, v0
	v_add_co_ci_u32_e64 v1, null, v6, v1, vcc_lo
	s_waitcnt vmcnt(0)
	v_mul_f16_e32 v3, s9, v3
	v_fmac_f16_e32 v3, s4, v4
	global_store_short v[0:1], v3, off
	global_load_ushort v3, v[8:9], off offset:32
	s_waitcnt vmcnt(0)
	v_mul_f16_e32 v3, s9, v3
	v_fmac_f16_e32 v3, s4, v2
	global_store_short v[0:1], v3, off offset:32
.LBB348_7:
	s_endpgm
.LBB348_8:
	s_branch .LBB348_6
	.section	.rodata,"a",@progbits
	.p2align	6, 0x0
	.amdhsa_kernel _ZN12_GLOBAL__N_127rocblas_gemm_batched_kernelIDF16_Li16ELi16ELi32ELi32ELi8ELi32ELi8ELi8ELi32ELc67ELc67EKDF16_S1_DF16_EEvlllT_PT11_llS4_llS2_PT12_llPT13_lli
		.amdhsa_group_segment_fixed_size 1024
		.amdhsa_private_segment_fixed_size 0
		.amdhsa_kernarg_size 140
		.amdhsa_user_sgpr_count 6
		.amdhsa_user_sgpr_private_segment_buffer 1
		.amdhsa_user_sgpr_dispatch_ptr 0
		.amdhsa_user_sgpr_queue_ptr 0
		.amdhsa_user_sgpr_kernarg_segment_ptr 1
		.amdhsa_user_sgpr_dispatch_id 0
		.amdhsa_user_sgpr_flat_scratch_init 0
		.amdhsa_user_sgpr_private_segment_size 0
		.amdhsa_wavefront_size32 1
		.amdhsa_uses_dynamic_stack 0
		.amdhsa_system_sgpr_private_segment_wavefront_offset 0
		.amdhsa_system_sgpr_workgroup_id_x 1
		.amdhsa_system_sgpr_workgroup_id_y 1
		.amdhsa_system_sgpr_workgroup_id_z 1
		.amdhsa_system_sgpr_workgroup_info 0
		.amdhsa_system_vgpr_workitem_id 1
		.amdhsa_next_free_vgpr 28
		.amdhsa_next_free_sgpr 22
		.amdhsa_reserve_vcc 1
		.amdhsa_reserve_flat_scratch 0
		.amdhsa_float_round_mode_32 0
		.amdhsa_float_round_mode_16_64 0
		.amdhsa_float_denorm_mode_32 3
		.amdhsa_float_denorm_mode_16_64 3
		.amdhsa_dx10_clamp 1
		.amdhsa_ieee_mode 1
		.amdhsa_fp16_overflow 0
		.amdhsa_workgroup_processor_mode 1
		.amdhsa_memory_ordered 1
		.amdhsa_forward_progress 1
		.amdhsa_shared_vgpr_count 0
		.amdhsa_exception_fp_ieee_invalid_op 0
		.amdhsa_exception_fp_denorm_src 0
		.amdhsa_exception_fp_ieee_div_zero 0
		.amdhsa_exception_fp_ieee_overflow 0
		.amdhsa_exception_fp_ieee_underflow 0
		.amdhsa_exception_fp_ieee_inexact 0
		.amdhsa_exception_int_div_zero 0
	.end_amdhsa_kernel
	.section	.text._ZN12_GLOBAL__N_127rocblas_gemm_batched_kernelIDF16_Li16ELi16ELi32ELi32ELi8ELi32ELi8ELi8ELi32ELc67ELc67EKDF16_S1_DF16_EEvlllT_PT11_llS4_llS2_PT12_llPT13_lli,"axG",@progbits,_ZN12_GLOBAL__N_127rocblas_gemm_batched_kernelIDF16_Li16ELi16ELi32ELi32ELi8ELi32ELi8ELi8ELi32ELc67ELc67EKDF16_S1_DF16_EEvlllT_PT11_llS4_llS2_PT12_llPT13_lli,comdat
.Lfunc_end348:
	.size	_ZN12_GLOBAL__N_127rocblas_gemm_batched_kernelIDF16_Li16ELi16ELi32ELi32ELi8ELi32ELi8ELi8ELi32ELc67ELc67EKDF16_S1_DF16_EEvlllT_PT11_llS4_llS2_PT12_llPT13_lli, .Lfunc_end348-_ZN12_GLOBAL__N_127rocblas_gemm_batched_kernelIDF16_Li16ELi16ELi32ELi32ELi8ELi32ELi8ELi8ELi32ELc67ELc67EKDF16_S1_DF16_EEvlllT_PT11_llS4_llS2_PT12_llPT13_lli
                                        ; -- End function
	.set _ZN12_GLOBAL__N_127rocblas_gemm_batched_kernelIDF16_Li16ELi16ELi32ELi32ELi8ELi32ELi8ELi8ELi32ELc67ELc67EKDF16_S1_DF16_EEvlllT_PT11_llS4_llS2_PT12_llPT13_lli.num_vgpr, 28
	.set _ZN12_GLOBAL__N_127rocblas_gemm_batched_kernelIDF16_Li16ELi16ELi32ELi32ELi8ELi32ELi8ELi8ELi32ELc67ELc67EKDF16_S1_DF16_EEvlllT_PT11_llS4_llS2_PT12_llPT13_lli.num_agpr, 0
	.set _ZN12_GLOBAL__N_127rocblas_gemm_batched_kernelIDF16_Li16ELi16ELi32ELi32ELi8ELi32ELi8ELi8ELi32ELc67ELc67EKDF16_S1_DF16_EEvlllT_PT11_llS4_llS2_PT12_llPT13_lli.numbered_sgpr, 22
	.set _ZN12_GLOBAL__N_127rocblas_gemm_batched_kernelIDF16_Li16ELi16ELi32ELi32ELi8ELi32ELi8ELi8ELi32ELc67ELc67EKDF16_S1_DF16_EEvlllT_PT11_llS4_llS2_PT12_llPT13_lli.num_named_barrier, 0
	.set _ZN12_GLOBAL__N_127rocblas_gemm_batched_kernelIDF16_Li16ELi16ELi32ELi32ELi8ELi32ELi8ELi8ELi32ELc67ELc67EKDF16_S1_DF16_EEvlllT_PT11_llS4_llS2_PT12_llPT13_lli.private_seg_size, 0
	.set _ZN12_GLOBAL__N_127rocblas_gemm_batched_kernelIDF16_Li16ELi16ELi32ELi32ELi8ELi32ELi8ELi8ELi32ELc67ELc67EKDF16_S1_DF16_EEvlllT_PT11_llS4_llS2_PT12_llPT13_lli.uses_vcc, 1
	.set _ZN12_GLOBAL__N_127rocblas_gemm_batched_kernelIDF16_Li16ELi16ELi32ELi32ELi8ELi32ELi8ELi8ELi32ELc67ELc67EKDF16_S1_DF16_EEvlllT_PT11_llS4_llS2_PT12_llPT13_lli.uses_flat_scratch, 0
	.set _ZN12_GLOBAL__N_127rocblas_gemm_batched_kernelIDF16_Li16ELi16ELi32ELi32ELi8ELi32ELi8ELi8ELi32ELc67ELc67EKDF16_S1_DF16_EEvlllT_PT11_llS4_llS2_PT12_llPT13_lli.has_dyn_sized_stack, 0
	.set _ZN12_GLOBAL__N_127rocblas_gemm_batched_kernelIDF16_Li16ELi16ELi32ELi32ELi8ELi32ELi8ELi8ELi32ELc67ELc67EKDF16_S1_DF16_EEvlllT_PT11_llS4_llS2_PT12_llPT13_lli.has_recursion, 0
	.set _ZN12_GLOBAL__N_127rocblas_gemm_batched_kernelIDF16_Li16ELi16ELi32ELi32ELi8ELi32ELi8ELi8ELi32ELc67ELc67EKDF16_S1_DF16_EEvlllT_PT11_llS4_llS2_PT12_llPT13_lli.has_indirect_call, 0
	.section	.AMDGPU.csdata,"",@progbits
; Kernel info:
; codeLenInByte = 1468
; TotalNumSgprs: 24
; NumVgprs: 28
; ScratchSize: 0
; MemoryBound: 0
; FloatMode: 240
; IeeeMode: 1
; LDSByteSize: 1024 bytes/workgroup (compile time only)
; SGPRBlocks: 0
; VGPRBlocks: 3
; NumSGPRsForWavesPerEU: 24
; NumVGPRsForWavesPerEU: 28
; Occupancy: 16
; WaveLimiterHint : 0
; COMPUTE_PGM_RSRC2:SCRATCH_EN: 0
; COMPUTE_PGM_RSRC2:USER_SGPR: 6
; COMPUTE_PGM_RSRC2:TRAP_HANDLER: 0
; COMPUTE_PGM_RSRC2:TGID_X_EN: 1
; COMPUTE_PGM_RSRC2:TGID_Y_EN: 1
; COMPUTE_PGM_RSRC2:TGID_Z_EN: 1
; COMPUTE_PGM_RSRC2:TIDIG_COMP_CNT: 1
	.section	.text._ZN12_GLOBAL__N_127rocblas_gemm_batched_kernelIDF16_Li16ELi16ELi32ELi32ELi8ELi32ELi8ELi8ELi32ELc67ELc78EKDF16_S1_DF16_EEvlllT_PT11_llS4_llS2_PT12_llPT13_lli,"axG",@progbits,_ZN12_GLOBAL__N_127rocblas_gemm_batched_kernelIDF16_Li16ELi16ELi32ELi32ELi8ELi32ELi8ELi8ELi32ELc67ELc78EKDF16_S1_DF16_EEvlllT_PT11_llS4_llS2_PT12_llPT13_lli,comdat
	.globl	_ZN12_GLOBAL__N_127rocblas_gemm_batched_kernelIDF16_Li16ELi16ELi32ELi32ELi8ELi32ELi8ELi8ELi32ELc67ELc78EKDF16_S1_DF16_EEvlllT_PT11_llS4_llS2_PT12_llPT13_lli ; -- Begin function _ZN12_GLOBAL__N_127rocblas_gemm_batched_kernelIDF16_Li16ELi16ELi32ELi32ELi8ELi32ELi8ELi8ELi32ELc67ELc78EKDF16_S1_DF16_EEvlllT_PT11_llS4_llS2_PT12_llPT13_lli
	.p2align	8
	.type	_ZN12_GLOBAL__N_127rocblas_gemm_batched_kernelIDF16_Li16ELi16ELi32ELi32ELi8ELi32ELi8ELi8ELi32ELc67ELc78EKDF16_S1_DF16_EEvlllT_PT11_llS4_llS2_PT12_llPT13_lli,@function
_ZN12_GLOBAL__N_127rocblas_gemm_batched_kernelIDF16_Li16ELi16ELi32ELi32ELi8ELi32ELi8ELi8ELi32ELc67ELc78EKDF16_S1_DF16_EEvlllT_PT11_llS4_llS2_PT12_llPT13_lli: ; @_ZN12_GLOBAL__N_127rocblas_gemm_batched_kernelIDF16_Li16ELi16ELi32ELi32ELi8ELi32ELi8ELi8ELi32ELc67ELc78EKDF16_S1_DF16_EEvlllT_PT11_llS4_llS2_PT12_llPT13_lli
; %bb.0:
	s_load_dwordx2 s[20:21], s[4:5], 0x10
	s_mov_b32 s0, s7
	s_ashr_i32 s7, s6, 31
	s_ashr_i32 s1, s0, 31
	s_lshl_b64 s[6:7], s[6:7], 5
	s_lshl_b64 s[10:11], s[0:1], 5
	s_waitcnt lgkmcnt(0)
	v_cmp_lt_i64_e64 s2, s[20:21], 1
	s_and_b32 vcc_lo, exec_lo, s2
	s_cbranch_vccnz .LBB349_3
; %bb.1:
	v_lshlrev_b32_e32 v6, 4, v1
	s_clause 0x1
	s_load_dwordx4 s[0:3], s[4:5], 0x40
	s_load_dwordx8 s[12:19], s[4:5], 0x20
	v_and_b32_e32 v3, 7, v0
	v_add_nc_u32_e32 v2, v6, v0
	v_lshlrev_b32_e32 v7, 1, v3
	v_lshrrev_b32_e32 v4, 3, v2
	v_and_b32_e32 v3, 31, v2
	v_lshrrev_b32_e32 v12, 5, v2
	v_add_co_u32 v2, s9, v4, s10
	v_add_co_ci_u32_e64 v5, null, 0, s11, s9
	v_add_co_u32 v10, s9, s6, v3
	v_lshl_or_b32 v4, v4, 4, v7
	v_add_co_ci_u32_e64 v11, null, s7, 0, s9
	v_lshlrev_b32_e32 v8, 1, v3
	s_waitcnt lgkmcnt(0)
	v_mul_lo_u32 v13, s1, v2
	v_mul_lo_u32 v14, s0, v5
	v_mad_u64_u32 v[2:3], null, s0, v2, 0
	v_add_nc_u32_e32 v9, 0x200, v4
	v_mul_lo_u32 v15, s15, v10
	v_mul_lo_u32 v16, s14, v11
	v_mad_u64_u32 v[4:5], null, s14, v10, 0
	s_mul_i32 s0, s3, s8
	v_add3_u32 v3, v3, v14, v13
	s_mul_hi_u32 s1, s2, s8
	s_mul_hi_u32 s3, s16, s8
	s_add_i32 s1, s1, s0
	s_mul_i32 s0, s2, s8
	v_add3_u32 v5, v5, v16, v15
	v_lshlrev_b64 v[2:3], 1, v[2:3]
	s_lshl_b64 s[0:1], s[0:1], 1
	s_mul_i32 s2, s17, s8
	v_add_nc_u32_e32 v11, 0x200, v6
	v_lshlrev_b64 v[4:5], 1, v[4:5]
	s_add_i32 s3, s3, s2
	s_mul_i32 s2, s16, s8
	v_add_co_u32 v2, vcc_lo, v2, s0
	v_add_co_ci_u32_e64 v3, null, s1, v3, vcc_lo
	s_lshl_b64 s[0:1], s[2:3], 1
	v_lshlrev_b32_e32 v6, 1, v12
	v_add_co_u32 v4, vcc_lo, v4, s0
	v_add_co_ci_u32_e64 v5, null, s1, v5, vcc_lo
	v_add_co_u32 v2, vcc_lo, v2, v7
	v_add_co_ci_u32_e64 v3, null, 0, v3, vcc_lo
	;; [unrolled: 2-line block ×4, first 2 shown]
	v_add_co_u32 v4, vcc_lo, s12, v4
	v_lshl_or_b32 v8, v12, 6, v8
	v_lshlrev_b32_e32 v10, 1, v0
	v_add_co_ci_u32_e64 v5, null, s13, v5, vcc_lo
	v_mov_b32_e32 v6, 0
	v_mov_b32_e32 v7, 0
	s_mov_b64 s[0:1], 0
.LBB349_2:                              ; =>This Inner Loop Header: Depth=1
	global_load_ushort v12, v[4:5], off
	global_load_ushort v13, v[2:3], off
	s_add_u32 s0, s0, 8
	s_addc_u32 s1, s1, 0
	v_add_co_u32 v2, vcc_lo, v2, 16
	v_cmp_lt_i64_e64 s2, s[0:1], s[20:21]
	v_add_co_ci_u32_e64 v3, null, 0, v3, vcc_lo
	v_add_co_u32 v4, vcc_lo, v4, 16
	v_add_co_ci_u32_e64 v5, null, 0, v5, vcc_lo
	s_and_b32 vcc_lo, exec_lo, s2
	s_waitcnt vmcnt(1)
	ds_write_b16 v8, v12
	s_waitcnt vmcnt(0)
	ds_write_b16 v9, v13
	s_waitcnt lgkmcnt(0)
	s_barrier
	buffer_gl0_inv
	ds_read_u16 v20, v10 offset:32
	ds_read_u16 v21, v10 offset:96
	;; [unrolled: 1-line block ×3, first 2 shown]
	ds_read_b128 v[12:15], v11
	ds_read_b128 v[16:19], v11 offset:256
	ds_read_u16 v23, v10 offset:224
	ds_read_u16 v24, v10 offset:288
	;; [unrolled: 1-line block ×5, first 2 shown]
	s_waitcnt lgkmcnt(9)
	ds_read_u16_d16_hi v20, v10
	s_waitcnt lgkmcnt(9)
	ds_read_u16_d16_hi v21, v10 offset:64
	s_waitcnt lgkmcnt(9)
	ds_read_u16_d16_hi v22, v10 offset:128
	s_waitcnt lgkmcnt(7)
	ds_read_u16_d16_hi v23, v10 offset:192
	s_waitcnt lgkmcnt(7)
	ds_read_u16_d16_hi v24, v10 offset:256
	s_waitcnt lgkmcnt(7)
	ds_read_u16_d16_hi v25, v10 offset:320
	s_waitcnt lgkmcnt(7)
	ds_read_u16_d16_hi v26, v10 offset:384
	s_waitcnt lgkmcnt(7)
	ds_read_u16_d16_hi v27, v10 offset:448
	s_waitcnt lgkmcnt(0)
	s_barrier
	buffer_gl0_inv
	v_pk_fma_f16 v7, v20, v12, v7 op_sel_hi:[1,0,1]
	v_pk_fma_f16 v6, v20, v16, v6 op_sel_hi:[1,0,1]
	v_pk_fma_f16 v7, v21, v12, v7 op_sel:[0,1,0]
	v_pk_fma_f16 v6, v21, v16, v6 op_sel:[0,1,0]
	v_pk_fma_f16 v7, v22, v13, v7 op_sel_hi:[1,0,1]
	v_pk_fma_f16 v6, v22, v17, v6 op_sel_hi:[1,0,1]
	v_pk_fma_f16 v7, v23, v13, v7 op_sel:[0,1,0]
	v_pk_fma_f16 v6, v23, v17, v6 op_sel:[0,1,0]
	v_pk_fma_f16 v7, v24, v14, v7 op_sel_hi:[1,0,1]
	v_pk_fma_f16 v6, v24, v18, v6 op_sel_hi:[1,0,1]
	v_pk_fma_f16 v7, v25, v14, v7 op_sel:[0,1,0]
	v_pk_fma_f16 v6, v25, v18, v6 op_sel:[0,1,0]
	v_pk_fma_f16 v7, v26, v15, v7 op_sel_hi:[1,0,1]
	v_pk_fma_f16 v6, v26, v19, v6 op_sel_hi:[1,0,1]
	v_pk_fma_f16 v7, v27, v15, v7 op_sel:[0,1,0]
	v_pk_fma_f16 v6, v27, v19, v6 op_sel:[0,1,0]
	s_cbranch_vccnz .LBB349_2
	s_branch .LBB349_4
.LBB349_3:
	v_mov_b32_e32 v7, 0
	v_mov_b32_e32 v6, 0
.LBB349_4:
	s_clause 0x3
	s_load_dwordx4 s[0:3], s[4:5], 0x78
	s_load_dword s9, s[4:5], 0x50
	s_load_dwordx8 s[12:19], s[4:5], 0x58
	s_load_dword s4, s[4:5], 0x18
	v_add_co_u32 v10, s5, s6, v0
	v_add_co_ci_u32_e64 v11, null, s7, 0, s5
	v_add_co_u32 v4, s5, s10, v1
	v_add_co_ci_u32_e64 v9, null, s11, 0, s5
	v_lshlrev_b64 v[0:1], 1, v[10:11]
	v_lshrrev_b32_e32 v3, 16, v7
	v_lshrrev_b32_e32 v2, 16, v6
	s_waitcnt lgkmcnt(0)
	s_mul_i32 s3, s3, s8
	s_mul_hi_u32 s5, s2, s8
	v_mul_lo_u32 v5, v9, s0
	v_mul_lo_u32 v8, v4, s1
	s_mul_i32 s2, s2, s8
	v_cmp_neq_f16_e64 s6, s9, 0
	s_add_i32 s3, s5, s3
	s_mov_b32 s5, 0
	s_lshl_b64 s[2:3], s[2:3], 1
	s_add_u32 s2, s18, s2
	s_addc_u32 s3, s19, s3
	s_and_b32 vcc_lo, exec_lo, s6
	s_cbranch_vccnz .LBB349_8
; %bb.5:
	v_mad_u64_u32 v[10:11], null, v4, s0, 0
	s_lshl_b64 s[6:7], s[0:1], 5
	v_mul_f16_sdwa v14, s4, v7 dst_sel:DWORD dst_unused:UNUSED_PAD src0_sel:DWORD src1_sel:WORD_1
	v_mul_f16_e32 v15, s4, v7
	v_mul_f16_sdwa v16, s4, v6 dst_sel:DWORD dst_unused:UNUSED_PAD src0_sel:DWORD src1_sel:WORD_1
	v_mul_f16_e32 v17, s4, v6
	v_add3_u32 v11, v11, v8, v5
	v_lshlrev_b64 v[10:11], 1, v[10:11]
	v_add_co_u32 v10, vcc_lo, s2, v10
	v_add_co_ci_u32_e64 v11, null, s3, v11, vcc_lo
	v_add_co_u32 v12, vcc_lo, v10, s6
	v_add_co_ci_u32_e64 v13, null, s7, v11, vcc_lo
	v_add_co_u32 v10, vcc_lo, v10, v0
	v_add_co_ci_u32_e64 v11, null, v11, v1, vcc_lo
	v_add_co_u32 v12, vcc_lo, v12, v0
	v_add_co_ci_u32_e64 v13, null, v13, v1, vcc_lo
	global_store_short v[10:11], v14, off
	global_store_short v[10:11], v15, off offset:32
	global_store_short v[12:13], v16, off
	global_store_short v[12:13], v17, off offset:32
	s_andn2_b32 vcc_lo, exec_lo, s5
	s_cbranch_vccnz .LBB349_7
.LBB349_6:
	v_mul_lo_u32 v11, v9, s14
	v_mul_lo_u32 v12, v4, s15
	v_mad_u64_u32 v[9:10], null, v4, s14, 0
	s_mul_i32 s5, s17, s8
	s_mul_hi_u32 s7, s16, s8
	s_mul_i32 s6, s16, s8
	s_add_i32 s7, s7, s5
	s_lshl_b64 s[6:7], s[6:7], 1
	v_add3_u32 v10, v10, v12, v11
	s_add_u32 s5, s12, s6
	s_addc_u32 s6, s13, s7
	v_mad_u64_u32 v[11:12], null, v4, s0, 0
	v_lshlrev_b64 v[9:10], 1, v[9:10]
	s_lshl_b64 s[0:1], s[0:1], 5
	v_add3_u32 v12, v12, v8, v5
	v_add_co_u32 v13, vcc_lo, s5, v9
	v_add_co_ci_u32_e64 v14, null, s6, v10, vcc_lo
	v_lshlrev_b64 v[4:5], 1, v[11:12]
	v_add_co_u32 v9, vcc_lo, v13, v0
	v_add_co_ci_u32_e64 v10, null, v14, v1, vcc_lo
	v_add_co_u32 v11, vcc_lo, s2, v4
	global_load_ushort v15, v[9:10], off
	v_add_co_ci_u32_e64 v12, null, s3, v5, vcc_lo
	v_add_co_u32 v4, vcc_lo, v11, v0
	s_lshl_b64 s[2:3], s[14:15], 5
	v_add_co_ci_u32_e64 v5, null, v12, v1, vcc_lo
	s_waitcnt vmcnt(0)
	v_mul_f16_e32 v8, s9, v15
	v_fmac_f16_e32 v8, s4, v3
	global_store_short v[4:5], v8, off
	global_load_ushort v3, v[9:10], off offset:32
	v_add_co_u32 v8, vcc_lo, v13, s2
	v_add_co_ci_u32_e64 v9, null, s3, v14, vcc_lo
	s_waitcnt vmcnt(0)
	v_mul_f16_e32 v3, s9, v3
	v_fmac_f16_e32 v3, s4, v7
	v_add_co_u32 v7, vcc_lo, v8, v0
	v_add_co_ci_u32_e64 v8, null, v9, v1, vcc_lo
	global_store_short v[4:5], v3, off offset:32
	v_add_co_u32 v4, vcc_lo, v11, s0
	global_load_ushort v3, v[7:8], off
	v_add_co_ci_u32_e64 v5, null, s1, v12, vcc_lo
	v_add_co_u32 v0, vcc_lo, v4, v0
	v_add_co_ci_u32_e64 v1, null, v5, v1, vcc_lo
	s_waitcnt vmcnt(0)
	v_mul_f16_e32 v3, s9, v3
	v_fmac_f16_e32 v3, s4, v2
	global_store_short v[0:1], v3, off
	global_load_ushort v2, v[7:8], off offset:32
	s_waitcnt vmcnt(0)
	v_mul_f16_e32 v2, s9, v2
	v_fmac_f16_e32 v2, s4, v6
	global_store_short v[0:1], v2, off offset:32
.LBB349_7:
	s_endpgm
.LBB349_8:
	s_branch .LBB349_6
	.section	.rodata,"a",@progbits
	.p2align	6, 0x0
	.amdhsa_kernel _ZN12_GLOBAL__N_127rocblas_gemm_batched_kernelIDF16_Li16ELi16ELi32ELi32ELi8ELi32ELi8ELi8ELi32ELc67ELc78EKDF16_S1_DF16_EEvlllT_PT11_llS4_llS2_PT12_llPT13_lli
		.amdhsa_group_segment_fixed_size 1024
		.amdhsa_private_segment_fixed_size 0
		.amdhsa_kernarg_size 140
		.amdhsa_user_sgpr_count 6
		.amdhsa_user_sgpr_private_segment_buffer 1
		.amdhsa_user_sgpr_dispatch_ptr 0
		.amdhsa_user_sgpr_queue_ptr 0
		.amdhsa_user_sgpr_kernarg_segment_ptr 1
		.amdhsa_user_sgpr_dispatch_id 0
		.amdhsa_user_sgpr_flat_scratch_init 0
		.amdhsa_user_sgpr_private_segment_size 0
		.amdhsa_wavefront_size32 1
		.amdhsa_uses_dynamic_stack 0
		.amdhsa_system_sgpr_private_segment_wavefront_offset 0
		.amdhsa_system_sgpr_workgroup_id_x 1
		.amdhsa_system_sgpr_workgroup_id_y 1
		.amdhsa_system_sgpr_workgroup_id_z 1
		.amdhsa_system_sgpr_workgroup_info 0
		.amdhsa_system_vgpr_workitem_id 1
		.amdhsa_next_free_vgpr 28
		.amdhsa_next_free_sgpr 22
		.amdhsa_reserve_vcc 1
		.amdhsa_reserve_flat_scratch 0
		.amdhsa_float_round_mode_32 0
		.amdhsa_float_round_mode_16_64 0
		.amdhsa_float_denorm_mode_32 3
		.amdhsa_float_denorm_mode_16_64 3
		.amdhsa_dx10_clamp 1
		.amdhsa_ieee_mode 1
		.amdhsa_fp16_overflow 0
		.amdhsa_workgroup_processor_mode 1
		.amdhsa_memory_ordered 1
		.amdhsa_forward_progress 1
		.amdhsa_shared_vgpr_count 0
		.amdhsa_exception_fp_ieee_invalid_op 0
		.amdhsa_exception_fp_denorm_src 0
		.amdhsa_exception_fp_ieee_div_zero 0
		.amdhsa_exception_fp_ieee_overflow 0
		.amdhsa_exception_fp_ieee_underflow 0
		.amdhsa_exception_fp_ieee_inexact 0
		.amdhsa_exception_int_div_zero 0
	.end_amdhsa_kernel
	.section	.text._ZN12_GLOBAL__N_127rocblas_gemm_batched_kernelIDF16_Li16ELi16ELi32ELi32ELi8ELi32ELi8ELi8ELi32ELc67ELc78EKDF16_S1_DF16_EEvlllT_PT11_llS4_llS2_PT12_llPT13_lli,"axG",@progbits,_ZN12_GLOBAL__N_127rocblas_gemm_batched_kernelIDF16_Li16ELi16ELi32ELi32ELi8ELi32ELi8ELi8ELi32ELc67ELc78EKDF16_S1_DF16_EEvlllT_PT11_llS4_llS2_PT12_llPT13_lli,comdat
.Lfunc_end349:
	.size	_ZN12_GLOBAL__N_127rocblas_gemm_batched_kernelIDF16_Li16ELi16ELi32ELi32ELi8ELi32ELi8ELi8ELi32ELc67ELc78EKDF16_S1_DF16_EEvlllT_PT11_llS4_llS2_PT12_llPT13_lli, .Lfunc_end349-_ZN12_GLOBAL__N_127rocblas_gemm_batched_kernelIDF16_Li16ELi16ELi32ELi32ELi8ELi32ELi8ELi8ELi32ELc67ELc78EKDF16_S1_DF16_EEvlllT_PT11_llS4_llS2_PT12_llPT13_lli
                                        ; -- End function
	.set _ZN12_GLOBAL__N_127rocblas_gemm_batched_kernelIDF16_Li16ELi16ELi32ELi32ELi8ELi32ELi8ELi8ELi32ELc67ELc78EKDF16_S1_DF16_EEvlllT_PT11_llS4_llS2_PT12_llPT13_lli.num_vgpr, 28
	.set _ZN12_GLOBAL__N_127rocblas_gemm_batched_kernelIDF16_Li16ELi16ELi32ELi32ELi8ELi32ELi8ELi8ELi32ELc67ELc78EKDF16_S1_DF16_EEvlllT_PT11_llS4_llS2_PT12_llPT13_lli.num_agpr, 0
	.set _ZN12_GLOBAL__N_127rocblas_gemm_batched_kernelIDF16_Li16ELi16ELi32ELi32ELi8ELi32ELi8ELi8ELi32ELc67ELc78EKDF16_S1_DF16_EEvlllT_PT11_llS4_llS2_PT12_llPT13_lli.numbered_sgpr, 22
	.set _ZN12_GLOBAL__N_127rocblas_gemm_batched_kernelIDF16_Li16ELi16ELi32ELi32ELi8ELi32ELi8ELi8ELi32ELc67ELc78EKDF16_S1_DF16_EEvlllT_PT11_llS4_llS2_PT12_llPT13_lli.num_named_barrier, 0
	.set _ZN12_GLOBAL__N_127rocblas_gemm_batched_kernelIDF16_Li16ELi16ELi32ELi32ELi8ELi32ELi8ELi8ELi32ELc67ELc78EKDF16_S1_DF16_EEvlllT_PT11_llS4_llS2_PT12_llPT13_lli.private_seg_size, 0
	.set _ZN12_GLOBAL__N_127rocblas_gemm_batched_kernelIDF16_Li16ELi16ELi32ELi32ELi8ELi32ELi8ELi8ELi32ELc67ELc78EKDF16_S1_DF16_EEvlllT_PT11_llS4_llS2_PT12_llPT13_lli.uses_vcc, 1
	.set _ZN12_GLOBAL__N_127rocblas_gemm_batched_kernelIDF16_Li16ELi16ELi32ELi32ELi8ELi32ELi8ELi8ELi32ELc67ELc78EKDF16_S1_DF16_EEvlllT_PT11_llS4_llS2_PT12_llPT13_lli.uses_flat_scratch, 0
	.set _ZN12_GLOBAL__N_127rocblas_gemm_batched_kernelIDF16_Li16ELi16ELi32ELi32ELi8ELi32ELi8ELi8ELi32ELc67ELc78EKDF16_S1_DF16_EEvlllT_PT11_llS4_llS2_PT12_llPT13_lli.has_dyn_sized_stack, 0
	.set _ZN12_GLOBAL__N_127rocblas_gemm_batched_kernelIDF16_Li16ELi16ELi32ELi32ELi8ELi32ELi8ELi8ELi32ELc67ELc78EKDF16_S1_DF16_EEvlllT_PT11_llS4_llS2_PT12_llPT13_lli.has_recursion, 0
	.set _ZN12_GLOBAL__N_127rocblas_gemm_batched_kernelIDF16_Li16ELi16ELi32ELi32ELi8ELi32ELi8ELi8ELi32ELc67ELc78EKDF16_S1_DF16_EEvlllT_PT11_llS4_llS2_PT12_llPT13_lli.has_indirect_call, 0
	.section	.AMDGPU.csdata,"",@progbits
; Kernel info:
; codeLenInByte = 1504
; TotalNumSgprs: 24
; NumVgprs: 28
; ScratchSize: 0
; MemoryBound: 0
; FloatMode: 240
; IeeeMode: 1
; LDSByteSize: 1024 bytes/workgroup (compile time only)
; SGPRBlocks: 0
; VGPRBlocks: 3
; NumSGPRsForWavesPerEU: 24
; NumVGPRsForWavesPerEU: 28
; Occupancy: 16
; WaveLimiterHint : 0
; COMPUTE_PGM_RSRC2:SCRATCH_EN: 0
; COMPUTE_PGM_RSRC2:USER_SGPR: 6
; COMPUTE_PGM_RSRC2:TRAP_HANDLER: 0
; COMPUTE_PGM_RSRC2:TGID_X_EN: 1
; COMPUTE_PGM_RSRC2:TGID_Y_EN: 1
; COMPUTE_PGM_RSRC2:TGID_Z_EN: 1
; COMPUTE_PGM_RSRC2:TIDIG_COMP_CNT: 1
	.section	.text._ZN12_GLOBAL__N_127rocblas_gemm_batched_kernelIDF16_Li16ELi16ELi32ELi32ELi8ELi32ELi8ELi8ELi32ELc67ELc84EKDF16_S1_DF16_EEvlllT_PT11_llS4_llS2_PT12_llPT13_lli,"axG",@progbits,_ZN12_GLOBAL__N_127rocblas_gemm_batched_kernelIDF16_Li16ELi16ELi32ELi32ELi8ELi32ELi8ELi8ELi32ELc67ELc84EKDF16_S1_DF16_EEvlllT_PT11_llS4_llS2_PT12_llPT13_lli,comdat
	.globl	_ZN12_GLOBAL__N_127rocblas_gemm_batched_kernelIDF16_Li16ELi16ELi32ELi32ELi8ELi32ELi8ELi8ELi32ELc67ELc84EKDF16_S1_DF16_EEvlllT_PT11_llS4_llS2_PT12_llPT13_lli ; -- Begin function _ZN12_GLOBAL__N_127rocblas_gemm_batched_kernelIDF16_Li16ELi16ELi32ELi32ELi8ELi32ELi8ELi8ELi32ELc67ELc84EKDF16_S1_DF16_EEvlllT_PT11_llS4_llS2_PT12_llPT13_lli
	.p2align	8
	.type	_ZN12_GLOBAL__N_127rocblas_gemm_batched_kernelIDF16_Li16ELi16ELi32ELi32ELi8ELi32ELi8ELi8ELi32ELc67ELc84EKDF16_S1_DF16_EEvlllT_PT11_llS4_llS2_PT12_llPT13_lli,@function
_ZN12_GLOBAL__N_127rocblas_gemm_batched_kernelIDF16_Li16ELi16ELi32ELi32ELi8ELi32ELi8ELi8ELi32ELc67ELc84EKDF16_S1_DF16_EEvlllT_PT11_llS4_llS2_PT12_llPT13_lli: ; @_ZN12_GLOBAL__N_127rocblas_gemm_batched_kernelIDF16_Li16ELi16ELi32ELi32ELi8ELi32ELi8ELi8ELi32ELc67ELc84EKDF16_S1_DF16_EEvlllT_PT11_llS4_llS2_PT12_llPT13_lli
; %bb.0:
	s_load_dwordx2 s[20:21], s[4:5], 0x10
	s_mov_b32 s0, s7
	v_mov_b32_e32 v3, 0
	s_ashr_i32 s7, s6, 31
	s_ashr_i32 s1, s0, 31
	s_lshl_b64 s[6:7], s[6:7], 5
	s_lshl_b64 s[10:11], s[0:1], 5
	s_waitcnt lgkmcnt(0)
	v_cmp_lt_i64_e64 s2, s[20:21], 1
	s_and_b32 vcc_lo, exec_lo, s2
	s_cbranch_vccnz .LBB350_3
; %bb.1:
	v_lshlrev_b32_e32 v4, 4, v1
	s_clause 0x1
	s_load_dwordx8 s[12:19], s[4:5], 0x20
	s_load_dwordx4 s[0:3], s[4:5], 0x40
	v_and_b32_e32 v12, 7, v0
	v_lshlrev_b32_e32 v8, 1, v0
	v_add_nc_u32_e32 v5, v4, v0
	v_add_nc_u32_e32 v9, 0x200, v4
	v_lshlrev_b32_e32 v6, 1, v12
	v_and_b32_e32 v7, 31, v5
	v_lshrrev_b32_e32 v2, 3, v5
	v_lshrrev_b32_e32 v15, 5, v5
	v_lshlrev_b32_e32 v4, 1, v7
	v_lshl_or_b32 v11, v2, 4, v6
	v_add_co_u32 v6, s9, s6, v7
	v_add_co_ci_u32_e64 v7, null, s7, 0, s9
	v_lshl_or_b32 v10, v15, 6, v4
	s_waitcnt lgkmcnt(0)
	v_mad_u64_u32 v[4:5], null, s0, v12, v[2:3]
	v_mul_lo_u32 v13, s15, v6
	v_mul_lo_u32 v14, s14, v7
	v_mad_u64_u32 v[6:7], null, s14, v6, 0
	s_mul_i32 s3, s3, s8
	s_mul_hi_u32 s9, s2, s8
	v_mov_b32_e32 v2, v5
	s_mul_i32 s2, s2, s8
	s_add_i32 s3, s9, s3
	v_add_nc_u32_e32 v11, 0x200, v11
	v_add3_u32 v7, v7, v14, v13
	v_mad_u64_u32 v[12:13], null, s1, v12, v[2:3]
	s_lshl_b64 s[2:3], s[2:3], 1
	v_add_co_u32 v13, vcc_lo, v4, s10
	s_add_u32 s9, s18, s2
	s_addc_u32 s14, s19, s3
	s_mul_i32 s2, s17, s8
	s_mul_hi_u32 s3, s16, s8
	v_lshlrev_b64 v[5:6], 1, v[6:7]
	s_add_i32 s3, s3, s2
	s_mul_i32 s2, s16, s8
	v_add_co_ci_u32_e64 v14, null, s11, v12, vcc_lo
	s_lshl_b64 s[2:3], s[2:3], 1
	v_lshlrev_b32_e32 v2, 1, v15
	v_add_co_u32 v7, vcc_lo, v5, s2
	v_add_co_ci_u32_e64 v6, null, s3, v6, vcc_lo
	v_lshlrev_b64 v[4:5], 1, v[13:14]
	v_add_co_u32 v2, vcc_lo, v7, v2
	v_add_co_ci_u32_e64 v7, null, 0, v6, vcc_lo
	s_lshl_b64 s[0:1], s[0:1], 4
	v_add_co_u32 v4, vcc_lo, s9, v4
	v_add_co_ci_u32_e64 v5, null, s14, v5, vcc_lo
	v_add_co_u32 v6, vcc_lo, s12, v2
	v_add_co_ci_u32_e64 v7, null, s13, v7, vcc_lo
	v_mov_b32_e32 v2, 0
	s_mov_b64 s[2:3], 0
.LBB350_2:                              ; =>This Inner Loop Header: Depth=1
	global_load_ushort v12, v[6:7], off
	global_load_ushort v13, v[4:5], off
	s_add_u32 s2, s2, 8
	s_addc_u32 s3, s3, 0
	v_add_co_u32 v4, vcc_lo, v4, s0
	v_cmp_lt_i64_e64 s9, s[2:3], s[20:21]
	v_add_co_ci_u32_e64 v5, null, s1, v5, vcc_lo
	v_add_co_u32 v6, vcc_lo, v6, 16
	v_add_co_ci_u32_e64 v7, null, 0, v7, vcc_lo
	s_and_b32 vcc_lo, exec_lo, s9
	s_waitcnt vmcnt(1)
	ds_write_b16 v10, v12
	s_waitcnt vmcnt(0)
	ds_write_b16 v11, v13
	s_waitcnt lgkmcnt(0)
	s_barrier
	buffer_gl0_inv
	ds_read_u16 v20, v8 offset:32
	ds_read_u16 v21, v8 offset:96
	;; [unrolled: 1-line block ×3, first 2 shown]
	ds_read_b128 v[12:15], v9
	ds_read_b128 v[16:19], v9 offset:256
	ds_read_u16 v23, v8 offset:224
	ds_read_u16 v24, v8 offset:288
	;; [unrolled: 1-line block ×5, first 2 shown]
	s_waitcnt lgkmcnt(9)
	ds_read_u16_d16_hi v20, v8
	s_waitcnt lgkmcnt(9)
	ds_read_u16_d16_hi v21, v8 offset:64
	s_waitcnt lgkmcnt(9)
	ds_read_u16_d16_hi v22, v8 offset:128
	;; [unrolled: 2-line block ×7, first 2 shown]
	s_waitcnt lgkmcnt(0)
	s_barrier
	buffer_gl0_inv
	v_pk_fma_f16 v3, v20, v12, v3 op_sel_hi:[1,0,1]
	v_pk_fma_f16 v2, v20, v16, v2 op_sel_hi:[1,0,1]
	v_pk_fma_f16 v3, v21, v12, v3 op_sel:[0,1,0]
	v_pk_fma_f16 v2, v21, v16, v2 op_sel:[0,1,0]
	v_pk_fma_f16 v3, v22, v13, v3 op_sel_hi:[1,0,1]
	v_pk_fma_f16 v2, v22, v17, v2 op_sel_hi:[1,0,1]
	v_pk_fma_f16 v3, v23, v13, v3 op_sel:[0,1,0]
	v_pk_fma_f16 v2, v23, v17, v2 op_sel:[0,1,0]
	v_pk_fma_f16 v3, v24, v14, v3 op_sel_hi:[1,0,1]
	v_pk_fma_f16 v2, v24, v18, v2 op_sel_hi:[1,0,1]
	v_pk_fma_f16 v3, v25, v14, v3 op_sel:[0,1,0]
	v_pk_fma_f16 v2, v25, v18, v2 op_sel:[0,1,0]
	v_pk_fma_f16 v3, v26, v15, v3 op_sel_hi:[1,0,1]
	v_pk_fma_f16 v2, v26, v19, v2 op_sel_hi:[1,0,1]
	v_pk_fma_f16 v3, v27, v15, v3 op_sel:[0,1,0]
	v_pk_fma_f16 v2, v27, v19, v2 op_sel:[0,1,0]
	s_cbranch_vccnz .LBB350_2
	s_branch .LBB350_4
.LBB350_3:
	v_mov_b32_e32 v2, 0
.LBB350_4:
	s_clause 0x3
	s_load_dwordx4 s[0:3], s[4:5], 0x78
	s_load_dword s9, s[4:5], 0x50
	s_load_dwordx8 s[12:19], s[4:5], 0x58
	s_load_dword s4, s[4:5], 0x18
	v_add_co_u32 v7, s5, s6, v0
	v_add_co_ci_u32_e64 v8, null, s7, 0, s5
	v_add_co_u32 v6, s5, s10, v1
	v_add_co_ci_u32_e64 v9, null, s11, 0, s5
	v_lshlrev_b64 v[0:1], 1, v[7:8]
	v_lshrrev_b32_e32 v5, 16, v3
	v_lshrrev_b32_e32 v4, 16, v2
	s_waitcnt lgkmcnt(0)
	s_mul_i32 s3, s3, s8
	s_mul_hi_u32 s5, s2, s8
	v_mul_lo_u32 v7, v9, s0
	v_mul_lo_u32 v8, v6, s1
	s_mul_i32 s2, s2, s8
	v_cmp_neq_f16_e64 s6, s9, 0
	s_add_i32 s3, s5, s3
	s_mov_b32 s5, 0
	s_lshl_b64 s[2:3], s[2:3], 1
	s_add_u32 s2, s18, s2
	s_addc_u32 s3, s19, s3
	s_and_b32 vcc_lo, exec_lo, s6
	s_cbranch_vccnz .LBB350_8
; %bb.5:
	v_mad_u64_u32 v[10:11], null, v6, s0, 0
	s_lshl_b64 s[6:7], s[0:1], 5
	v_mul_f16_sdwa v14, s4, v3 dst_sel:DWORD dst_unused:UNUSED_PAD src0_sel:DWORD src1_sel:WORD_1
	v_mul_f16_e32 v15, s4, v3
	v_mul_f16_sdwa v16, s4, v2 dst_sel:DWORD dst_unused:UNUSED_PAD src0_sel:DWORD src1_sel:WORD_1
	v_mul_f16_e32 v17, s4, v2
	v_add3_u32 v11, v11, v8, v7
	v_lshlrev_b64 v[10:11], 1, v[10:11]
	v_add_co_u32 v10, vcc_lo, s2, v10
	v_add_co_ci_u32_e64 v11, null, s3, v11, vcc_lo
	v_add_co_u32 v12, vcc_lo, v10, s6
	v_add_co_ci_u32_e64 v13, null, s7, v11, vcc_lo
	;; [unrolled: 2-line block ×4, first 2 shown]
	global_store_short v[10:11], v14, off
	global_store_short v[10:11], v15, off offset:32
	global_store_short v[12:13], v16, off
	global_store_short v[12:13], v17, off offset:32
	s_andn2_b32 vcc_lo, exec_lo, s5
	s_cbranch_vccnz .LBB350_7
.LBB350_6:
	v_mul_lo_u32 v11, v9, s14
	v_mul_lo_u32 v12, v6, s15
	v_mad_u64_u32 v[9:10], null, v6, s14, 0
	s_mul_i32 s5, s17, s8
	s_mul_hi_u32 s7, s16, s8
	s_mul_i32 s6, s16, s8
	s_add_i32 s7, s7, s5
	s_lshl_b64 s[6:7], s[6:7], 1
	v_add3_u32 v10, v10, v12, v11
	s_add_u32 s5, s12, s6
	s_addc_u32 s6, s13, s7
	v_mad_u64_u32 v[11:12], null, v6, s0, 0
	v_lshlrev_b64 v[9:10], 1, v[9:10]
	s_lshl_b64 s[0:1], s[0:1], 5
	v_add3_u32 v12, v12, v8, v7
	v_add_co_u32 v13, vcc_lo, s5, v9
	v_add_co_ci_u32_e64 v14, null, s6, v10, vcc_lo
	v_lshlrev_b64 v[6:7], 1, v[11:12]
	v_add_co_u32 v9, vcc_lo, v13, v0
	v_add_co_ci_u32_e64 v10, null, v14, v1, vcc_lo
	v_add_co_u32 v11, vcc_lo, s2, v6
	global_load_ushort v15, v[9:10], off
	v_add_co_ci_u32_e64 v12, null, s3, v7, vcc_lo
	v_add_co_u32 v6, vcc_lo, v11, v0
	s_lshl_b64 s[2:3], s[14:15], 5
	v_add_co_ci_u32_e64 v7, null, v12, v1, vcc_lo
	s_waitcnt vmcnt(0)
	v_mul_f16_e32 v8, s9, v15
	v_fmac_f16_e32 v8, s4, v5
	global_store_short v[6:7], v8, off
	global_load_ushort v5, v[9:10], off offset:32
	v_add_co_u32 v8, vcc_lo, v13, s2
	v_add_co_ci_u32_e64 v9, null, s3, v14, vcc_lo
	v_add_co_u32 v8, vcc_lo, v8, v0
	v_add_co_ci_u32_e64 v9, null, v9, v1, vcc_lo
	s_waitcnt vmcnt(0)
	v_mul_f16_e32 v5, s9, v5
	v_fmac_f16_e32 v5, s4, v3
	global_store_short v[6:7], v5, off offset:32
	global_load_ushort v3, v[8:9], off
	v_add_co_u32 v5, vcc_lo, v11, s0
	v_add_co_ci_u32_e64 v6, null, s1, v12, vcc_lo
	v_add_co_u32 v0, vcc_lo, v5, v0
	v_add_co_ci_u32_e64 v1, null, v6, v1, vcc_lo
	s_waitcnt vmcnt(0)
	v_mul_f16_e32 v3, s9, v3
	v_fmac_f16_e32 v3, s4, v4
	global_store_short v[0:1], v3, off
	global_load_ushort v3, v[8:9], off offset:32
	s_waitcnt vmcnt(0)
	v_mul_f16_e32 v3, s9, v3
	v_fmac_f16_e32 v3, s4, v2
	global_store_short v[0:1], v3, off offset:32
.LBB350_7:
	s_endpgm
.LBB350_8:
	s_branch .LBB350_6
	.section	.rodata,"a",@progbits
	.p2align	6, 0x0
	.amdhsa_kernel _ZN12_GLOBAL__N_127rocblas_gemm_batched_kernelIDF16_Li16ELi16ELi32ELi32ELi8ELi32ELi8ELi8ELi32ELc67ELc84EKDF16_S1_DF16_EEvlllT_PT11_llS4_llS2_PT12_llPT13_lli
		.amdhsa_group_segment_fixed_size 1024
		.amdhsa_private_segment_fixed_size 0
		.amdhsa_kernarg_size 140
		.amdhsa_user_sgpr_count 6
		.amdhsa_user_sgpr_private_segment_buffer 1
		.amdhsa_user_sgpr_dispatch_ptr 0
		.amdhsa_user_sgpr_queue_ptr 0
		.amdhsa_user_sgpr_kernarg_segment_ptr 1
		.amdhsa_user_sgpr_dispatch_id 0
		.amdhsa_user_sgpr_flat_scratch_init 0
		.amdhsa_user_sgpr_private_segment_size 0
		.amdhsa_wavefront_size32 1
		.amdhsa_uses_dynamic_stack 0
		.amdhsa_system_sgpr_private_segment_wavefront_offset 0
		.amdhsa_system_sgpr_workgroup_id_x 1
		.amdhsa_system_sgpr_workgroup_id_y 1
		.amdhsa_system_sgpr_workgroup_id_z 1
		.amdhsa_system_sgpr_workgroup_info 0
		.amdhsa_system_vgpr_workitem_id 1
		.amdhsa_next_free_vgpr 28
		.amdhsa_next_free_sgpr 22
		.amdhsa_reserve_vcc 1
		.amdhsa_reserve_flat_scratch 0
		.amdhsa_float_round_mode_32 0
		.amdhsa_float_round_mode_16_64 0
		.amdhsa_float_denorm_mode_32 3
		.amdhsa_float_denorm_mode_16_64 3
		.amdhsa_dx10_clamp 1
		.amdhsa_ieee_mode 1
		.amdhsa_fp16_overflow 0
		.amdhsa_workgroup_processor_mode 1
		.amdhsa_memory_ordered 1
		.amdhsa_forward_progress 1
		.amdhsa_shared_vgpr_count 0
		.amdhsa_exception_fp_ieee_invalid_op 0
		.amdhsa_exception_fp_denorm_src 0
		.amdhsa_exception_fp_ieee_div_zero 0
		.amdhsa_exception_fp_ieee_overflow 0
		.amdhsa_exception_fp_ieee_underflow 0
		.amdhsa_exception_fp_ieee_inexact 0
		.amdhsa_exception_int_div_zero 0
	.end_amdhsa_kernel
	.section	.text._ZN12_GLOBAL__N_127rocblas_gemm_batched_kernelIDF16_Li16ELi16ELi32ELi32ELi8ELi32ELi8ELi8ELi32ELc67ELc84EKDF16_S1_DF16_EEvlllT_PT11_llS4_llS2_PT12_llPT13_lli,"axG",@progbits,_ZN12_GLOBAL__N_127rocblas_gemm_batched_kernelIDF16_Li16ELi16ELi32ELi32ELi8ELi32ELi8ELi8ELi32ELc67ELc84EKDF16_S1_DF16_EEvlllT_PT11_llS4_llS2_PT12_llPT13_lli,comdat
.Lfunc_end350:
	.size	_ZN12_GLOBAL__N_127rocblas_gemm_batched_kernelIDF16_Li16ELi16ELi32ELi32ELi8ELi32ELi8ELi8ELi32ELc67ELc84EKDF16_S1_DF16_EEvlllT_PT11_llS4_llS2_PT12_llPT13_lli, .Lfunc_end350-_ZN12_GLOBAL__N_127rocblas_gemm_batched_kernelIDF16_Li16ELi16ELi32ELi32ELi8ELi32ELi8ELi8ELi32ELc67ELc84EKDF16_S1_DF16_EEvlllT_PT11_llS4_llS2_PT12_llPT13_lli
                                        ; -- End function
	.set _ZN12_GLOBAL__N_127rocblas_gemm_batched_kernelIDF16_Li16ELi16ELi32ELi32ELi8ELi32ELi8ELi8ELi32ELc67ELc84EKDF16_S1_DF16_EEvlllT_PT11_llS4_llS2_PT12_llPT13_lli.num_vgpr, 28
	.set _ZN12_GLOBAL__N_127rocblas_gemm_batched_kernelIDF16_Li16ELi16ELi32ELi32ELi8ELi32ELi8ELi8ELi32ELc67ELc84EKDF16_S1_DF16_EEvlllT_PT11_llS4_llS2_PT12_llPT13_lli.num_agpr, 0
	.set _ZN12_GLOBAL__N_127rocblas_gemm_batched_kernelIDF16_Li16ELi16ELi32ELi32ELi8ELi32ELi8ELi8ELi32ELc67ELc84EKDF16_S1_DF16_EEvlllT_PT11_llS4_llS2_PT12_llPT13_lli.numbered_sgpr, 22
	.set _ZN12_GLOBAL__N_127rocblas_gemm_batched_kernelIDF16_Li16ELi16ELi32ELi32ELi8ELi32ELi8ELi8ELi32ELc67ELc84EKDF16_S1_DF16_EEvlllT_PT11_llS4_llS2_PT12_llPT13_lli.num_named_barrier, 0
	.set _ZN12_GLOBAL__N_127rocblas_gemm_batched_kernelIDF16_Li16ELi16ELi32ELi32ELi8ELi32ELi8ELi8ELi32ELc67ELc84EKDF16_S1_DF16_EEvlllT_PT11_llS4_llS2_PT12_llPT13_lli.private_seg_size, 0
	.set _ZN12_GLOBAL__N_127rocblas_gemm_batched_kernelIDF16_Li16ELi16ELi32ELi32ELi8ELi32ELi8ELi8ELi32ELc67ELc84EKDF16_S1_DF16_EEvlllT_PT11_llS4_llS2_PT12_llPT13_lli.uses_vcc, 1
	.set _ZN12_GLOBAL__N_127rocblas_gemm_batched_kernelIDF16_Li16ELi16ELi32ELi32ELi8ELi32ELi8ELi8ELi32ELc67ELc84EKDF16_S1_DF16_EEvlllT_PT11_llS4_llS2_PT12_llPT13_lli.uses_flat_scratch, 0
	.set _ZN12_GLOBAL__N_127rocblas_gemm_batched_kernelIDF16_Li16ELi16ELi32ELi32ELi8ELi32ELi8ELi8ELi32ELc67ELc84EKDF16_S1_DF16_EEvlllT_PT11_llS4_llS2_PT12_llPT13_lli.has_dyn_sized_stack, 0
	.set _ZN12_GLOBAL__N_127rocblas_gemm_batched_kernelIDF16_Li16ELi16ELi32ELi32ELi8ELi32ELi8ELi8ELi32ELc67ELc84EKDF16_S1_DF16_EEvlllT_PT11_llS4_llS2_PT12_llPT13_lli.has_recursion, 0
	.set _ZN12_GLOBAL__N_127rocblas_gemm_batched_kernelIDF16_Li16ELi16ELi32ELi32ELi8ELi32ELi8ELi8ELi32ELc67ELc84EKDF16_S1_DF16_EEvlllT_PT11_llS4_llS2_PT12_llPT13_lli.has_indirect_call, 0
	.section	.AMDGPU.csdata,"",@progbits
; Kernel info:
; codeLenInByte = 1468
; TotalNumSgprs: 24
; NumVgprs: 28
; ScratchSize: 0
; MemoryBound: 0
; FloatMode: 240
; IeeeMode: 1
; LDSByteSize: 1024 bytes/workgroup (compile time only)
; SGPRBlocks: 0
; VGPRBlocks: 3
; NumSGPRsForWavesPerEU: 24
; NumVGPRsForWavesPerEU: 28
; Occupancy: 16
; WaveLimiterHint : 0
; COMPUTE_PGM_RSRC2:SCRATCH_EN: 0
; COMPUTE_PGM_RSRC2:USER_SGPR: 6
; COMPUTE_PGM_RSRC2:TRAP_HANDLER: 0
; COMPUTE_PGM_RSRC2:TGID_X_EN: 1
; COMPUTE_PGM_RSRC2:TGID_Y_EN: 1
; COMPUTE_PGM_RSRC2:TGID_Z_EN: 1
; COMPUTE_PGM_RSRC2:TIDIG_COMP_CNT: 1
	.section	.text._ZN12_GLOBAL__N_127rocblas_gemm_batched_kernelIDF16_Li16ELi16ELi32ELi32ELi8ELi32ELi8ELi8ELi32ELc78ELc67EKDF16_S1_DF16_EEvlllT_PT11_llS4_llS2_PT12_llPT13_lli,"axG",@progbits,_ZN12_GLOBAL__N_127rocblas_gemm_batched_kernelIDF16_Li16ELi16ELi32ELi32ELi8ELi32ELi8ELi8ELi32ELc78ELc67EKDF16_S1_DF16_EEvlllT_PT11_llS4_llS2_PT12_llPT13_lli,comdat
	.globl	_ZN12_GLOBAL__N_127rocblas_gemm_batched_kernelIDF16_Li16ELi16ELi32ELi32ELi8ELi32ELi8ELi8ELi32ELc78ELc67EKDF16_S1_DF16_EEvlllT_PT11_llS4_llS2_PT12_llPT13_lli ; -- Begin function _ZN12_GLOBAL__N_127rocblas_gemm_batched_kernelIDF16_Li16ELi16ELi32ELi32ELi8ELi32ELi8ELi8ELi32ELc78ELc67EKDF16_S1_DF16_EEvlllT_PT11_llS4_llS2_PT12_llPT13_lli
	.p2align	8
	.type	_ZN12_GLOBAL__N_127rocblas_gemm_batched_kernelIDF16_Li16ELi16ELi32ELi32ELi8ELi32ELi8ELi8ELi32ELc78ELc67EKDF16_S1_DF16_EEvlllT_PT11_llS4_llS2_PT12_llPT13_lli,@function
_ZN12_GLOBAL__N_127rocblas_gemm_batched_kernelIDF16_Li16ELi16ELi32ELi32ELi8ELi32ELi8ELi8ELi32ELc78ELc67EKDF16_S1_DF16_EEvlllT_PT11_llS4_llS2_PT12_llPT13_lli: ; @_ZN12_GLOBAL__N_127rocblas_gemm_batched_kernelIDF16_Li16ELi16ELi32ELi32ELi8ELi32ELi8ELi8ELi32ELc78ELc67EKDF16_S1_DF16_EEvlllT_PT11_llS4_llS2_PT12_llPT13_lli
; %bb.0:
	s_load_dwordx2 s[20:21], s[4:5], 0x10
	s_mov_b32 s0, s7
	v_mov_b32_e32 v3, 0
	s_ashr_i32 s7, s6, 31
	s_ashr_i32 s1, s0, 31
	s_lshl_b64 s[6:7], s[6:7], 5
	s_lshl_b64 s[10:11], s[0:1], 5
	s_waitcnt lgkmcnt(0)
	v_cmp_lt_i64_e64 s2, s[20:21], 1
	s_and_b32 vcc_lo, exec_lo, s2
	s_cbranch_vccnz .LBB351_3
; %bb.1:
	v_lshlrev_b32_e32 v4, 4, v1
	s_clause 0x1
	s_load_dwordx4 s[0:3], s[4:5], 0x40
	s_load_dwordx8 s[12:19], s[4:5], 0x20
	v_and_b32_e32 v12, 7, v0
	v_lshlrev_b32_e32 v8, 1, v0
	v_add_nc_u32_e32 v5, v4, v0
	v_add_nc_u32_e32 v9, 0x200, v4
	v_lshlrev_b32_e32 v6, 1, v12
	v_and_b32_e32 v15, 31, v5
	v_lshrrev_b32_e32 v2, 3, v5
	v_lshrrev_b32_e32 v14, 5, v5
	v_lshlrev_b32_e32 v5, 1, v15
	v_lshl_or_b32 v6, v2, 4, v6
	v_lshl_or_b32 v10, v14, 6, v5
	s_waitcnt lgkmcnt(0)
	v_mad_u64_u32 v[4:5], null, s0, v12, v[2:3]
	v_add_nc_u32_e32 v11, 0x200, v6
	v_mad_u64_u32 v[6:7], null, s14, v14, s[6:7]
	s_mul_i32 s3, s3, s8
	s_mul_hi_u32 s9, s2, s8
	s_mul_i32 s2, s2, s8
	v_mov_b32_e32 v2, v5
	v_add_co_u32 v4, vcc_lo, v4, s10
	v_mov_b32_e32 v5, v7
	s_add_i32 s3, s9, s3
	v_mad_u64_u32 v[12:13], null, s1, v12, v[2:3]
	s_lshl_b64 s[2:3], s[2:3], 1
	v_mad_u64_u32 v[13:14], null, s15, v14, v[5:6]
	s_mul_i32 s17, s17, s8
	s_mul_hi_u32 s9, s16, s8
	s_add_u32 s18, s18, s2
	v_add_co_ci_u32_e64 v5, null, s11, v12, vcc_lo
	v_add_co_u32 v6, vcc_lo, v6, v15
	v_add_co_ci_u32_e64 v7, null, 0, v13, vcc_lo
	v_lshlrev_b64 v[4:5], 1, v[4:5]
	s_mul_i32 s16, s16, s8
	s_addc_u32 s19, s19, s3
	s_add_i32 s17, s9, s17
	v_lshlrev_b64 v[6:7], 1, v[6:7]
	s_lshl_b64 s[2:3], s[16:17], 1
	s_lshl_b64 s[0:1], s[0:1], 4
	s_add_u32 s2, s12, s2
	v_add_co_u32 v4, vcc_lo, s18, v4
	v_add_co_ci_u32_e64 v5, null, s19, v5, vcc_lo
	s_addc_u32 s3, s13, s3
	v_add_co_u32 v6, vcc_lo, s2, v6
	v_add_co_ci_u32_e64 v7, null, s3, v7, vcc_lo
	v_mov_b32_e32 v2, 0
	s_lshl_b64 s[2:3], s[14:15], 4
	s_mov_b64 s[12:13], 0
.LBB351_2:                              ; =>This Inner Loop Header: Depth=1
	global_load_ushort v12, v[6:7], off
	global_load_ushort v13, v[4:5], off
	s_add_u32 s12, s12, 8
	s_addc_u32 s13, s13, 0
	v_add_co_u32 v4, vcc_lo, v4, s0
	v_cmp_lt_i64_e64 s9, s[12:13], s[20:21]
	v_add_co_ci_u32_e64 v5, null, s1, v5, vcc_lo
	v_add_co_u32 v6, vcc_lo, v6, s2
	v_add_co_ci_u32_e64 v7, null, s3, v7, vcc_lo
	s_and_b32 vcc_lo, exec_lo, s9
	s_waitcnt vmcnt(1)
	ds_write_b16 v10, v12
	s_waitcnt vmcnt(0)
	ds_write_b16 v11, v13
	s_waitcnt lgkmcnt(0)
	s_barrier
	buffer_gl0_inv
	ds_read_u16 v20, v8 offset:32
	ds_read_u16 v21, v8 offset:96
	;; [unrolled: 1-line block ×3, first 2 shown]
	ds_read_b128 v[12:15], v9
	ds_read_b128 v[16:19], v9 offset:256
	ds_read_u16 v23, v8 offset:224
	ds_read_u16 v24, v8 offset:288
	;; [unrolled: 1-line block ×5, first 2 shown]
	s_waitcnt lgkmcnt(9)
	ds_read_u16_d16_hi v20, v8
	s_waitcnt lgkmcnt(9)
	ds_read_u16_d16_hi v21, v8 offset:64
	s_waitcnt lgkmcnt(9)
	ds_read_u16_d16_hi v22, v8 offset:128
	s_waitcnt lgkmcnt(7)
	ds_read_u16_d16_hi v23, v8 offset:192
	s_waitcnt lgkmcnt(7)
	ds_read_u16_d16_hi v24, v8 offset:256
	s_waitcnt lgkmcnt(7)
	ds_read_u16_d16_hi v25, v8 offset:320
	s_waitcnt lgkmcnt(7)
	ds_read_u16_d16_hi v26, v8 offset:384
	s_waitcnt lgkmcnt(7)
	ds_read_u16_d16_hi v27, v8 offset:448
	s_waitcnt lgkmcnt(0)
	s_barrier
	buffer_gl0_inv
	v_pk_fma_f16 v3, v20, v12, v3 op_sel_hi:[1,0,1]
	v_pk_fma_f16 v2, v20, v16, v2 op_sel_hi:[1,0,1]
	v_pk_fma_f16 v3, v21, v12, v3 op_sel:[0,1,0]
	v_pk_fma_f16 v2, v21, v16, v2 op_sel:[0,1,0]
	v_pk_fma_f16 v3, v22, v13, v3 op_sel_hi:[1,0,1]
	v_pk_fma_f16 v2, v22, v17, v2 op_sel_hi:[1,0,1]
	v_pk_fma_f16 v3, v23, v13, v3 op_sel:[0,1,0]
	v_pk_fma_f16 v2, v23, v17, v2 op_sel:[0,1,0]
	;; [unrolled: 4-line block ×4, first 2 shown]
	s_cbranch_vccnz .LBB351_2
	s_branch .LBB351_4
.LBB351_3:
	v_mov_b32_e32 v2, 0
.LBB351_4:
	s_clause 0x3
	s_load_dwordx4 s[0:3], s[4:5], 0x78
	s_load_dword s9, s[4:5], 0x50
	s_load_dwordx8 s[12:19], s[4:5], 0x58
	s_load_dword s4, s[4:5], 0x18
	v_add_co_u32 v7, s5, s6, v0
	v_add_co_ci_u32_e64 v8, null, s7, 0, s5
	v_add_co_u32 v6, s5, s10, v1
	v_add_co_ci_u32_e64 v9, null, s11, 0, s5
	v_lshlrev_b64 v[0:1], 1, v[7:8]
	v_lshrrev_b32_e32 v5, 16, v3
	v_lshrrev_b32_e32 v4, 16, v2
	s_waitcnt lgkmcnt(0)
	s_mul_i32 s3, s3, s8
	s_mul_hi_u32 s5, s2, s8
	v_mul_lo_u32 v7, v9, s0
	v_mul_lo_u32 v8, v6, s1
	s_mul_i32 s2, s2, s8
	v_cmp_neq_f16_e64 s6, s9, 0
	s_add_i32 s3, s5, s3
	s_mov_b32 s5, 0
	s_lshl_b64 s[2:3], s[2:3], 1
	s_add_u32 s2, s18, s2
	s_addc_u32 s3, s19, s3
	s_and_b32 vcc_lo, exec_lo, s6
	s_cbranch_vccnz .LBB351_8
; %bb.5:
	v_mad_u64_u32 v[10:11], null, v6, s0, 0
	s_lshl_b64 s[6:7], s[0:1], 5
	v_mul_f16_sdwa v14, s4, v3 dst_sel:DWORD dst_unused:UNUSED_PAD src0_sel:DWORD src1_sel:WORD_1
	v_mul_f16_e32 v15, s4, v3
	v_mul_f16_sdwa v16, s4, v2 dst_sel:DWORD dst_unused:UNUSED_PAD src0_sel:DWORD src1_sel:WORD_1
	v_mul_f16_e32 v17, s4, v2
	v_add3_u32 v11, v11, v8, v7
	v_lshlrev_b64 v[10:11], 1, v[10:11]
	v_add_co_u32 v10, vcc_lo, s2, v10
	v_add_co_ci_u32_e64 v11, null, s3, v11, vcc_lo
	v_add_co_u32 v12, vcc_lo, v10, s6
	v_add_co_ci_u32_e64 v13, null, s7, v11, vcc_lo
	;; [unrolled: 2-line block ×4, first 2 shown]
	global_store_short v[10:11], v14, off
	global_store_short v[10:11], v15, off offset:32
	global_store_short v[12:13], v16, off
	global_store_short v[12:13], v17, off offset:32
	s_andn2_b32 vcc_lo, exec_lo, s5
	s_cbranch_vccnz .LBB351_7
.LBB351_6:
	v_mul_lo_u32 v11, v9, s14
	v_mul_lo_u32 v12, v6, s15
	v_mad_u64_u32 v[9:10], null, v6, s14, 0
	s_mul_i32 s5, s17, s8
	s_mul_hi_u32 s7, s16, s8
	s_mul_i32 s6, s16, s8
	s_add_i32 s7, s7, s5
	s_lshl_b64 s[6:7], s[6:7], 1
	v_add3_u32 v10, v10, v12, v11
	s_add_u32 s5, s12, s6
	s_addc_u32 s6, s13, s7
	v_mad_u64_u32 v[11:12], null, v6, s0, 0
	v_lshlrev_b64 v[9:10], 1, v[9:10]
	s_lshl_b64 s[0:1], s[0:1], 5
	v_add3_u32 v12, v12, v8, v7
	v_add_co_u32 v13, vcc_lo, s5, v9
	v_add_co_ci_u32_e64 v14, null, s6, v10, vcc_lo
	v_lshlrev_b64 v[6:7], 1, v[11:12]
	v_add_co_u32 v9, vcc_lo, v13, v0
	v_add_co_ci_u32_e64 v10, null, v14, v1, vcc_lo
	v_add_co_u32 v11, vcc_lo, s2, v6
	global_load_ushort v15, v[9:10], off
	v_add_co_ci_u32_e64 v12, null, s3, v7, vcc_lo
	v_add_co_u32 v6, vcc_lo, v11, v0
	s_lshl_b64 s[2:3], s[14:15], 5
	v_add_co_ci_u32_e64 v7, null, v12, v1, vcc_lo
	s_waitcnt vmcnt(0)
	v_mul_f16_e32 v8, s9, v15
	v_fmac_f16_e32 v8, s4, v5
	global_store_short v[6:7], v8, off
	global_load_ushort v5, v[9:10], off offset:32
	v_add_co_u32 v8, vcc_lo, v13, s2
	v_add_co_ci_u32_e64 v9, null, s3, v14, vcc_lo
	v_add_co_u32 v8, vcc_lo, v8, v0
	v_add_co_ci_u32_e64 v9, null, v9, v1, vcc_lo
	s_waitcnt vmcnt(0)
	v_mul_f16_e32 v5, s9, v5
	v_fmac_f16_e32 v5, s4, v3
	global_store_short v[6:7], v5, off offset:32
	global_load_ushort v3, v[8:9], off
	v_add_co_u32 v5, vcc_lo, v11, s0
	v_add_co_ci_u32_e64 v6, null, s1, v12, vcc_lo
	v_add_co_u32 v0, vcc_lo, v5, v0
	v_add_co_ci_u32_e64 v1, null, v6, v1, vcc_lo
	s_waitcnt vmcnt(0)
	v_mul_f16_e32 v3, s9, v3
	v_fmac_f16_e32 v3, s4, v4
	global_store_short v[0:1], v3, off
	global_load_ushort v3, v[8:9], off offset:32
	s_waitcnt vmcnt(0)
	v_mul_f16_e32 v3, s9, v3
	v_fmac_f16_e32 v3, s4, v2
	global_store_short v[0:1], v3, off offset:32
.LBB351_7:
	s_endpgm
.LBB351_8:
	s_branch .LBB351_6
	.section	.rodata,"a",@progbits
	.p2align	6, 0x0
	.amdhsa_kernel _ZN12_GLOBAL__N_127rocblas_gemm_batched_kernelIDF16_Li16ELi16ELi32ELi32ELi8ELi32ELi8ELi8ELi32ELc78ELc67EKDF16_S1_DF16_EEvlllT_PT11_llS4_llS2_PT12_llPT13_lli
		.amdhsa_group_segment_fixed_size 1024
		.amdhsa_private_segment_fixed_size 0
		.amdhsa_kernarg_size 140
		.amdhsa_user_sgpr_count 6
		.amdhsa_user_sgpr_private_segment_buffer 1
		.amdhsa_user_sgpr_dispatch_ptr 0
		.amdhsa_user_sgpr_queue_ptr 0
		.amdhsa_user_sgpr_kernarg_segment_ptr 1
		.amdhsa_user_sgpr_dispatch_id 0
		.amdhsa_user_sgpr_flat_scratch_init 0
		.amdhsa_user_sgpr_private_segment_size 0
		.amdhsa_wavefront_size32 1
		.amdhsa_uses_dynamic_stack 0
		.amdhsa_system_sgpr_private_segment_wavefront_offset 0
		.amdhsa_system_sgpr_workgroup_id_x 1
		.amdhsa_system_sgpr_workgroup_id_y 1
		.amdhsa_system_sgpr_workgroup_id_z 1
		.amdhsa_system_sgpr_workgroup_info 0
		.amdhsa_system_vgpr_workitem_id 1
		.amdhsa_next_free_vgpr 28
		.amdhsa_next_free_sgpr 22
		.amdhsa_reserve_vcc 1
		.amdhsa_reserve_flat_scratch 0
		.amdhsa_float_round_mode_32 0
		.amdhsa_float_round_mode_16_64 0
		.amdhsa_float_denorm_mode_32 3
		.amdhsa_float_denorm_mode_16_64 3
		.amdhsa_dx10_clamp 1
		.amdhsa_ieee_mode 1
		.amdhsa_fp16_overflow 0
		.amdhsa_workgroup_processor_mode 1
		.amdhsa_memory_ordered 1
		.amdhsa_forward_progress 1
		.amdhsa_shared_vgpr_count 0
		.amdhsa_exception_fp_ieee_invalid_op 0
		.amdhsa_exception_fp_denorm_src 0
		.amdhsa_exception_fp_ieee_div_zero 0
		.amdhsa_exception_fp_ieee_overflow 0
		.amdhsa_exception_fp_ieee_underflow 0
		.amdhsa_exception_fp_ieee_inexact 0
		.amdhsa_exception_int_div_zero 0
	.end_amdhsa_kernel
	.section	.text._ZN12_GLOBAL__N_127rocblas_gemm_batched_kernelIDF16_Li16ELi16ELi32ELi32ELi8ELi32ELi8ELi8ELi32ELc78ELc67EKDF16_S1_DF16_EEvlllT_PT11_llS4_llS2_PT12_llPT13_lli,"axG",@progbits,_ZN12_GLOBAL__N_127rocblas_gemm_batched_kernelIDF16_Li16ELi16ELi32ELi32ELi8ELi32ELi8ELi8ELi32ELc78ELc67EKDF16_S1_DF16_EEvlllT_PT11_llS4_llS2_PT12_llPT13_lli,comdat
.Lfunc_end351:
	.size	_ZN12_GLOBAL__N_127rocblas_gemm_batched_kernelIDF16_Li16ELi16ELi32ELi32ELi8ELi32ELi8ELi8ELi32ELc78ELc67EKDF16_S1_DF16_EEvlllT_PT11_llS4_llS2_PT12_llPT13_lli, .Lfunc_end351-_ZN12_GLOBAL__N_127rocblas_gemm_batched_kernelIDF16_Li16ELi16ELi32ELi32ELi8ELi32ELi8ELi8ELi32ELc78ELc67EKDF16_S1_DF16_EEvlllT_PT11_llS4_llS2_PT12_llPT13_lli
                                        ; -- End function
	.set _ZN12_GLOBAL__N_127rocblas_gemm_batched_kernelIDF16_Li16ELi16ELi32ELi32ELi8ELi32ELi8ELi8ELi32ELc78ELc67EKDF16_S1_DF16_EEvlllT_PT11_llS4_llS2_PT12_llPT13_lli.num_vgpr, 28
	.set _ZN12_GLOBAL__N_127rocblas_gemm_batched_kernelIDF16_Li16ELi16ELi32ELi32ELi8ELi32ELi8ELi8ELi32ELc78ELc67EKDF16_S1_DF16_EEvlllT_PT11_llS4_llS2_PT12_llPT13_lli.num_agpr, 0
	.set _ZN12_GLOBAL__N_127rocblas_gemm_batched_kernelIDF16_Li16ELi16ELi32ELi32ELi8ELi32ELi8ELi8ELi32ELc78ELc67EKDF16_S1_DF16_EEvlllT_PT11_llS4_llS2_PT12_llPT13_lli.numbered_sgpr, 22
	.set _ZN12_GLOBAL__N_127rocblas_gemm_batched_kernelIDF16_Li16ELi16ELi32ELi32ELi8ELi32ELi8ELi8ELi32ELc78ELc67EKDF16_S1_DF16_EEvlllT_PT11_llS4_llS2_PT12_llPT13_lli.num_named_barrier, 0
	.set _ZN12_GLOBAL__N_127rocblas_gemm_batched_kernelIDF16_Li16ELi16ELi32ELi32ELi8ELi32ELi8ELi8ELi32ELc78ELc67EKDF16_S1_DF16_EEvlllT_PT11_llS4_llS2_PT12_llPT13_lli.private_seg_size, 0
	.set _ZN12_GLOBAL__N_127rocblas_gemm_batched_kernelIDF16_Li16ELi16ELi32ELi32ELi8ELi32ELi8ELi8ELi32ELc78ELc67EKDF16_S1_DF16_EEvlllT_PT11_llS4_llS2_PT12_llPT13_lli.uses_vcc, 1
	.set _ZN12_GLOBAL__N_127rocblas_gemm_batched_kernelIDF16_Li16ELi16ELi32ELi32ELi8ELi32ELi8ELi8ELi32ELc78ELc67EKDF16_S1_DF16_EEvlllT_PT11_llS4_llS2_PT12_llPT13_lli.uses_flat_scratch, 0
	.set _ZN12_GLOBAL__N_127rocblas_gemm_batched_kernelIDF16_Li16ELi16ELi32ELi32ELi8ELi32ELi8ELi8ELi32ELc78ELc67EKDF16_S1_DF16_EEvlllT_PT11_llS4_llS2_PT12_llPT13_lli.has_dyn_sized_stack, 0
	.set _ZN12_GLOBAL__N_127rocblas_gemm_batched_kernelIDF16_Li16ELi16ELi32ELi32ELi8ELi32ELi8ELi8ELi32ELc78ELc67EKDF16_S1_DF16_EEvlllT_PT11_llS4_llS2_PT12_llPT13_lli.has_recursion, 0
	.set _ZN12_GLOBAL__N_127rocblas_gemm_batched_kernelIDF16_Li16ELi16ELi32ELi32ELi8ELi32ELi8ELi8ELi32ELc78ELc67EKDF16_S1_DF16_EEvlllT_PT11_llS4_llS2_PT12_llPT13_lli.has_indirect_call, 0
	.section	.AMDGPU.csdata,"",@progbits
; Kernel info:
; codeLenInByte = 1432
; TotalNumSgprs: 24
; NumVgprs: 28
; ScratchSize: 0
; MemoryBound: 0
; FloatMode: 240
; IeeeMode: 1
; LDSByteSize: 1024 bytes/workgroup (compile time only)
; SGPRBlocks: 0
; VGPRBlocks: 3
; NumSGPRsForWavesPerEU: 24
; NumVGPRsForWavesPerEU: 28
; Occupancy: 16
; WaveLimiterHint : 0
; COMPUTE_PGM_RSRC2:SCRATCH_EN: 0
; COMPUTE_PGM_RSRC2:USER_SGPR: 6
; COMPUTE_PGM_RSRC2:TRAP_HANDLER: 0
; COMPUTE_PGM_RSRC2:TGID_X_EN: 1
; COMPUTE_PGM_RSRC2:TGID_Y_EN: 1
; COMPUTE_PGM_RSRC2:TGID_Z_EN: 1
; COMPUTE_PGM_RSRC2:TIDIG_COMP_CNT: 1
	.section	.text._ZN12_GLOBAL__N_127rocblas_gemm_batched_kernelIDF16_Li16ELi16ELi32ELi32ELi8ELi32ELi8ELi8ELi32ELc84ELc67EKDF16_S1_DF16_EEvlllT_PT11_llS4_llS2_PT12_llPT13_lli,"axG",@progbits,_ZN12_GLOBAL__N_127rocblas_gemm_batched_kernelIDF16_Li16ELi16ELi32ELi32ELi8ELi32ELi8ELi8ELi32ELc84ELc67EKDF16_S1_DF16_EEvlllT_PT11_llS4_llS2_PT12_llPT13_lli,comdat
	.globl	_ZN12_GLOBAL__N_127rocblas_gemm_batched_kernelIDF16_Li16ELi16ELi32ELi32ELi8ELi32ELi8ELi8ELi32ELc84ELc67EKDF16_S1_DF16_EEvlllT_PT11_llS4_llS2_PT12_llPT13_lli ; -- Begin function _ZN12_GLOBAL__N_127rocblas_gemm_batched_kernelIDF16_Li16ELi16ELi32ELi32ELi8ELi32ELi8ELi8ELi32ELc84ELc67EKDF16_S1_DF16_EEvlllT_PT11_llS4_llS2_PT12_llPT13_lli
	.p2align	8
	.type	_ZN12_GLOBAL__N_127rocblas_gemm_batched_kernelIDF16_Li16ELi16ELi32ELi32ELi8ELi32ELi8ELi8ELi32ELc84ELc67EKDF16_S1_DF16_EEvlllT_PT11_llS4_llS2_PT12_llPT13_lli,@function
_ZN12_GLOBAL__N_127rocblas_gemm_batched_kernelIDF16_Li16ELi16ELi32ELi32ELi8ELi32ELi8ELi8ELi32ELc84ELc67EKDF16_S1_DF16_EEvlllT_PT11_llS4_llS2_PT12_llPT13_lli: ; @_ZN12_GLOBAL__N_127rocblas_gemm_batched_kernelIDF16_Li16ELi16ELi32ELi32ELi8ELi32ELi8ELi8ELi32ELc84ELc67EKDF16_S1_DF16_EEvlllT_PT11_llS4_llS2_PT12_llPT13_lli
; %bb.0:
	s_load_dwordx2 s[20:21], s[4:5], 0x10
	s_mov_b32 s0, s7
	v_mov_b32_e32 v3, 0
	s_ashr_i32 s7, s6, 31
	s_ashr_i32 s1, s0, 31
	s_lshl_b64 s[6:7], s[6:7], 5
	s_lshl_b64 s[10:11], s[0:1], 5
	s_waitcnt lgkmcnt(0)
	v_cmp_lt_i64_e64 s2, s[20:21], 1
	s_and_b32 vcc_lo, exec_lo, s2
	s_cbranch_vccnz .LBB352_3
; %bb.1:
	v_lshlrev_b32_e32 v4, 4, v1
	s_clause 0x1
	s_load_dwordx8 s[12:19], s[4:5], 0x20
	s_load_dwordx4 s[0:3], s[4:5], 0x40
	v_and_b32_e32 v12, 7, v0
	v_lshlrev_b32_e32 v8, 1, v0
	v_add_nc_u32_e32 v5, v4, v0
	v_add_nc_u32_e32 v9, 0x200, v4
	v_lshlrev_b32_e32 v6, 1, v12
	v_and_b32_e32 v7, 31, v5
	v_lshrrev_b32_e32 v2, 3, v5
	v_lshrrev_b32_e32 v15, 5, v5
	v_lshlrev_b32_e32 v4, 1, v7
	v_lshl_or_b32 v11, v2, 4, v6
	v_add_co_u32 v6, s9, s6, v7
	v_add_co_ci_u32_e64 v7, null, s7, 0, s9
	v_lshl_or_b32 v10, v15, 6, v4
	s_waitcnt lgkmcnt(0)
	v_mad_u64_u32 v[4:5], null, s0, v12, v[2:3]
	v_mul_lo_u32 v13, s15, v6
	v_mul_lo_u32 v14, s14, v7
	v_mad_u64_u32 v[6:7], null, s14, v6, 0
	s_mul_i32 s3, s3, s8
	s_mul_hi_u32 s9, s2, s8
	v_mov_b32_e32 v2, v5
	s_mul_i32 s2, s2, s8
	s_add_i32 s3, s9, s3
	v_add_nc_u32_e32 v11, 0x200, v11
	v_add3_u32 v7, v7, v14, v13
	v_mad_u64_u32 v[12:13], null, s1, v12, v[2:3]
	s_lshl_b64 s[2:3], s[2:3], 1
	v_add_co_u32 v13, vcc_lo, v4, s10
	s_add_u32 s9, s18, s2
	s_addc_u32 s14, s19, s3
	s_mul_i32 s2, s17, s8
	s_mul_hi_u32 s3, s16, s8
	v_lshlrev_b64 v[5:6], 1, v[6:7]
	s_add_i32 s3, s3, s2
	s_mul_i32 s2, s16, s8
	v_add_co_ci_u32_e64 v14, null, s11, v12, vcc_lo
	s_lshl_b64 s[2:3], s[2:3], 1
	v_lshlrev_b32_e32 v2, 1, v15
	v_add_co_u32 v7, vcc_lo, v5, s2
	v_add_co_ci_u32_e64 v6, null, s3, v6, vcc_lo
	v_lshlrev_b64 v[4:5], 1, v[13:14]
	v_add_co_u32 v2, vcc_lo, v7, v2
	v_add_co_ci_u32_e64 v7, null, 0, v6, vcc_lo
	s_lshl_b64 s[0:1], s[0:1], 4
	v_add_co_u32 v4, vcc_lo, s9, v4
	v_add_co_ci_u32_e64 v5, null, s14, v5, vcc_lo
	v_add_co_u32 v6, vcc_lo, s12, v2
	v_add_co_ci_u32_e64 v7, null, s13, v7, vcc_lo
	v_mov_b32_e32 v2, 0
	s_mov_b64 s[2:3], 0
.LBB352_2:                              ; =>This Inner Loop Header: Depth=1
	global_load_ushort v12, v[6:7], off
	global_load_ushort v13, v[4:5], off
	s_add_u32 s2, s2, 8
	s_addc_u32 s3, s3, 0
	v_add_co_u32 v4, vcc_lo, v4, s0
	v_cmp_lt_i64_e64 s9, s[2:3], s[20:21]
	v_add_co_ci_u32_e64 v5, null, s1, v5, vcc_lo
	v_add_co_u32 v6, vcc_lo, v6, 16
	v_add_co_ci_u32_e64 v7, null, 0, v7, vcc_lo
	s_and_b32 vcc_lo, exec_lo, s9
	s_waitcnt vmcnt(1)
	ds_write_b16 v10, v12
	s_waitcnt vmcnt(0)
	ds_write_b16 v11, v13
	s_waitcnt lgkmcnt(0)
	s_barrier
	buffer_gl0_inv
	ds_read_u16 v20, v8 offset:32
	ds_read_u16 v21, v8 offset:96
	;; [unrolled: 1-line block ×3, first 2 shown]
	ds_read_b128 v[12:15], v9
	ds_read_b128 v[16:19], v9 offset:256
	ds_read_u16 v23, v8 offset:224
	ds_read_u16 v24, v8 offset:288
	;; [unrolled: 1-line block ×5, first 2 shown]
	s_waitcnt lgkmcnt(9)
	ds_read_u16_d16_hi v20, v8
	s_waitcnt lgkmcnt(9)
	ds_read_u16_d16_hi v21, v8 offset:64
	s_waitcnt lgkmcnt(9)
	ds_read_u16_d16_hi v22, v8 offset:128
	;; [unrolled: 2-line block ×7, first 2 shown]
	s_waitcnt lgkmcnt(0)
	s_barrier
	buffer_gl0_inv
	v_pk_fma_f16 v3, v20, v12, v3 op_sel_hi:[1,0,1]
	v_pk_fma_f16 v2, v20, v16, v2 op_sel_hi:[1,0,1]
	v_pk_fma_f16 v3, v21, v12, v3 op_sel:[0,1,0]
	v_pk_fma_f16 v2, v21, v16, v2 op_sel:[0,1,0]
	v_pk_fma_f16 v3, v22, v13, v3 op_sel_hi:[1,0,1]
	v_pk_fma_f16 v2, v22, v17, v2 op_sel_hi:[1,0,1]
	v_pk_fma_f16 v3, v23, v13, v3 op_sel:[0,1,0]
	v_pk_fma_f16 v2, v23, v17, v2 op_sel:[0,1,0]
	;; [unrolled: 4-line block ×4, first 2 shown]
	s_cbranch_vccnz .LBB352_2
	s_branch .LBB352_4
.LBB352_3:
	v_mov_b32_e32 v2, 0
.LBB352_4:
	s_clause 0x3
	s_load_dwordx4 s[0:3], s[4:5], 0x78
	s_load_dword s9, s[4:5], 0x50
	s_load_dwordx8 s[12:19], s[4:5], 0x58
	s_load_dword s4, s[4:5], 0x18
	v_add_co_u32 v7, s5, s6, v0
	v_add_co_ci_u32_e64 v8, null, s7, 0, s5
	v_add_co_u32 v6, s5, s10, v1
	v_add_co_ci_u32_e64 v9, null, s11, 0, s5
	v_lshlrev_b64 v[0:1], 1, v[7:8]
	v_lshrrev_b32_e32 v5, 16, v3
	v_lshrrev_b32_e32 v4, 16, v2
	s_waitcnt lgkmcnt(0)
	s_mul_i32 s3, s3, s8
	s_mul_hi_u32 s5, s2, s8
	v_mul_lo_u32 v7, v9, s0
	v_mul_lo_u32 v8, v6, s1
	s_mul_i32 s2, s2, s8
	v_cmp_neq_f16_e64 s6, s9, 0
	s_add_i32 s3, s5, s3
	s_mov_b32 s5, 0
	s_lshl_b64 s[2:3], s[2:3], 1
	s_add_u32 s2, s18, s2
	s_addc_u32 s3, s19, s3
	s_and_b32 vcc_lo, exec_lo, s6
	s_cbranch_vccnz .LBB352_8
; %bb.5:
	v_mad_u64_u32 v[10:11], null, v6, s0, 0
	s_lshl_b64 s[6:7], s[0:1], 5
	v_mul_f16_sdwa v14, s4, v3 dst_sel:DWORD dst_unused:UNUSED_PAD src0_sel:DWORD src1_sel:WORD_1
	v_mul_f16_e32 v15, s4, v3
	v_mul_f16_sdwa v16, s4, v2 dst_sel:DWORD dst_unused:UNUSED_PAD src0_sel:DWORD src1_sel:WORD_1
	v_mul_f16_e32 v17, s4, v2
	v_add3_u32 v11, v11, v8, v7
	v_lshlrev_b64 v[10:11], 1, v[10:11]
	v_add_co_u32 v10, vcc_lo, s2, v10
	v_add_co_ci_u32_e64 v11, null, s3, v11, vcc_lo
	v_add_co_u32 v12, vcc_lo, v10, s6
	v_add_co_ci_u32_e64 v13, null, s7, v11, vcc_lo
	;; [unrolled: 2-line block ×4, first 2 shown]
	global_store_short v[10:11], v14, off
	global_store_short v[10:11], v15, off offset:32
	global_store_short v[12:13], v16, off
	global_store_short v[12:13], v17, off offset:32
	s_andn2_b32 vcc_lo, exec_lo, s5
	s_cbranch_vccnz .LBB352_7
.LBB352_6:
	v_mul_lo_u32 v11, v9, s14
	v_mul_lo_u32 v12, v6, s15
	v_mad_u64_u32 v[9:10], null, v6, s14, 0
	s_mul_i32 s5, s17, s8
	s_mul_hi_u32 s7, s16, s8
	s_mul_i32 s6, s16, s8
	s_add_i32 s7, s7, s5
	s_lshl_b64 s[6:7], s[6:7], 1
	v_add3_u32 v10, v10, v12, v11
	s_add_u32 s5, s12, s6
	s_addc_u32 s6, s13, s7
	v_mad_u64_u32 v[11:12], null, v6, s0, 0
	v_lshlrev_b64 v[9:10], 1, v[9:10]
	s_lshl_b64 s[0:1], s[0:1], 5
	v_add3_u32 v12, v12, v8, v7
	v_add_co_u32 v13, vcc_lo, s5, v9
	v_add_co_ci_u32_e64 v14, null, s6, v10, vcc_lo
	v_lshlrev_b64 v[6:7], 1, v[11:12]
	v_add_co_u32 v9, vcc_lo, v13, v0
	v_add_co_ci_u32_e64 v10, null, v14, v1, vcc_lo
	v_add_co_u32 v11, vcc_lo, s2, v6
	global_load_ushort v15, v[9:10], off
	v_add_co_ci_u32_e64 v12, null, s3, v7, vcc_lo
	v_add_co_u32 v6, vcc_lo, v11, v0
	s_lshl_b64 s[2:3], s[14:15], 5
	v_add_co_ci_u32_e64 v7, null, v12, v1, vcc_lo
	s_waitcnt vmcnt(0)
	v_mul_f16_e32 v8, s9, v15
	v_fmac_f16_e32 v8, s4, v5
	global_store_short v[6:7], v8, off
	global_load_ushort v5, v[9:10], off offset:32
	v_add_co_u32 v8, vcc_lo, v13, s2
	v_add_co_ci_u32_e64 v9, null, s3, v14, vcc_lo
	v_add_co_u32 v8, vcc_lo, v8, v0
	v_add_co_ci_u32_e64 v9, null, v9, v1, vcc_lo
	s_waitcnt vmcnt(0)
	v_mul_f16_e32 v5, s9, v5
	v_fmac_f16_e32 v5, s4, v3
	global_store_short v[6:7], v5, off offset:32
	global_load_ushort v3, v[8:9], off
	v_add_co_u32 v5, vcc_lo, v11, s0
	v_add_co_ci_u32_e64 v6, null, s1, v12, vcc_lo
	v_add_co_u32 v0, vcc_lo, v5, v0
	v_add_co_ci_u32_e64 v1, null, v6, v1, vcc_lo
	s_waitcnt vmcnt(0)
	v_mul_f16_e32 v3, s9, v3
	v_fmac_f16_e32 v3, s4, v4
	global_store_short v[0:1], v3, off
	global_load_ushort v3, v[8:9], off offset:32
	s_waitcnt vmcnt(0)
	v_mul_f16_e32 v3, s9, v3
	v_fmac_f16_e32 v3, s4, v2
	global_store_short v[0:1], v3, off offset:32
.LBB352_7:
	s_endpgm
.LBB352_8:
	s_branch .LBB352_6
	.section	.rodata,"a",@progbits
	.p2align	6, 0x0
	.amdhsa_kernel _ZN12_GLOBAL__N_127rocblas_gemm_batched_kernelIDF16_Li16ELi16ELi32ELi32ELi8ELi32ELi8ELi8ELi32ELc84ELc67EKDF16_S1_DF16_EEvlllT_PT11_llS4_llS2_PT12_llPT13_lli
		.amdhsa_group_segment_fixed_size 1024
		.amdhsa_private_segment_fixed_size 0
		.amdhsa_kernarg_size 140
		.amdhsa_user_sgpr_count 6
		.amdhsa_user_sgpr_private_segment_buffer 1
		.amdhsa_user_sgpr_dispatch_ptr 0
		.amdhsa_user_sgpr_queue_ptr 0
		.amdhsa_user_sgpr_kernarg_segment_ptr 1
		.amdhsa_user_sgpr_dispatch_id 0
		.amdhsa_user_sgpr_flat_scratch_init 0
		.amdhsa_user_sgpr_private_segment_size 0
		.amdhsa_wavefront_size32 1
		.amdhsa_uses_dynamic_stack 0
		.amdhsa_system_sgpr_private_segment_wavefront_offset 0
		.amdhsa_system_sgpr_workgroup_id_x 1
		.amdhsa_system_sgpr_workgroup_id_y 1
		.amdhsa_system_sgpr_workgroup_id_z 1
		.amdhsa_system_sgpr_workgroup_info 0
		.amdhsa_system_vgpr_workitem_id 1
		.amdhsa_next_free_vgpr 28
		.amdhsa_next_free_sgpr 22
		.amdhsa_reserve_vcc 1
		.amdhsa_reserve_flat_scratch 0
		.amdhsa_float_round_mode_32 0
		.amdhsa_float_round_mode_16_64 0
		.amdhsa_float_denorm_mode_32 3
		.amdhsa_float_denorm_mode_16_64 3
		.amdhsa_dx10_clamp 1
		.amdhsa_ieee_mode 1
		.amdhsa_fp16_overflow 0
		.amdhsa_workgroup_processor_mode 1
		.amdhsa_memory_ordered 1
		.amdhsa_forward_progress 1
		.amdhsa_shared_vgpr_count 0
		.amdhsa_exception_fp_ieee_invalid_op 0
		.amdhsa_exception_fp_denorm_src 0
		.amdhsa_exception_fp_ieee_div_zero 0
		.amdhsa_exception_fp_ieee_overflow 0
		.amdhsa_exception_fp_ieee_underflow 0
		.amdhsa_exception_fp_ieee_inexact 0
		.amdhsa_exception_int_div_zero 0
	.end_amdhsa_kernel
	.section	.text._ZN12_GLOBAL__N_127rocblas_gemm_batched_kernelIDF16_Li16ELi16ELi32ELi32ELi8ELi32ELi8ELi8ELi32ELc84ELc67EKDF16_S1_DF16_EEvlllT_PT11_llS4_llS2_PT12_llPT13_lli,"axG",@progbits,_ZN12_GLOBAL__N_127rocblas_gemm_batched_kernelIDF16_Li16ELi16ELi32ELi32ELi8ELi32ELi8ELi8ELi32ELc84ELc67EKDF16_S1_DF16_EEvlllT_PT11_llS4_llS2_PT12_llPT13_lli,comdat
.Lfunc_end352:
	.size	_ZN12_GLOBAL__N_127rocblas_gemm_batched_kernelIDF16_Li16ELi16ELi32ELi32ELi8ELi32ELi8ELi8ELi32ELc84ELc67EKDF16_S1_DF16_EEvlllT_PT11_llS4_llS2_PT12_llPT13_lli, .Lfunc_end352-_ZN12_GLOBAL__N_127rocblas_gemm_batched_kernelIDF16_Li16ELi16ELi32ELi32ELi8ELi32ELi8ELi8ELi32ELc84ELc67EKDF16_S1_DF16_EEvlllT_PT11_llS4_llS2_PT12_llPT13_lli
                                        ; -- End function
	.set _ZN12_GLOBAL__N_127rocblas_gemm_batched_kernelIDF16_Li16ELi16ELi32ELi32ELi8ELi32ELi8ELi8ELi32ELc84ELc67EKDF16_S1_DF16_EEvlllT_PT11_llS4_llS2_PT12_llPT13_lli.num_vgpr, 28
	.set _ZN12_GLOBAL__N_127rocblas_gemm_batched_kernelIDF16_Li16ELi16ELi32ELi32ELi8ELi32ELi8ELi8ELi32ELc84ELc67EKDF16_S1_DF16_EEvlllT_PT11_llS4_llS2_PT12_llPT13_lli.num_agpr, 0
	.set _ZN12_GLOBAL__N_127rocblas_gemm_batched_kernelIDF16_Li16ELi16ELi32ELi32ELi8ELi32ELi8ELi8ELi32ELc84ELc67EKDF16_S1_DF16_EEvlllT_PT11_llS4_llS2_PT12_llPT13_lli.numbered_sgpr, 22
	.set _ZN12_GLOBAL__N_127rocblas_gemm_batched_kernelIDF16_Li16ELi16ELi32ELi32ELi8ELi32ELi8ELi8ELi32ELc84ELc67EKDF16_S1_DF16_EEvlllT_PT11_llS4_llS2_PT12_llPT13_lli.num_named_barrier, 0
	.set _ZN12_GLOBAL__N_127rocblas_gemm_batched_kernelIDF16_Li16ELi16ELi32ELi32ELi8ELi32ELi8ELi8ELi32ELc84ELc67EKDF16_S1_DF16_EEvlllT_PT11_llS4_llS2_PT12_llPT13_lli.private_seg_size, 0
	.set _ZN12_GLOBAL__N_127rocblas_gemm_batched_kernelIDF16_Li16ELi16ELi32ELi32ELi8ELi32ELi8ELi8ELi32ELc84ELc67EKDF16_S1_DF16_EEvlllT_PT11_llS4_llS2_PT12_llPT13_lli.uses_vcc, 1
	.set _ZN12_GLOBAL__N_127rocblas_gemm_batched_kernelIDF16_Li16ELi16ELi32ELi32ELi8ELi32ELi8ELi8ELi32ELc84ELc67EKDF16_S1_DF16_EEvlllT_PT11_llS4_llS2_PT12_llPT13_lli.uses_flat_scratch, 0
	.set _ZN12_GLOBAL__N_127rocblas_gemm_batched_kernelIDF16_Li16ELi16ELi32ELi32ELi8ELi32ELi8ELi8ELi32ELc84ELc67EKDF16_S1_DF16_EEvlllT_PT11_llS4_llS2_PT12_llPT13_lli.has_dyn_sized_stack, 0
	.set _ZN12_GLOBAL__N_127rocblas_gemm_batched_kernelIDF16_Li16ELi16ELi32ELi32ELi8ELi32ELi8ELi8ELi32ELc84ELc67EKDF16_S1_DF16_EEvlllT_PT11_llS4_llS2_PT12_llPT13_lli.has_recursion, 0
	.set _ZN12_GLOBAL__N_127rocblas_gemm_batched_kernelIDF16_Li16ELi16ELi32ELi32ELi8ELi32ELi8ELi8ELi32ELc84ELc67EKDF16_S1_DF16_EEvlllT_PT11_llS4_llS2_PT12_llPT13_lli.has_indirect_call, 0
	.section	.AMDGPU.csdata,"",@progbits
; Kernel info:
; codeLenInByte = 1468
; TotalNumSgprs: 24
; NumVgprs: 28
; ScratchSize: 0
; MemoryBound: 0
; FloatMode: 240
; IeeeMode: 1
; LDSByteSize: 1024 bytes/workgroup (compile time only)
; SGPRBlocks: 0
; VGPRBlocks: 3
; NumSGPRsForWavesPerEU: 24
; NumVGPRsForWavesPerEU: 28
; Occupancy: 16
; WaveLimiterHint : 0
; COMPUTE_PGM_RSRC2:SCRATCH_EN: 0
; COMPUTE_PGM_RSRC2:USER_SGPR: 6
; COMPUTE_PGM_RSRC2:TRAP_HANDLER: 0
; COMPUTE_PGM_RSRC2:TGID_X_EN: 1
; COMPUTE_PGM_RSRC2:TGID_Y_EN: 1
; COMPUTE_PGM_RSRC2:TGID_Z_EN: 1
; COMPUTE_PGM_RSRC2:TIDIG_COMP_CNT: 1
	.section	.text._ZN12_GLOBAL__N_135rocblas_gemm_batched_general_kernelIDF16_Li16ELi16ELi32ELi32ELi8ELi32ELi8ELi8ELi32ELc78ELc78EKDF16_S1_DF16_EEvlllT_PT11_llS4_llS2_PT12_llPT13_lli,"axG",@progbits,_ZN12_GLOBAL__N_135rocblas_gemm_batched_general_kernelIDF16_Li16ELi16ELi32ELi32ELi8ELi32ELi8ELi8ELi32ELc78ELc78EKDF16_S1_DF16_EEvlllT_PT11_llS4_llS2_PT12_llPT13_lli,comdat
	.globl	_ZN12_GLOBAL__N_135rocblas_gemm_batched_general_kernelIDF16_Li16ELi16ELi32ELi32ELi8ELi32ELi8ELi8ELi32ELc78ELc78EKDF16_S1_DF16_EEvlllT_PT11_llS4_llS2_PT12_llPT13_lli ; -- Begin function _ZN12_GLOBAL__N_135rocblas_gemm_batched_general_kernelIDF16_Li16ELi16ELi32ELi32ELi8ELi32ELi8ELi8ELi32ELc78ELc78EKDF16_S1_DF16_EEvlllT_PT11_llS4_llS2_PT12_llPT13_lli
	.p2align	8
	.type	_ZN12_GLOBAL__N_135rocblas_gemm_batched_general_kernelIDF16_Li16ELi16ELi32ELi32ELi8ELi32ELi8ELi8ELi32ELc78ELc78EKDF16_S1_DF16_EEvlllT_PT11_llS4_llS2_PT12_llPT13_lli,@function
_ZN12_GLOBAL__N_135rocblas_gemm_batched_general_kernelIDF16_Li16ELi16ELi32ELi32ELi8ELi32ELi8ELi8ELi32ELc78ELc78EKDF16_S1_DF16_EEvlllT_PT11_llS4_llS2_PT12_llPT13_lli: ; @_ZN12_GLOBAL__N_135rocblas_gemm_batched_general_kernelIDF16_Li16ELi16ELi32ELi32ELi8ELi32ELi8ELi8ELi32ELc78ELc78EKDF16_S1_DF16_EEvlllT_PT11_llS4_llS2_PT12_llPT13_lli
; %bb.0:
	s_clause 0x1
	s_load_dwordx2 s[28:29], s[4:5], 0x10
	s_load_dwordx4 s[20:23], s[4:5], 0x0
	s_mov_b32 s0, s7
	v_mov_b32_e32 v7, 0
	s_ashr_i32 s7, s6, 31
	s_ashr_i32 s1, s0, 31
	s_lshl_b64 s[10:11], s[6:7], 5
	s_waitcnt lgkmcnt(0)
	v_cmp_lt_i64_e64 s2, s[28:29], 1
	s_and_b32 vcc_lo, exec_lo, s2
	s_lshl_b64 s[2:3], s[0:1], 5
	s_cbranch_vccnz .LBB353_7
; %bb.1:
	s_clause 0x1
	s_load_dwordx8 s[12:19], s[4:5], 0x20
	s_load_dwordx4 s[24:27], s[4:5], 0x40
	v_lshlrev_b32_e32 v8, 4, v1
	v_mov_b32_e32 v3, s11
	v_and_b32_e32 v6, 7, v0
	s_lshl_b64 s[6:7], s[6:7], 6
	v_lshlrev_b32_e32 v9, 1, v0
	v_add_nc_u32_e32 v2, v8, v0
	v_lshlrev_b32_e32 v17, 1, v6
	v_lshrrev_b32_e32 v12, 3, v2
	v_lshrrev_b32_e32 v10, 5, v2
	v_and_b32_e32 v11, 31, v2
	v_add_co_u32 v4, s0, v12, s2
	v_add_co_ci_u32_e64 v5, null, 0, s3, s0
	v_or_b32_e32 v2, s10, v11
	s_waitcnt lgkmcnt(0)
	v_mad_u64_u32 v[14:15], null, s14, v10, 0
	v_cmp_gt_i64_e64 s1, s[22:23], v[4:5]
	v_mul_lo_u32 v19, s25, v4
	v_cmp_gt_i64_e64 s0, s[20:21], v[2:3]
	v_mad_u64_u32 v[3:4], null, s24, v4, 0
	v_mul_lo_u32 v5, s24, v5
	v_mov_b32_e32 v2, v15
	s_mul_i32 s9, s27, s8
	s_mul_hi_u32 s25, s26, s8
	s_mul_i32 s24, s26, s8
	s_mul_i32 s17, s17, s8
	v_mad_u64_u32 v[15:16], null, s15, v10, v[2:3]
	v_add3_u32 v4, v4, v5, v19
	s_mul_hi_u32 s26, s16, s8
	s_mul_i32 s16, s16, s8
	s_add_i32 s25, s25, s9
	s_add_i32 s17, s26, s17
	v_lshlrev_b64 v[2:3], 1, v[3:4]
	v_lshlrev_b64 v[4:5], 1, v[14:15]
	s_lshl_b64 s[24:25], s[24:25], 1
	s_lshl_b64 s[16:17], s[16:17], 1
	v_lshlrev_b32_e32 v18, 1, v11
	s_add_u32 s6, s6, s16
	v_add_co_u32 v2, vcc_lo, v2, s24
	v_add_co_ci_u32_e64 v3, null, s25, v3, vcc_lo
	s_addc_u32 s7, s7, s17
	v_add_co_u32 v4, vcc_lo, s6, v4
	v_add_co_ci_u32_e64 v5, null, s7, v5, vcc_lo
	v_add_co_u32 v2, vcc_lo, v2, v17
	v_add_co_ci_u32_e64 v3, null, 0, v3, vcc_lo
	v_add_co_u32 v4, vcc_lo, v4, v18
	v_add_nc_u32_e32 v11, 0x200, v8
	v_lshl_or_b32 v8, v12, 4, v17
	v_add_co_ci_u32_e64 v5, null, 0, v5, vcc_lo
	v_add_co_u32 v2, vcc_lo, s18, v2
	v_add_co_ci_u32_e64 v3, null, s19, v3, vcc_lo
	v_add_co_u32 v4, vcc_lo, s12, v4
	v_lshl_or_b32 v12, v10, 6, v18
	v_add_nc_u32_e32 v13, 0x200, v8
	v_add_co_ci_u32_e64 v5, null, s13, v5, vcc_lo
	v_mov_b32_e32 v8, 0
	s_lshl_b64 s[6:7], s[14:15], 4
	s_mov_b64 s[12:13], 0
	s_branch .LBB353_3
.LBB353_2:                              ;   in Loop: Header=BB353_3 Depth=1
	s_or_b32 exec_lo, exec_lo, s9
	s_waitcnt vmcnt(0)
	ds_write_b16 v13, v14
	s_waitcnt lgkmcnt(0)
	s_barrier
	buffer_gl0_inv
	ds_read_u16 v22, v9
	ds_read_u16 v23, v9 offset:64
	ds_read_u16 v24, v9 offset:128
	;; [unrolled: 1-line block ×7, first 2 shown]
	s_add_u32 s12, s12, 8
	s_addc_u32 s13, s13, 0
	v_add_co_u32 v2, vcc_lo, v2, 16
	v_cmp_lt_i64_e64 s9, s[12:13], s[28:29]
	v_add_co_ci_u32_e64 v3, null, 0, v3, vcc_lo
	v_add_co_u32 v4, vcc_lo, v4, s6
	v_add_co_ci_u32_e64 v5, null, s7, v5, vcc_lo
	s_and_b32 vcc_lo, exec_lo, s9
	s_waitcnt lgkmcnt(7)
	ds_read_u16_d16_hi v22, v9 offset:32
	ds_read_b128 v[14:17], v11
	ds_read_b128 v[18:21], v11 offset:256
	s_waitcnt lgkmcnt(9)
	ds_read_u16_d16_hi v23, v9 offset:96
	s_waitcnt lgkmcnt(9)
	ds_read_u16_d16_hi v24, v9 offset:160
	;; [unrolled: 2-line block ×7, first 2 shown]
	s_waitcnt lgkmcnt(0)
	s_barrier
	buffer_gl0_inv
	v_pk_fma_f16 v7, v22, v14, v7 op_sel_hi:[1,0,1]
	v_pk_fma_f16 v8, v22, v18, v8 op_sel_hi:[1,0,1]
	v_pk_fma_f16 v7, v23, v14, v7 op_sel:[0,1,0]
	v_pk_fma_f16 v8, v23, v18, v8 op_sel:[0,1,0]
	v_pk_fma_f16 v7, v24, v15, v7 op_sel_hi:[1,0,1]
	v_pk_fma_f16 v8, v24, v19, v8 op_sel_hi:[1,0,1]
	v_pk_fma_f16 v7, v25, v15, v7 op_sel:[0,1,0]
	v_pk_fma_f16 v8, v25, v19, v8 op_sel:[0,1,0]
	;; [unrolled: 4-line block ×4, first 2 shown]
	s_cbranch_vccz .LBB353_8
.LBB353_3:                              ; =>This Inner Loop Header: Depth=1
	v_add_co_u32 v14, s9, v10, s12
	v_add_co_ci_u32_e64 v15, null, 0, s13, s9
	v_cmp_gt_i64_e32 vcc_lo, s[28:29], v[14:15]
	v_mov_b32_e32 v14, 0
	v_mov_b32_e32 v15, 0
	s_and_b32 s14, s0, vcc_lo
	s_and_saveexec_b32 s9, s14
	s_cbranch_execz .LBB353_5
; %bb.4:                                ;   in Loop: Header=BB353_3 Depth=1
	global_load_ushort v15, v[4:5], off
.LBB353_5:                              ;   in Loop: Header=BB353_3 Depth=1
	s_or_b32 exec_lo, exec_lo, s9
	v_add_co_u32 v16, s9, v6, s12
	v_add_co_ci_u32_e64 v17, null, 0, s13, s9
	s_waitcnt vmcnt(0)
	ds_write_b16 v12, v15
	v_cmp_gt_i64_e32 vcc_lo, s[28:29], v[16:17]
	s_and_b32 s14, vcc_lo, s1
	s_and_saveexec_b32 s9, s14
	s_cbranch_execz .LBB353_2
; %bb.6:                                ;   in Loop: Header=BB353_3 Depth=1
	global_load_ushort v14, v[2:3], off
	s_branch .LBB353_2
.LBB353_7:
	v_mov_b32_e32 v8, 0
.LBB353_8:
	s_clause 0x3
	s_load_dwordx4 s[24:27], s[4:5], 0x78
	s_load_dword s6, s[4:5], 0x50
	s_load_dwordx8 s[12:19], s[4:5], 0x58
	s_load_dword s4, s[4:5], 0x18
	v_add_co_u32 v1, s0, s2, v1
	v_add_co_ci_u32_e64 v2, null, s3, 0, s0
	s_waitcnt lgkmcnt(0)
	s_mul_i32 s1, s27, s8
	s_mul_hi_u32 s2, s26, s8
	s_mul_i32 s0, s26, s8
	s_add_i32 s1, s2, s1
	v_cmp_neq_f16_e64 s2, s6, 0
	s_lshl_b64 s[26:27], s[0:1], 1
	v_cmp_gt_i64_e64 s0, s[22:23], v[1:2]
	s_add_u32 s3, s18, s26
	s_addc_u32 s5, s19, s27
	s_and_b32 vcc_lo, exec_lo, s2
	s_cbranch_vccnz .LBB353_21
; %bb.9:
	s_and_saveexec_b32 s7, s0
	s_cbranch_execz .LBB353_19
; %bb.10:
	v_mul_lo_u32 v5, v2, s24
	v_mul_lo_u32 v6, v1, s25
	v_mad_u64_u32 v[3:4], null, v1, s24, 0
	v_add3_u32 v4, v4, v6, v5
	v_add_co_u32 v5, s1, s10, v0
	v_add_co_ci_u32_e64 v6, null, s11, 0, s1
	v_lshlrev_b64 v[9:10], 1, v[3:4]
	v_cmp_gt_i64_e32 vcc_lo, s[20:21], v[5:6]
	v_lshlrev_b64 v[3:4], 1, v[5:6]
	v_add_co_u32 v9, s1, s3, v9
	v_add_co_ci_u32_e64 v10, null, s5, v10, s1
	s_and_saveexec_b32 s2, vcc_lo
	s_cbranch_execz .LBB353_12
; %bb.11:
	v_add_co_u32 v11, s1, v9, v3
	v_add_co_ci_u32_e64 v12, null, v10, v4, s1
	v_mul_f16_e32 v13, s4, v7
	global_store_short v[11:12], v13, off
.LBB353_12:
	s_or_b32 exec_lo, exec_lo, s2
	v_add_co_u32 v5, s1, v5, 16
	v_add_co_ci_u32_e64 v6, null, 0, v6, s1
	v_cmp_gt_i64_e64 s1, s[20:21], v[5:6]
	s_and_saveexec_b32 s9, s1
	s_cbranch_execz .LBB353_14
; %bb.13:
	v_add_co_u32 v5, s2, v9, v3
	v_add_co_ci_u32_e64 v6, null, v10, v4, s2
	v_mul_f16_sdwa v11, s4, v7 dst_sel:DWORD dst_unused:UNUSED_PAD src0_sel:DWORD src1_sel:WORD_1
	global_store_short v[5:6], v11, off offset:32
.LBB353_14:
	s_or_b32 exec_lo, exec_lo, s9
	v_add_co_u32 v5, s2, v1, 16
	v_add_co_ci_u32_e64 v6, null, 0, v2, s2
	v_cmp_gt_i64_e64 s2, s[22:23], v[5:6]
	s_and_b32 exec_lo, exec_lo, s2
	s_cbranch_execz .LBB353_19
; %bb.15:
	s_lshl_b64 s[18:19], s[24:25], 5
	v_add_co_u32 v5, s2, v9, s18
	v_add_co_ci_u32_e64 v6, null, s19, v10, s2
	v_add_co_u32 v3, s2, v5, v3
	v_add_co_ci_u32_e64 v4, null, v6, v4, s2
	s_and_saveexec_b32 s2, vcc_lo
	s_cbranch_execz .LBB353_17
; %bb.16:
	v_mul_f16_e32 v5, s4, v8
	global_store_short v[3:4], v5, off
.LBB353_17:
	s_or_b32 exec_lo, exec_lo, s2
	s_and_b32 exec_lo, exec_lo, s1
	s_cbranch_execz .LBB353_19
; %bb.18:
	v_mul_f16_sdwa v5, s4, v8 dst_sel:DWORD dst_unused:UNUSED_PAD src0_sel:DWORD src1_sel:WORD_1
	global_store_short v[3:4], v5, off offset:32
.LBB353_19:
	s_or_b32 exec_lo, exec_lo, s7
	s_cbranch_execz .LBB353_22
.LBB353_20:
	s_endpgm
.LBB353_21:
.LBB353_22:
	s_and_saveexec_b32 s1, s0
	s_cbranch_execz .LBB353_20
; %bb.23:
	v_mul_lo_u32 v5, v2, s14
	v_mul_lo_u32 v6, v1, s15
	v_mad_u64_u32 v[3:4], null, v1, s14, 0
	v_mul_lo_u32 v11, v2, s24
	v_mul_lo_u32 v12, v1, s25
	v_mad_u64_u32 v[9:10], null, v1, s24, 0
	s_mul_i32 s0, s17, s8
	s_mul_hi_u32 s1, s16, s8
	v_add3_u32 v4, v4, v6, v5
	s_add_i32 s1, s1, s0
	s_mul_i32 s0, s16, s8
	v_add_co_u32 v5, s2, s10, v0
	v_add3_u32 v10, v10, v12, v11
	v_lshlrev_b64 v[3:4], 1, v[3:4]
	s_lshl_b64 s[0:1], s[0:1], 1
	v_add_co_ci_u32_e64 v6, null, s11, 0, s2
	v_lshlrev_b64 v[10:11], 1, v[9:10]
	s_add_u32 s0, s12, s0
	s_addc_u32 s1, s13, s1
	v_add_co_u32 v0, s0, s0, v3
	v_add_co_ci_u32_e64 v9, null, s1, v4, s0
	v_add_co_u32 v10, s0, s3, v10
	v_cmp_gt_i64_e32 vcc_lo, s[20:21], v[5:6]
	v_lshlrev_b64 v[3:4], 1, v[5:6]
	v_add_co_ci_u32_e64 v11, null, s5, v11, s0
	s_and_saveexec_b32 s1, vcc_lo
	s_cbranch_execz .LBB353_25
; %bb.24:
	v_add_co_u32 v12, s0, v0, v3
	v_add_co_ci_u32_e64 v13, null, v9, v4, s0
	global_load_ushort v12, v[12:13], off
	s_waitcnt vmcnt(0)
	v_mul_f16_e32 v14, s6, v12
	v_add_co_u32 v12, s0, v10, v3
	v_add_co_ci_u32_e64 v13, null, v11, v4, s0
	v_fmac_f16_e32 v14, s4, v7
	global_store_short v[12:13], v14, off
.LBB353_25:
	s_or_b32 exec_lo, exec_lo, s1
	v_add_co_u32 v5, s0, v5, 16
	v_add_co_ci_u32_e64 v6, null, 0, v6, s0
	v_cmp_gt_i64_e64 s0, s[20:21], v[5:6]
	s_and_saveexec_b32 s2, s0
	s_cbranch_execz .LBB353_27
; %bb.26:
	v_add_co_u32 v5, s1, v0, v3
	v_add_co_ci_u32_e64 v6, null, v9, v4, s1
	global_load_ushort v5, v[5:6], off offset:32
	v_lshrrev_b32_e32 v6, 16, v7
	s_waitcnt vmcnt(0)
	v_mul_f16_e32 v7, s6, v5
	v_add_co_u32 v5, s1, v10, v3
	v_fmac_f16_e32 v7, s4, v6
	v_add_co_ci_u32_e64 v6, null, v11, v4, s1
	global_store_short v[5:6], v7, off offset:32
.LBB353_27:
	s_or_b32 exec_lo, exec_lo, s2
	v_add_co_u32 v1, s1, v1, 16
	v_add_co_ci_u32_e64 v2, null, 0, v2, s1
	v_cmp_gt_i64_e64 s1, s[22:23], v[1:2]
	s_and_b32 exec_lo, exec_lo, s1
	s_cbranch_execz .LBB353_20
; %bb.28:
	s_lshl_b64 s[2:3], s[14:15], 5
	v_add_co_u32 v0, s1, v0, s2
	v_add_co_ci_u32_e64 v1, null, s3, v9, s1
	s_lshl_b64 s[2:3], s[24:25], 5
	v_add_co_u32 v2, s1, v10, s2
	v_add_co_ci_u32_e64 v7, null, s3, v11, s1
	v_add_co_u32 v5, s1, v0, v3
	v_add_co_ci_u32_e64 v6, null, v1, v4, s1
	;; [unrolled: 2-line block ×3, first 2 shown]
	s_and_saveexec_b32 s1, vcc_lo
	s_cbranch_execz .LBB353_30
; %bb.29:
	global_load_ushort v2, v[5:6], off
	s_waitcnt vmcnt(0)
	v_mul_f16_e32 v2, s6, v2
	v_fmac_f16_e32 v2, s4, v8
	global_store_short v[0:1], v2, off
.LBB353_30:
	s_or_b32 exec_lo, exec_lo, s1
	s_and_b32 exec_lo, exec_lo, s0
	s_cbranch_execz .LBB353_20
; %bb.31:
	global_load_ushort v2, v[5:6], off offset:32
	v_lshrrev_b32_e32 v3, 16, v8
	s_waitcnt vmcnt(0)
	v_mul_f16_e32 v2, s6, v2
	v_fmac_f16_e32 v2, s4, v3
	global_store_short v[0:1], v2, off offset:32
	s_endpgm
	.section	.rodata,"a",@progbits
	.p2align	6, 0x0
	.amdhsa_kernel _ZN12_GLOBAL__N_135rocblas_gemm_batched_general_kernelIDF16_Li16ELi16ELi32ELi32ELi8ELi32ELi8ELi8ELi32ELc78ELc78EKDF16_S1_DF16_EEvlllT_PT11_llS4_llS2_PT12_llPT13_lli
		.amdhsa_group_segment_fixed_size 1024
		.amdhsa_private_segment_fixed_size 0
		.amdhsa_kernarg_size 140
		.amdhsa_user_sgpr_count 6
		.amdhsa_user_sgpr_private_segment_buffer 1
		.amdhsa_user_sgpr_dispatch_ptr 0
		.amdhsa_user_sgpr_queue_ptr 0
		.amdhsa_user_sgpr_kernarg_segment_ptr 1
		.amdhsa_user_sgpr_dispatch_id 0
		.amdhsa_user_sgpr_flat_scratch_init 0
		.amdhsa_user_sgpr_private_segment_size 0
		.amdhsa_wavefront_size32 1
		.amdhsa_uses_dynamic_stack 0
		.amdhsa_system_sgpr_private_segment_wavefront_offset 0
		.amdhsa_system_sgpr_workgroup_id_x 1
		.amdhsa_system_sgpr_workgroup_id_y 1
		.amdhsa_system_sgpr_workgroup_id_z 1
		.amdhsa_system_sgpr_workgroup_info 0
		.amdhsa_system_vgpr_workitem_id 1
		.amdhsa_next_free_vgpr 30
		.amdhsa_next_free_sgpr 30
		.amdhsa_reserve_vcc 1
		.amdhsa_reserve_flat_scratch 0
		.amdhsa_float_round_mode_32 0
		.amdhsa_float_round_mode_16_64 0
		.amdhsa_float_denorm_mode_32 3
		.amdhsa_float_denorm_mode_16_64 3
		.amdhsa_dx10_clamp 1
		.amdhsa_ieee_mode 1
		.amdhsa_fp16_overflow 0
		.amdhsa_workgroup_processor_mode 1
		.amdhsa_memory_ordered 1
		.amdhsa_forward_progress 1
		.amdhsa_shared_vgpr_count 0
		.amdhsa_exception_fp_ieee_invalid_op 0
		.amdhsa_exception_fp_denorm_src 0
		.amdhsa_exception_fp_ieee_div_zero 0
		.amdhsa_exception_fp_ieee_overflow 0
		.amdhsa_exception_fp_ieee_underflow 0
		.amdhsa_exception_fp_ieee_inexact 0
		.amdhsa_exception_int_div_zero 0
	.end_amdhsa_kernel
	.section	.text._ZN12_GLOBAL__N_135rocblas_gemm_batched_general_kernelIDF16_Li16ELi16ELi32ELi32ELi8ELi32ELi8ELi8ELi32ELc78ELc78EKDF16_S1_DF16_EEvlllT_PT11_llS4_llS2_PT12_llPT13_lli,"axG",@progbits,_ZN12_GLOBAL__N_135rocblas_gemm_batched_general_kernelIDF16_Li16ELi16ELi32ELi32ELi8ELi32ELi8ELi8ELi32ELc78ELc78EKDF16_S1_DF16_EEvlllT_PT11_llS4_llS2_PT12_llPT13_lli,comdat
.Lfunc_end353:
	.size	_ZN12_GLOBAL__N_135rocblas_gemm_batched_general_kernelIDF16_Li16ELi16ELi32ELi32ELi8ELi32ELi8ELi8ELi32ELc78ELc78EKDF16_S1_DF16_EEvlllT_PT11_llS4_llS2_PT12_llPT13_lli, .Lfunc_end353-_ZN12_GLOBAL__N_135rocblas_gemm_batched_general_kernelIDF16_Li16ELi16ELi32ELi32ELi8ELi32ELi8ELi8ELi32ELc78ELc78EKDF16_S1_DF16_EEvlllT_PT11_llS4_llS2_PT12_llPT13_lli
                                        ; -- End function
	.set _ZN12_GLOBAL__N_135rocblas_gemm_batched_general_kernelIDF16_Li16ELi16ELi32ELi32ELi8ELi32ELi8ELi8ELi32ELc78ELc78EKDF16_S1_DF16_EEvlllT_PT11_llS4_llS2_PT12_llPT13_lli.num_vgpr, 30
	.set _ZN12_GLOBAL__N_135rocblas_gemm_batched_general_kernelIDF16_Li16ELi16ELi32ELi32ELi8ELi32ELi8ELi8ELi32ELc78ELc78EKDF16_S1_DF16_EEvlllT_PT11_llS4_llS2_PT12_llPT13_lli.num_agpr, 0
	.set _ZN12_GLOBAL__N_135rocblas_gemm_batched_general_kernelIDF16_Li16ELi16ELi32ELi32ELi8ELi32ELi8ELi8ELi32ELc78ELc78EKDF16_S1_DF16_EEvlllT_PT11_llS4_llS2_PT12_llPT13_lli.numbered_sgpr, 30
	.set _ZN12_GLOBAL__N_135rocblas_gemm_batched_general_kernelIDF16_Li16ELi16ELi32ELi32ELi8ELi32ELi8ELi8ELi32ELc78ELc78EKDF16_S1_DF16_EEvlllT_PT11_llS4_llS2_PT12_llPT13_lli.num_named_barrier, 0
	.set _ZN12_GLOBAL__N_135rocblas_gemm_batched_general_kernelIDF16_Li16ELi16ELi32ELi32ELi8ELi32ELi8ELi8ELi32ELc78ELc78EKDF16_S1_DF16_EEvlllT_PT11_llS4_llS2_PT12_llPT13_lli.private_seg_size, 0
	.set _ZN12_GLOBAL__N_135rocblas_gemm_batched_general_kernelIDF16_Li16ELi16ELi32ELi32ELi8ELi32ELi8ELi8ELi32ELc78ELc78EKDF16_S1_DF16_EEvlllT_PT11_llS4_llS2_PT12_llPT13_lli.uses_vcc, 1
	.set _ZN12_GLOBAL__N_135rocblas_gemm_batched_general_kernelIDF16_Li16ELi16ELi32ELi32ELi8ELi32ELi8ELi8ELi32ELc78ELc78EKDF16_S1_DF16_EEvlllT_PT11_llS4_llS2_PT12_llPT13_lli.uses_flat_scratch, 0
	.set _ZN12_GLOBAL__N_135rocblas_gemm_batched_general_kernelIDF16_Li16ELi16ELi32ELi32ELi8ELi32ELi8ELi8ELi32ELc78ELc78EKDF16_S1_DF16_EEvlllT_PT11_llS4_llS2_PT12_llPT13_lli.has_dyn_sized_stack, 0
	.set _ZN12_GLOBAL__N_135rocblas_gemm_batched_general_kernelIDF16_Li16ELi16ELi32ELi32ELi8ELi32ELi8ELi8ELi32ELc78ELc78EKDF16_S1_DF16_EEvlllT_PT11_llS4_llS2_PT12_llPT13_lli.has_recursion, 0
	.set _ZN12_GLOBAL__N_135rocblas_gemm_batched_general_kernelIDF16_Li16ELi16ELi32ELi32ELi8ELi32ELi8ELi8ELi32ELc78ELc78EKDF16_S1_DF16_EEvlllT_PT11_llS4_llS2_PT12_llPT13_lli.has_indirect_call, 0
	.section	.AMDGPU.csdata,"",@progbits
; Kernel info:
; codeLenInByte = 1920
; TotalNumSgprs: 32
; NumVgprs: 30
; ScratchSize: 0
; MemoryBound: 0
; FloatMode: 240
; IeeeMode: 1
; LDSByteSize: 1024 bytes/workgroup (compile time only)
; SGPRBlocks: 0
; VGPRBlocks: 3
; NumSGPRsForWavesPerEU: 32
; NumVGPRsForWavesPerEU: 30
; Occupancy: 16
; WaveLimiterHint : 0
; COMPUTE_PGM_RSRC2:SCRATCH_EN: 0
; COMPUTE_PGM_RSRC2:USER_SGPR: 6
; COMPUTE_PGM_RSRC2:TRAP_HANDLER: 0
; COMPUTE_PGM_RSRC2:TGID_X_EN: 1
; COMPUTE_PGM_RSRC2:TGID_Y_EN: 1
; COMPUTE_PGM_RSRC2:TGID_Z_EN: 1
; COMPUTE_PGM_RSRC2:TIDIG_COMP_CNT: 1
	.section	.text._ZN12_GLOBAL__N_135rocblas_gemm_batched_general_kernelIDF16_Li16ELi16ELi32ELi32ELi8ELi32ELi8ELi8ELi32ELc84ELc78EKDF16_S1_DF16_EEvlllT_PT11_llS4_llS2_PT12_llPT13_lli,"axG",@progbits,_ZN12_GLOBAL__N_135rocblas_gemm_batched_general_kernelIDF16_Li16ELi16ELi32ELi32ELi8ELi32ELi8ELi8ELi32ELc84ELc78EKDF16_S1_DF16_EEvlllT_PT11_llS4_llS2_PT12_llPT13_lli,comdat
	.globl	_ZN12_GLOBAL__N_135rocblas_gemm_batched_general_kernelIDF16_Li16ELi16ELi32ELi32ELi8ELi32ELi8ELi8ELi32ELc84ELc78EKDF16_S1_DF16_EEvlllT_PT11_llS4_llS2_PT12_llPT13_lli ; -- Begin function _ZN12_GLOBAL__N_135rocblas_gemm_batched_general_kernelIDF16_Li16ELi16ELi32ELi32ELi8ELi32ELi8ELi8ELi32ELc84ELc78EKDF16_S1_DF16_EEvlllT_PT11_llS4_llS2_PT12_llPT13_lli
	.p2align	8
	.type	_ZN12_GLOBAL__N_135rocblas_gemm_batched_general_kernelIDF16_Li16ELi16ELi32ELi32ELi8ELi32ELi8ELi8ELi32ELc84ELc78EKDF16_S1_DF16_EEvlllT_PT11_llS4_llS2_PT12_llPT13_lli,@function
_ZN12_GLOBAL__N_135rocblas_gemm_batched_general_kernelIDF16_Li16ELi16ELi32ELi32ELi8ELi32ELi8ELi8ELi32ELc84ELc78EKDF16_S1_DF16_EEvlllT_PT11_llS4_llS2_PT12_llPT13_lli: ; @_ZN12_GLOBAL__N_135rocblas_gemm_batched_general_kernelIDF16_Li16ELi16ELi32ELi32ELi8ELi32ELi8ELi8ELi32ELc84ELc78EKDF16_S1_DF16_EEvlllT_PT11_llS4_llS2_PT12_llPT13_lli
; %bb.0:
	s_clause 0x1
	s_load_dwordx2 s[10:11], s[4:5], 0x10
	s_load_dwordx4 s[20:23], s[4:5], 0x0
	s_mov_b32 s0, s7
	v_mov_b32_e32 v7, 0
	s_ashr_i32 s7, s6, 31
	s_ashr_i32 s1, s0, 31
	s_lshl_b64 s[6:7], s[6:7], 5
	s_waitcnt lgkmcnt(0)
	v_cmp_lt_i64_e64 s2, s[10:11], 1
	s_and_b32 vcc_lo, exec_lo, s2
	s_lshl_b64 s[2:3], s[0:1], 5
	s_cbranch_vccnz .LBB354_7
; %bb.1:
	v_lshlrev_b32_e32 v8, 4, v1
	s_clause 0x1
	s_load_dwordx4 s[24:27], s[4:5], 0x40
	s_load_dwordx8 s[12:19], s[4:5], 0x20
	v_and_b32_e32 v6, 7, v0
	v_mov_b32_e32 v3, s7
	v_add_nc_u32_e32 v2, v8, v0
	v_lshlrev_b32_e32 v14, 1, v6
	v_and_b32_e32 v11, 31, v2
	v_lshrrev_b32_e32 v10, 3, v2
	v_lshrrev_b32_e32 v9, 5, v2
	v_lshlrev_b32_e32 v12, 1, v11
	v_add_co_u32 v4, s0, v10, s2
	v_or_b32_e32 v2, s6, v11
	v_add_co_ci_u32_e64 v5, null, 0, s3, s0
	v_lshl_or_b32 v13, v10, 4, v14
	v_lshl_or_b32 v10, v9, 6, v12
	v_add_co_u32 v12, s1, s6, v11
	v_add_co_ci_u32_e64 v17, null, s7, 0, s1
	v_cmp_gt_i64_e64 s0, s[20:21], v[2:3]
	s_waitcnt lgkmcnt(0)
	v_mul_lo_u32 v15, s25, v4
	v_mul_lo_u32 v16, s24, v5
	v_mad_u64_u32 v[2:3], null, s24, v4, 0
	v_cmp_gt_i64_e64 s1, s[22:23], v[4:5]
	v_mul_lo_u32 v18, s15, v12
	v_mul_lo_u32 v17, s14, v17
	v_mad_u64_u32 v[4:5], null, s14, v12, 0
	s_mul_i32 s9, s27, s8
	v_add3_u32 v3, v3, v16, v15
	s_mul_hi_u32 s14, s26, s8
	v_add_nc_u32_e32 v11, 0x200, v13
	s_add_i32 s15, s14, s9
	s_mul_i32 s14, s26, s8
	v_add3_u32 v5, v5, v17, v18
	v_lshlrev_b64 v[2:3], 1, v[2:3]
	s_lshl_b64 s[14:15], s[14:15], 1
	s_mul_i32 s9, s17, s8
	s_mul_hi_u32 s17, s16, s8
	v_lshlrev_b64 v[4:5], 1, v[4:5]
	s_add_i32 s17, s17, s9
	s_mul_i32 s16, s16, s8
	v_add_co_u32 v2, vcc_lo, v2, s14
	v_add_co_ci_u32_e64 v3, null, s15, v3, vcc_lo
	s_lshl_b64 s[14:15], s[16:17], 1
	v_add_nc_u32_e32 v13, 0x200, v8
	v_add_co_u32 v4, vcc_lo, v4, s14
	v_lshlrev_b32_e32 v8, 1, v9
	v_add_co_ci_u32_e64 v5, null, s15, v5, vcc_lo
	v_add_co_u32 v2, vcc_lo, v2, v14
	v_add_co_ci_u32_e64 v3, null, 0, v3, vcc_lo
	v_add_co_u32 v4, vcc_lo, v4, v8
	;; [unrolled: 2-line block ×4, first 2 shown]
	v_lshlrev_b32_e32 v12, 1, v0
	v_add_co_ci_u32_e64 v5, null, s13, v5, vcc_lo
	v_mov_b32_e32 v8, 0
	s_mov_b64 s[12:13], 0
	s_branch .LBB354_3
.LBB354_2:                              ;   in Loop: Header=BB354_3 Depth=1
	s_or_b32 exec_lo, exec_lo, s9
	s_waitcnt vmcnt(0)
	ds_write_b16 v11, v14
	s_waitcnt lgkmcnt(0)
	s_barrier
	buffer_gl0_inv
	ds_read_u16 v22, v12
	ds_read_u16 v23, v12 offset:64
	ds_read_u16 v24, v12 offset:128
	;; [unrolled: 1-line block ×7, first 2 shown]
	s_add_u32 s12, s12, 8
	s_addc_u32 s13, s13, 0
	v_add_co_u32 v2, vcc_lo, v2, 16
	v_cmp_lt_i64_e64 s9, s[12:13], s[10:11]
	v_add_co_ci_u32_e64 v3, null, 0, v3, vcc_lo
	v_add_co_u32 v4, vcc_lo, v4, 16
	v_add_co_ci_u32_e64 v5, null, 0, v5, vcc_lo
	s_and_b32 vcc_lo, exec_lo, s9
	s_waitcnt lgkmcnt(7)
	ds_read_u16_d16_hi v22, v12 offset:32
	ds_read_b128 v[14:17], v13
	ds_read_b128 v[18:21], v13 offset:256
	s_waitcnt lgkmcnt(9)
	ds_read_u16_d16_hi v23, v12 offset:96
	s_waitcnt lgkmcnt(9)
	ds_read_u16_d16_hi v24, v12 offset:160
	;; [unrolled: 2-line block ×7, first 2 shown]
	s_waitcnt lgkmcnt(0)
	s_barrier
	buffer_gl0_inv
	v_pk_fma_f16 v7, v22, v14, v7 op_sel_hi:[1,0,1]
	v_pk_fma_f16 v8, v22, v18, v8 op_sel_hi:[1,0,1]
	v_pk_fma_f16 v7, v23, v14, v7 op_sel:[0,1,0]
	v_pk_fma_f16 v8, v23, v18, v8 op_sel:[0,1,0]
	v_pk_fma_f16 v7, v24, v15, v7 op_sel_hi:[1,0,1]
	v_pk_fma_f16 v8, v24, v19, v8 op_sel_hi:[1,0,1]
	v_pk_fma_f16 v7, v25, v15, v7 op_sel:[0,1,0]
	v_pk_fma_f16 v8, v25, v19, v8 op_sel:[0,1,0]
	;; [unrolled: 4-line block ×4, first 2 shown]
	s_cbranch_vccz .LBB354_8
.LBB354_3:                              ; =>This Inner Loop Header: Depth=1
	v_add_co_u32 v14, s9, v9, s12
	v_add_co_ci_u32_e64 v15, null, 0, s13, s9
	v_cmp_gt_i64_e32 vcc_lo, s[10:11], v[14:15]
	v_mov_b32_e32 v14, 0
	v_mov_b32_e32 v15, 0
	s_and_b32 s14, s0, vcc_lo
	s_and_saveexec_b32 s9, s14
	s_cbranch_execz .LBB354_5
; %bb.4:                                ;   in Loop: Header=BB354_3 Depth=1
	global_load_ushort v15, v[4:5], off
.LBB354_5:                              ;   in Loop: Header=BB354_3 Depth=1
	s_or_b32 exec_lo, exec_lo, s9
	v_add_co_u32 v16, s9, v6, s12
	v_add_co_ci_u32_e64 v17, null, 0, s13, s9
	s_waitcnt vmcnt(0)
	ds_write_b16 v10, v15
	v_cmp_gt_i64_e32 vcc_lo, s[10:11], v[16:17]
	s_and_b32 s14, vcc_lo, s1
	s_and_saveexec_b32 s9, s14
	s_cbranch_execz .LBB354_2
; %bb.6:                                ;   in Loop: Header=BB354_3 Depth=1
	global_load_ushort v14, v[2:3], off
	s_branch .LBB354_2
.LBB354_7:
	v_mov_b32_e32 v8, 0
.LBB354_8:
	s_clause 0x3
	s_load_dwordx4 s[24:27], s[4:5], 0x78
	s_load_dword s9, s[4:5], 0x50
	s_load_dwordx8 s[12:19], s[4:5], 0x58
	s_load_dword s4, s[4:5], 0x18
	v_add_co_u32 v1, s0, s2, v1
	v_add_co_ci_u32_e64 v2, null, s3, 0, s0
	s_waitcnt lgkmcnt(0)
	s_mul_i32 s1, s27, s8
	s_mul_hi_u32 s2, s26, s8
	s_mul_i32 s0, s26, s8
	s_add_i32 s1, s2, s1
	v_cmp_neq_f16_e64 s2, s9, 0
	s_lshl_b64 s[10:11], s[0:1], 1
	v_cmp_gt_i64_e64 s0, s[22:23], v[1:2]
	s_add_u32 s3, s18, s10
	s_addc_u32 s5, s19, s11
	s_and_b32 vcc_lo, exec_lo, s2
	s_cbranch_vccnz .LBB354_21
; %bb.9:
	s_and_saveexec_b32 s10, s0
	s_cbranch_execz .LBB354_19
; %bb.10:
	v_mul_lo_u32 v5, v2, s24
	v_mul_lo_u32 v6, v1, s25
	v_mad_u64_u32 v[3:4], null, v1, s24, 0
	v_add3_u32 v4, v4, v6, v5
	v_add_co_u32 v5, s1, s6, v0
	v_add_co_ci_u32_e64 v6, null, s7, 0, s1
	v_lshlrev_b64 v[9:10], 1, v[3:4]
	v_cmp_gt_i64_e32 vcc_lo, s[20:21], v[5:6]
	v_lshlrev_b64 v[3:4], 1, v[5:6]
	v_add_co_u32 v9, s1, s3, v9
	v_add_co_ci_u32_e64 v10, null, s5, v10, s1
	s_and_saveexec_b32 s2, vcc_lo
	s_cbranch_execz .LBB354_12
; %bb.11:
	v_add_co_u32 v11, s1, v9, v3
	v_add_co_ci_u32_e64 v12, null, v10, v4, s1
	v_mul_f16_e32 v13, s4, v7
	global_store_short v[11:12], v13, off
.LBB354_12:
	s_or_b32 exec_lo, exec_lo, s2
	v_add_co_u32 v5, s1, v5, 16
	v_add_co_ci_u32_e64 v6, null, 0, v6, s1
	v_cmp_gt_i64_e64 s1, s[20:21], v[5:6]
	s_and_saveexec_b32 s11, s1
	s_cbranch_execz .LBB354_14
; %bb.13:
	v_add_co_u32 v5, s2, v9, v3
	v_add_co_ci_u32_e64 v6, null, v10, v4, s2
	v_mul_f16_sdwa v11, s4, v7 dst_sel:DWORD dst_unused:UNUSED_PAD src0_sel:DWORD src1_sel:WORD_1
	global_store_short v[5:6], v11, off offset:32
.LBB354_14:
	s_or_b32 exec_lo, exec_lo, s11
	v_add_co_u32 v5, s2, v1, 16
	v_add_co_ci_u32_e64 v6, null, 0, v2, s2
	v_cmp_gt_i64_e64 s2, s[22:23], v[5:6]
	s_and_b32 exec_lo, exec_lo, s2
	s_cbranch_execz .LBB354_19
; %bb.15:
	s_lshl_b64 s[18:19], s[24:25], 5
	v_add_co_u32 v5, s2, v9, s18
	v_add_co_ci_u32_e64 v6, null, s19, v10, s2
	v_add_co_u32 v3, s2, v5, v3
	v_add_co_ci_u32_e64 v4, null, v6, v4, s2
	s_and_saveexec_b32 s2, vcc_lo
	s_cbranch_execz .LBB354_17
; %bb.16:
	v_mul_f16_e32 v5, s4, v8
	global_store_short v[3:4], v5, off
.LBB354_17:
	s_or_b32 exec_lo, exec_lo, s2
	s_and_b32 exec_lo, exec_lo, s1
	s_cbranch_execz .LBB354_19
; %bb.18:
	v_mul_f16_sdwa v5, s4, v8 dst_sel:DWORD dst_unused:UNUSED_PAD src0_sel:DWORD src1_sel:WORD_1
	global_store_short v[3:4], v5, off offset:32
.LBB354_19:
	s_or_b32 exec_lo, exec_lo, s10
	s_cbranch_execz .LBB354_22
.LBB354_20:
	s_endpgm
.LBB354_21:
.LBB354_22:
	s_and_saveexec_b32 s1, s0
	s_cbranch_execz .LBB354_20
; %bb.23:
	v_mul_lo_u32 v5, v2, s14
	v_mul_lo_u32 v6, v1, s15
	v_mad_u64_u32 v[3:4], null, v1, s14, 0
	v_mul_lo_u32 v11, v2, s24
	v_mul_lo_u32 v12, v1, s25
	v_mad_u64_u32 v[9:10], null, v1, s24, 0
	s_mul_i32 s0, s17, s8
	s_mul_hi_u32 s1, s16, s8
	v_add3_u32 v4, v4, v6, v5
	s_add_i32 s1, s1, s0
	s_mul_i32 s0, s16, s8
	v_add_co_u32 v5, s2, s6, v0
	v_add3_u32 v10, v10, v12, v11
	v_lshlrev_b64 v[3:4], 1, v[3:4]
	s_lshl_b64 s[0:1], s[0:1], 1
	v_add_co_ci_u32_e64 v6, null, s7, 0, s2
	v_lshlrev_b64 v[10:11], 1, v[9:10]
	s_add_u32 s0, s12, s0
	s_addc_u32 s1, s13, s1
	v_add_co_u32 v0, s0, s0, v3
	v_add_co_ci_u32_e64 v9, null, s1, v4, s0
	v_add_co_u32 v10, s0, s3, v10
	v_cmp_gt_i64_e32 vcc_lo, s[20:21], v[5:6]
	v_lshlrev_b64 v[3:4], 1, v[5:6]
	v_add_co_ci_u32_e64 v11, null, s5, v11, s0
	s_and_saveexec_b32 s1, vcc_lo
	s_cbranch_execz .LBB354_25
; %bb.24:
	v_add_co_u32 v12, s0, v0, v3
	v_add_co_ci_u32_e64 v13, null, v9, v4, s0
	global_load_ushort v12, v[12:13], off
	s_waitcnt vmcnt(0)
	v_mul_f16_e32 v14, s9, v12
	v_add_co_u32 v12, s0, v10, v3
	v_add_co_ci_u32_e64 v13, null, v11, v4, s0
	v_fmac_f16_e32 v14, s4, v7
	global_store_short v[12:13], v14, off
.LBB354_25:
	s_or_b32 exec_lo, exec_lo, s1
	v_add_co_u32 v5, s0, v5, 16
	v_add_co_ci_u32_e64 v6, null, 0, v6, s0
	v_cmp_gt_i64_e64 s0, s[20:21], v[5:6]
	s_and_saveexec_b32 s2, s0
	s_cbranch_execz .LBB354_27
; %bb.26:
	v_add_co_u32 v5, s1, v0, v3
	v_add_co_ci_u32_e64 v6, null, v9, v4, s1
	global_load_ushort v5, v[5:6], off offset:32
	v_lshrrev_b32_e32 v6, 16, v7
	s_waitcnt vmcnt(0)
	v_mul_f16_e32 v7, s9, v5
	v_add_co_u32 v5, s1, v10, v3
	v_fmac_f16_e32 v7, s4, v6
	v_add_co_ci_u32_e64 v6, null, v11, v4, s1
	global_store_short v[5:6], v7, off offset:32
.LBB354_27:
	s_or_b32 exec_lo, exec_lo, s2
	v_add_co_u32 v1, s1, v1, 16
	v_add_co_ci_u32_e64 v2, null, 0, v2, s1
	v_cmp_gt_i64_e64 s1, s[22:23], v[1:2]
	s_and_b32 exec_lo, exec_lo, s1
	s_cbranch_execz .LBB354_20
; %bb.28:
	s_lshl_b64 s[2:3], s[14:15], 5
	v_add_co_u32 v0, s1, v0, s2
	v_add_co_ci_u32_e64 v1, null, s3, v9, s1
	s_lshl_b64 s[2:3], s[24:25], 5
	v_add_co_u32 v2, s1, v10, s2
	v_add_co_ci_u32_e64 v7, null, s3, v11, s1
	v_add_co_u32 v5, s1, v0, v3
	v_add_co_ci_u32_e64 v6, null, v1, v4, s1
	;; [unrolled: 2-line block ×3, first 2 shown]
	s_and_saveexec_b32 s1, vcc_lo
	s_cbranch_execz .LBB354_30
; %bb.29:
	global_load_ushort v2, v[5:6], off
	s_waitcnt vmcnt(0)
	v_mul_f16_e32 v2, s9, v2
	v_fmac_f16_e32 v2, s4, v8
	global_store_short v[0:1], v2, off
.LBB354_30:
	s_or_b32 exec_lo, exec_lo, s1
	s_and_b32 exec_lo, exec_lo, s0
	s_cbranch_execz .LBB354_20
; %bb.31:
	global_load_ushort v2, v[5:6], off offset:32
	v_lshrrev_b32_e32 v3, 16, v8
	s_waitcnt vmcnt(0)
	v_mul_f16_e32 v2, s9, v2
	v_fmac_f16_e32 v2, s4, v3
	global_store_short v[0:1], v2, off offset:32
	s_endpgm
	.section	.rodata,"a",@progbits
	.p2align	6, 0x0
	.amdhsa_kernel _ZN12_GLOBAL__N_135rocblas_gemm_batched_general_kernelIDF16_Li16ELi16ELi32ELi32ELi8ELi32ELi8ELi8ELi32ELc84ELc78EKDF16_S1_DF16_EEvlllT_PT11_llS4_llS2_PT12_llPT13_lli
		.amdhsa_group_segment_fixed_size 1024
		.amdhsa_private_segment_fixed_size 0
		.amdhsa_kernarg_size 140
		.amdhsa_user_sgpr_count 6
		.amdhsa_user_sgpr_private_segment_buffer 1
		.amdhsa_user_sgpr_dispatch_ptr 0
		.amdhsa_user_sgpr_queue_ptr 0
		.amdhsa_user_sgpr_kernarg_segment_ptr 1
		.amdhsa_user_sgpr_dispatch_id 0
		.amdhsa_user_sgpr_flat_scratch_init 0
		.amdhsa_user_sgpr_private_segment_size 0
		.amdhsa_wavefront_size32 1
		.amdhsa_uses_dynamic_stack 0
		.amdhsa_system_sgpr_private_segment_wavefront_offset 0
		.amdhsa_system_sgpr_workgroup_id_x 1
		.amdhsa_system_sgpr_workgroup_id_y 1
		.amdhsa_system_sgpr_workgroup_id_z 1
		.amdhsa_system_sgpr_workgroup_info 0
		.amdhsa_system_vgpr_workitem_id 1
		.amdhsa_next_free_vgpr 30
		.amdhsa_next_free_sgpr 28
		.amdhsa_reserve_vcc 1
		.amdhsa_reserve_flat_scratch 0
		.amdhsa_float_round_mode_32 0
		.amdhsa_float_round_mode_16_64 0
		.amdhsa_float_denorm_mode_32 3
		.amdhsa_float_denorm_mode_16_64 3
		.amdhsa_dx10_clamp 1
		.amdhsa_ieee_mode 1
		.amdhsa_fp16_overflow 0
		.amdhsa_workgroup_processor_mode 1
		.amdhsa_memory_ordered 1
		.amdhsa_forward_progress 1
		.amdhsa_shared_vgpr_count 0
		.amdhsa_exception_fp_ieee_invalid_op 0
		.amdhsa_exception_fp_denorm_src 0
		.amdhsa_exception_fp_ieee_div_zero 0
		.amdhsa_exception_fp_ieee_overflow 0
		.amdhsa_exception_fp_ieee_underflow 0
		.amdhsa_exception_fp_ieee_inexact 0
		.amdhsa_exception_int_div_zero 0
	.end_amdhsa_kernel
	.section	.text._ZN12_GLOBAL__N_135rocblas_gemm_batched_general_kernelIDF16_Li16ELi16ELi32ELi32ELi8ELi32ELi8ELi8ELi32ELc84ELc78EKDF16_S1_DF16_EEvlllT_PT11_llS4_llS2_PT12_llPT13_lli,"axG",@progbits,_ZN12_GLOBAL__N_135rocblas_gemm_batched_general_kernelIDF16_Li16ELi16ELi32ELi32ELi8ELi32ELi8ELi8ELi32ELc84ELc78EKDF16_S1_DF16_EEvlllT_PT11_llS4_llS2_PT12_llPT13_lli,comdat
.Lfunc_end354:
	.size	_ZN12_GLOBAL__N_135rocblas_gemm_batched_general_kernelIDF16_Li16ELi16ELi32ELi32ELi8ELi32ELi8ELi8ELi32ELc84ELc78EKDF16_S1_DF16_EEvlllT_PT11_llS4_llS2_PT12_llPT13_lli, .Lfunc_end354-_ZN12_GLOBAL__N_135rocblas_gemm_batched_general_kernelIDF16_Li16ELi16ELi32ELi32ELi8ELi32ELi8ELi8ELi32ELc84ELc78EKDF16_S1_DF16_EEvlllT_PT11_llS4_llS2_PT12_llPT13_lli
                                        ; -- End function
	.set _ZN12_GLOBAL__N_135rocblas_gemm_batched_general_kernelIDF16_Li16ELi16ELi32ELi32ELi8ELi32ELi8ELi8ELi32ELc84ELc78EKDF16_S1_DF16_EEvlllT_PT11_llS4_llS2_PT12_llPT13_lli.num_vgpr, 30
	.set _ZN12_GLOBAL__N_135rocblas_gemm_batched_general_kernelIDF16_Li16ELi16ELi32ELi32ELi8ELi32ELi8ELi8ELi32ELc84ELc78EKDF16_S1_DF16_EEvlllT_PT11_llS4_llS2_PT12_llPT13_lli.num_agpr, 0
	.set _ZN12_GLOBAL__N_135rocblas_gemm_batched_general_kernelIDF16_Li16ELi16ELi32ELi32ELi8ELi32ELi8ELi8ELi32ELc84ELc78EKDF16_S1_DF16_EEvlllT_PT11_llS4_llS2_PT12_llPT13_lli.numbered_sgpr, 28
	.set _ZN12_GLOBAL__N_135rocblas_gemm_batched_general_kernelIDF16_Li16ELi16ELi32ELi32ELi8ELi32ELi8ELi8ELi32ELc84ELc78EKDF16_S1_DF16_EEvlllT_PT11_llS4_llS2_PT12_llPT13_lli.num_named_barrier, 0
	.set _ZN12_GLOBAL__N_135rocblas_gemm_batched_general_kernelIDF16_Li16ELi16ELi32ELi32ELi8ELi32ELi8ELi8ELi32ELc84ELc78EKDF16_S1_DF16_EEvlllT_PT11_llS4_llS2_PT12_llPT13_lli.private_seg_size, 0
	.set _ZN12_GLOBAL__N_135rocblas_gemm_batched_general_kernelIDF16_Li16ELi16ELi32ELi32ELi8ELi32ELi8ELi8ELi32ELc84ELc78EKDF16_S1_DF16_EEvlllT_PT11_llS4_llS2_PT12_llPT13_lli.uses_vcc, 1
	.set _ZN12_GLOBAL__N_135rocblas_gemm_batched_general_kernelIDF16_Li16ELi16ELi32ELi32ELi8ELi32ELi8ELi8ELi32ELc84ELc78EKDF16_S1_DF16_EEvlllT_PT11_llS4_llS2_PT12_llPT13_lli.uses_flat_scratch, 0
	.set _ZN12_GLOBAL__N_135rocblas_gemm_batched_general_kernelIDF16_Li16ELi16ELi32ELi32ELi8ELi32ELi8ELi8ELi32ELc84ELc78EKDF16_S1_DF16_EEvlllT_PT11_llS4_llS2_PT12_llPT13_lli.has_dyn_sized_stack, 0
	.set _ZN12_GLOBAL__N_135rocblas_gemm_batched_general_kernelIDF16_Li16ELi16ELi32ELi32ELi8ELi32ELi8ELi8ELi32ELc84ELc78EKDF16_S1_DF16_EEvlllT_PT11_llS4_llS2_PT12_llPT13_lli.has_recursion, 0
	.set _ZN12_GLOBAL__N_135rocblas_gemm_batched_general_kernelIDF16_Li16ELi16ELi32ELi32ELi8ELi32ELi8ELi8ELi32ELc84ELc78EKDF16_S1_DF16_EEvlllT_PT11_llS4_llS2_PT12_llPT13_lli.has_indirect_call, 0
	.section	.AMDGPU.csdata,"",@progbits
; Kernel info:
; codeLenInByte = 1936
; TotalNumSgprs: 30
; NumVgprs: 30
; ScratchSize: 0
; MemoryBound: 0
; FloatMode: 240
; IeeeMode: 1
; LDSByteSize: 1024 bytes/workgroup (compile time only)
; SGPRBlocks: 0
; VGPRBlocks: 3
; NumSGPRsForWavesPerEU: 30
; NumVGPRsForWavesPerEU: 30
; Occupancy: 16
; WaveLimiterHint : 0
; COMPUTE_PGM_RSRC2:SCRATCH_EN: 0
; COMPUTE_PGM_RSRC2:USER_SGPR: 6
; COMPUTE_PGM_RSRC2:TRAP_HANDLER: 0
; COMPUTE_PGM_RSRC2:TGID_X_EN: 1
; COMPUTE_PGM_RSRC2:TGID_Y_EN: 1
; COMPUTE_PGM_RSRC2:TGID_Z_EN: 1
; COMPUTE_PGM_RSRC2:TIDIG_COMP_CNT: 1
	.section	.text._ZN12_GLOBAL__N_135rocblas_gemm_batched_general_kernelIDF16_Li16ELi16ELi32ELi32ELi8ELi32ELi8ELi8ELi32ELc78ELc84EKDF16_S1_DF16_EEvlllT_PT11_llS4_llS2_PT12_llPT13_lli,"axG",@progbits,_ZN12_GLOBAL__N_135rocblas_gemm_batched_general_kernelIDF16_Li16ELi16ELi32ELi32ELi8ELi32ELi8ELi8ELi32ELc78ELc84EKDF16_S1_DF16_EEvlllT_PT11_llS4_llS2_PT12_llPT13_lli,comdat
	.globl	_ZN12_GLOBAL__N_135rocblas_gemm_batched_general_kernelIDF16_Li16ELi16ELi32ELi32ELi8ELi32ELi8ELi8ELi32ELc78ELc84EKDF16_S1_DF16_EEvlllT_PT11_llS4_llS2_PT12_llPT13_lli ; -- Begin function _ZN12_GLOBAL__N_135rocblas_gemm_batched_general_kernelIDF16_Li16ELi16ELi32ELi32ELi8ELi32ELi8ELi8ELi32ELc78ELc84EKDF16_S1_DF16_EEvlllT_PT11_llS4_llS2_PT12_llPT13_lli
	.p2align	8
	.type	_ZN12_GLOBAL__N_135rocblas_gemm_batched_general_kernelIDF16_Li16ELi16ELi32ELi32ELi8ELi32ELi8ELi8ELi32ELc78ELc84EKDF16_S1_DF16_EEvlllT_PT11_llS4_llS2_PT12_llPT13_lli,@function
_ZN12_GLOBAL__N_135rocblas_gemm_batched_general_kernelIDF16_Li16ELi16ELi32ELi32ELi8ELi32ELi8ELi8ELi32ELc78ELc84EKDF16_S1_DF16_EEvlllT_PT11_llS4_llS2_PT12_llPT13_lli: ; @_ZN12_GLOBAL__N_135rocblas_gemm_batched_general_kernelIDF16_Li16ELi16ELi32ELi32ELi8ELi32ELi8ELi8ELi32ELc78ELc84EKDF16_S1_DF16_EEvlllT_PT11_llS4_llS2_PT12_llPT13_lli
; %bb.0:
	s_clause 0x1
	s_load_dwordx2 s[28:29], s[4:5], 0x10
	s_load_dwordx4 s[20:23], s[4:5], 0x0
	s_mov_b32 s0, s7
	v_mov_b32_e32 v7, 0
	s_ashr_i32 s7, s6, 31
	s_ashr_i32 s1, s0, 31
	s_lshl_b64 s[10:11], s[6:7], 5
	s_waitcnt lgkmcnt(0)
	v_cmp_lt_i64_e64 s2, s[28:29], 1
	s_and_b32 vcc_lo, exec_lo, s2
	s_lshl_b64 s[2:3], s[0:1], 5
	s_cbranch_vccnz .LBB355_7
; %bb.1:
	s_load_dwordx4 s[24:27], s[4:5], 0x40
	v_lshlrev_b32_e32 v2, 4, v1
	s_load_dwordx8 s[12:19], s[4:5], 0x20
	v_and_b32_e32 v6, 7, v0
	v_mov_b32_e32 v3, s11
	s_lshl_b64 s[30:31], s[0:1], 6
	v_add_nc_u32_e32 v4, v2, v0
	v_add_nc_u32_e32 v10, 0x200, v2
	v_lshlrev_b32_e32 v8, 1, v6
	v_lshlrev_b32_e32 v9, 1, v0
	v_and_b32_e32 v5, 31, v4
	v_lshrrev_b32_e32 v11, 5, v4
	v_lshrrev_b32_e32 v12, 3, v4
	v_or_b32_e32 v2, s10, v5
	v_lshlrev_b32_e32 v17, 1, v5
	v_add_co_u32 v13, s0, v12, s2
	s_waitcnt lgkmcnt(0)
	v_mad_u64_u32 v[4:5], null, s24, v6, 0
	v_add_co_ci_u32_e64 v14, null, 0, s3, s0
	v_cmp_gt_i64_e64 s0, s[20:21], v[2:3]
	v_mad_u64_u32 v[15:16], null, s14, v11, 0
	s_mul_i32 s9, s27, s8
	v_mov_b32_e32 v2, v5
	s_mul_hi_u32 s27, s26, s8
	s_mul_i32 s26, s26, s8
	s_add_i32 s27, s27, s9
	s_mul_i32 s17, s17, s8
	v_mad_u64_u32 v[2:3], null, s25, v6, v[2:3]
	v_mov_b32_e32 v3, v16
	s_lshl_b64 s[26:27], s[26:27], 1
	s_mul_hi_u32 s33, s16, s8
	s_add_u32 s9, s30, s26
	s_mul_i32 s16, s16, s8
	s_addc_u32 s26, s31, s27
	v_mov_b32_e32 v5, v2
	v_mad_u64_u32 v[2:3], null, s15, v11, v[3:4]
	s_add_i32 s17, s33, s17
	v_lshlrev_b32_e32 v18, 1, v12
	v_lshlrev_b64 v[3:4], 1, v[4:5]
	s_lshl_b64 s[16:17], s[16:17], 1
	v_lshl_or_b32 v8, v12, 4, v8
	v_cmp_gt_i64_e64 s1, s[22:23], v[13:14]
	v_mov_b32_e32 v16, v2
	v_lshl_or_b32 v12, v11, 6, v17
	v_add_co_u32 v5, vcc_lo, s9, v3
	v_add_co_ci_u32_e64 v4, null, s26, v4, vcc_lo
	v_lshlrev_b64 v[2:3], 1, v[15:16]
	s_lshl_b64 s[26:27], s[6:7], 6
	s_lshl_b64 s[6:7], s[24:25], 4
	s_add_u32 s9, s26, s16
	s_addc_u32 s16, s27, s17
	v_add_nc_u32_e32 v13, 0x200, v8
	v_add_co_u32 v2, vcc_lo, s9, v2
	v_add_co_ci_u32_e64 v3, null, s16, v3, vcc_lo
	v_add_co_u32 v5, vcc_lo, v5, v18
	v_add_co_ci_u32_e64 v4, null, 0, v4, vcc_lo
	;; [unrolled: 2-line block ×5, first 2 shown]
	v_mov_b32_e32 v8, 0
	s_lshl_b64 s[12:13], s[14:15], 4
	s_mov_b64 s[14:15], 0
	s_branch .LBB355_3
.LBB355_2:                              ;   in Loop: Header=BB355_3 Depth=1
	s_or_b32 exec_lo, exec_lo, s9
	s_waitcnt vmcnt(0)
	ds_write_b16 v13, v14
	s_waitcnt lgkmcnt(0)
	s_barrier
	buffer_gl0_inv
	ds_read_u16 v22, v9
	ds_read_u16 v23, v9 offset:64
	ds_read_u16 v24, v9 offset:128
	;; [unrolled: 1-line block ×7, first 2 shown]
	s_add_u32 s14, s14, 8
	s_addc_u32 s15, s15, 0
	v_add_co_u32 v2, vcc_lo, v2, s6
	v_cmp_lt_i64_e64 s9, s[14:15], s[28:29]
	v_add_co_ci_u32_e64 v3, null, s7, v3, vcc_lo
	v_add_co_u32 v4, vcc_lo, v4, s12
	v_add_co_ci_u32_e64 v5, null, s13, v5, vcc_lo
	s_and_b32 vcc_lo, exec_lo, s9
	s_waitcnt lgkmcnt(7)
	ds_read_u16_d16_hi v22, v9 offset:32
	ds_read_b128 v[14:17], v10
	ds_read_b128 v[18:21], v10 offset:256
	s_waitcnt lgkmcnt(9)
	ds_read_u16_d16_hi v23, v9 offset:96
	s_waitcnt lgkmcnt(9)
	ds_read_u16_d16_hi v24, v9 offset:160
	s_waitcnt lgkmcnt(9)
	ds_read_u16_d16_hi v25, v9 offset:224
	s_waitcnt lgkmcnt(9)
	ds_read_u16_d16_hi v26, v9 offset:288
	s_waitcnt lgkmcnt(9)
	ds_read_u16_d16_hi v27, v9 offset:352
	s_waitcnt lgkmcnt(9)
	ds_read_u16_d16_hi v28, v9 offset:416
	s_waitcnt lgkmcnt(9)
	ds_read_u16_d16_hi v29, v9 offset:480
	s_waitcnt lgkmcnt(0)
	s_barrier
	buffer_gl0_inv
	v_pk_fma_f16 v7, v22, v14, v7 op_sel_hi:[1,0,1]
	v_pk_fma_f16 v8, v22, v18, v8 op_sel_hi:[1,0,1]
	v_pk_fma_f16 v7, v23, v14, v7 op_sel:[0,1,0]
	v_pk_fma_f16 v8, v23, v18, v8 op_sel:[0,1,0]
	v_pk_fma_f16 v7, v24, v15, v7 op_sel_hi:[1,0,1]
	v_pk_fma_f16 v8, v24, v19, v8 op_sel_hi:[1,0,1]
	v_pk_fma_f16 v7, v25, v15, v7 op_sel:[0,1,0]
	v_pk_fma_f16 v8, v25, v19, v8 op_sel:[0,1,0]
	;; [unrolled: 4-line block ×4, first 2 shown]
	s_cbranch_vccz .LBB355_8
.LBB355_3:                              ; =>This Inner Loop Header: Depth=1
	v_add_co_u32 v14, s9, v11, s14
	v_add_co_ci_u32_e64 v15, null, 0, s15, s9
	v_cmp_gt_i64_e32 vcc_lo, s[28:29], v[14:15]
	v_mov_b32_e32 v14, 0
	v_mov_b32_e32 v15, 0
	s_and_b32 s16, s0, vcc_lo
	s_and_saveexec_b32 s9, s16
	s_cbranch_execz .LBB355_5
; %bb.4:                                ;   in Loop: Header=BB355_3 Depth=1
	global_load_ushort v15, v[4:5], off
.LBB355_5:                              ;   in Loop: Header=BB355_3 Depth=1
	s_or_b32 exec_lo, exec_lo, s9
	v_add_co_u32 v16, s9, v6, s14
	v_add_co_ci_u32_e64 v17, null, 0, s15, s9
	s_waitcnt vmcnt(0)
	ds_write_b16 v12, v15
	v_cmp_gt_i64_e32 vcc_lo, s[28:29], v[16:17]
	s_and_b32 s16, vcc_lo, s1
	s_and_saveexec_b32 s9, s16
	s_cbranch_execz .LBB355_2
; %bb.6:                                ;   in Loop: Header=BB355_3 Depth=1
	global_load_ushort v14, v[2:3], off
	s_branch .LBB355_2
.LBB355_7:
	v_mov_b32_e32 v8, 0
.LBB355_8:
	s_clause 0x3
	s_load_dwordx4 s[24:27], s[4:5], 0x78
	s_load_dword s6, s[4:5], 0x50
	s_load_dwordx8 s[12:19], s[4:5], 0x58
	s_load_dword s4, s[4:5], 0x18
	v_add_co_u32 v1, s0, s2, v1
	v_add_co_ci_u32_e64 v2, null, s3, 0, s0
	s_waitcnt lgkmcnt(0)
	s_mul_i32 s1, s27, s8
	s_mul_hi_u32 s2, s26, s8
	s_mul_i32 s0, s26, s8
	s_add_i32 s1, s2, s1
	v_cmp_neq_f16_e64 s2, s6, 0
	s_lshl_b64 s[26:27], s[0:1], 1
	v_cmp_gt_i64_e64 s0, s[22:23], v[1:2]
	s_add_u32 s3, s18, s26
	s_addc_u32 s5, s19, s27
	s_and_b32 vcc_lo, exec_lo, s2
	s_cbranch_vccnz .LBB355_21
; %bb.9:
	s_and_saveexec_b32 s7, s0
	s_cbranch_execz .LBB355_19
; %bb.10:
	v_mul_lo_u32 v5, v2, s24
	v_mul_lo_u32 v6, v1, s25
	v_mad_u64_u32 v[3:4], null, v1, s24, 0
	v_add3_u32 v4, v4, v6, v5
	v_add_co_u32 v5, s1, s10, v0
	v_add_co_ci_u32_e64 v6, null, s11, 0, s1
	v_lshlrev_b64 v[9:10], 1, v[3:4]
	v_cmp_gt_i64_e32 vcc_lo, s[20:21], v[5:6]
	v_lshlrev_b64 v[3:4], 1, v[5:6]
	v_add_co_u32 v9, s1, s3, v9
	v_add_co_ci_u32_e64 v10, null, s5, v10, s1
	s_and_saveexec_b32 s2, vcc_lo
	s_cbranch_execz .LBB355_12
; %bb.11:
	v_add_co_u32 v11, s1, v9, v3
	v_add_co_ci_u32_e64 v12, null, v10, v4, s1
	v_mul_f16_e32 v13, s4, v7
	global_store_short v[11:12], v13, off
.LBB355_12:
	s_or_b32 exec_lo, exec_lo, s2
	v_add_co_u32 v5, s1, v5, 16
	v_add_co_ci_u32_e64 v6, null, 0, v6, s1
	v_cmp_gt_i64_e64 s1, s[20:21], v[5:6]
	s_and_saveexec_b32 s9, s1
	s_cbranch_execz .LBB355_14
; %bb.13:
	v_add_co_u32 v5, s2, v9, v3
	v_add_co_ci_u32_e64 v6, null, v10, v4, s2
	v_mul_f16_sdwa v11, s4, v7 dst_sel:DWORD dst_unused:UNUSED_PAD src0_sel:DWORD src1_sel:WORD_1
	global_store_short v[5:6], v11, off offset:32
.LBB355_14:
	s_or_b32 exec_lo, exec_lo, s9
	v_add_co_u32 v5, s2, v1, 16
	v_add_co_ci_u32_e64 v6, null, 0, v2, s2
	v_cmp_gt_i64_e64 s2, s[22:23], v[5:6]
	s_and_b32 exec_lo, exec_lo, s2
	s_cbranch_execz .LBB355_19
; %bb.15:
	s_lshl_b64 s[18:19], s[24:25], 5
	v_add_co_u32 v5, s2, v9, s18
	v_add_co_ci_u32_e64 v6, null, s19, v10, s2
	v_add_co_u32 v3, s2, v5, v3
	v_add_co_ci_u32_e64 v4, null, v6, v4, s2
	s_and_saveexec_b32 s2, vcc_lo
	s_cbranch_execz .LBB355_17
; %bb.16:
	v_mul_f16_e32 v5, s4, v8
	global_store_short v[3:4], v5, off
.LBB355_17:
	s_or_b32 exec_lo, exec_lo, s2
	s_and_b32 exec_lo, exec_lo, s1
	s_cbranch_execz .LBB355_19
; %bb.18:
	v_mul_f16_sdwa v5, s4, v8 dst_sel:DWORD dst_unused:UNUSED_PAD src0_sel:DWORD src1_sel:WORD_1
	global_store_short v[3:4], v5, off offset:32
.LBB355_19:
	s_or_b32 exec_lo, exec_lo, s7
	s_cbranch_execz .LBB355_22
.LBB355_20:
	s_endpgm
.LBB355_21:
.LBB355_22:
	s_and_saveexec_b32 s1, s0
	s_cbranch_execz .LBB355_20
; %bb.23:
	v_mul_lo_u32 v5, v2, s14
	v_mul_lo_u32 v6, v1, s15
	v_mad_u64_u32 v[3:4], null, v1, s14, 0
	v_mul_lo_u32 v11, v2, s24
	v_mul_lo_u32 v12, v1, s25
	v_mad_u64_u32 v[9:10], null, v1, s24, 0
	s_mul_i32 s0, s17, s8
	s_mul_hi_u32 s1, s16, s8
	v_add3_u32 v4, v4, v6, v5
	s_add_i32 s1, s1, s0
	s_mul_i32 s0, s16, s8
	v_add_co_u32 v5, s2, s10, v0
	v_add3_u32 v10, v10, v12, v11
	v_lshlrev_b64 v[3:4], 1, v[3:4]
	s_lshl_b64 s[0:1], s[0:1], 1
	v_add_co_ci_u32_e64 v6, null, s11, 0, s2
	v_lshlrev_b64 v[10:11], 1, v[9:10]
	s_add_u32 s0, s12, s0
	s_addc_u32 s1, s13, s1
	v_add_co_u32 v0, s0, s0, v3
	v_add_co_ci_u32_e64 v9, null, s1, v4, s0
	v_add_co_u32 v10, s0, s3, v10
	v_cmp_gt_i64_e32 vcc_lo, s[20:21], v[5:6]
	v_lshlrev_b64 v[3:4], 1, v[5:6]
	v_add_co_ci_u32_e64 v11, null, s5, v11, s0
	s_and_saveexec_b32 s1, vcc_lo
	s_cbranch_execz .LBB355_25
; %bb.24:
	v_add_co_u32 v12, s0, v0, v3
	v_add_co_ci_u32_e64 v13, null, v9, v4, s0
	global_load_ushort v12, v[12:13], off
	s_waitcnt vmcnt(0)
	v_mul_f16_e32 v14, s6, v12
	v_add_co_u32 v12, s0, v10, v3
	v_add_co_ci_u32_e64 v13, null, v11, v4, s0
	v_fmac_f16_e32 v14, s4, v7
	global_store_short v[12:13], v14, off
.LBB355_25:
	s_or_b32 exec_lo, exec_lo, s1
	v_add_co_u32 v5, s0, v5, 16
	v_add_co_ci_u32_e64 v6, null, 0, v6, s0
	v_cmp_gt_i64_e64 s0, s[20:21], v[5:6]
	s_and_saveexec_b32 s2, s0
	s_cbranch_execz .LBB355_27
; %bb.26:
	v_add_co_u32 v5, s1, v0, v3
	v_add_co_ci_u32_e64 v6, null, v9, v4, s1
	global_load_ushort v5, v[5:6], off offset:32
	v_lshrrev_b32_e32 v6, 16, v7
	s_waitcnt vmcnt(0)
	v_mul_f16_e32 v7, s6, v5
	v_add_co_u32 v5, s1, v10, v3
	v_fmac_f16_e32 v7, s4, v6
	v_add_co_ci_u32_e64 v6, null, v11, v4, s1
	global_store_short v[5:6], v7, off offset:32
.LBB355_27:
	s_or_b32 exec_lo, exec_lo, s2
	v_add_co_u32 v1, s1, v1, 16
	v_add_co_ci_u32_e64 v2, null, 0, v2, s1
	v_cmp_gt_i64_e64 s1, s[22:23], v[1:2]
	s_and_b32 exec_lo, exec_lo, s1
	s_cbranch_execz .LBB355_20
; %bb.28:
	s_lshl_b64 s[2:3], s[14:15], 5
	v_add_co_u32 v0, s1, v0, s2
	v_add_co_ci_u32_e64 v1, null, s3, v9, s1
	s_lshl_b64 s[2:3], s[24:25], 5
	v_add_co_u32 v2, s1, v10, s2
	v_add_co_ci_u32_e64 v7, null, s3, v11, s1
	v_add_co_u32 v5, s1, v0, v3
	v_add_co_ci_u32_e64 v6, null, v1, v4, s1
	;; [unrolled: 2-line block ×3, first 2 shown]
	s_and_saveexec_b32 s1, vcc_lo
	s_cbranch_execz .LBB355_30
; %bb.29:
	global_load_ushort v2, v[5:6], off
	s_waitcnt vmcnt(0)
	v_mul_f16_e32 v2, s6, v2
	v_fmac_f16_e32 v2, s4, v8
	global_store_short v[0:1], v2, off
.LBB355_30:
	s_or_b32 exec_lo, exec_lo, s1
	s_and_b32 exec_lo, exec_lo, s0
	s_cbranch_execz .LBB355_20
; %bb.31:
	global_load_ushort v2, v[5:6], off offset:32
	v_lshrrev_b32_e32 v3, 16, v8
	s_waitcnt vmcnt(0)
	v_mul_f16_e32 v2, s6, v2
	v_fmac_f16_e32 v2, s4, v3
	global_store_short v[0:1], v2, off offset:32
	s_endpgm
	.section	.rodata,"a",@progbits
	.p2align	6, 0x0
	.amdhsa_kernel _ZN12_GLOBAL__N_135rocblas_gemm_batched_general_kernelIDF16_Li16ELi16ELi32ELi32ELi8ELi32ELi8ELi8ELi32ELc78ELc84EKDF16_S1_DF16_EEvlllT_PT11_llS4_llS2_PT12_llPT13_lli
		.amdhsa_group_segment_fixed_size 1024
		.amdhsa_private_segment_fixed_size 0
		.amdhsa_kernarg_size 140
		.amdhsa_user_sgpr_count 6
		.amdhsa_user_sgpr_private_segment_buffer 1
		.amdhsa_user_sgpr_dispatch_ptr 0
		.amdhsa_user_sgpr_queue_ptr 0
		.amdhsa_user_sgpr_kernarg_segment_ptr 1
		.amdhsa_user_sgpr_dispatch_id 0
		.amdhsa_user_sgpr_flat_scratch_init 0
		.amdhsa_user_sgpr_private_segment_size 0
		.amdhsa_wavefront_size32 1
		.amdhsa_uses_dynamic_stack 0
		.amdhsa_system_sgpr_private_segment_wavefront_offset 0
		.amdhsa_system_sgpr_workgroup_id_x 1
		.amdhsa_system_sgpr_workgroup_id_y 1
		.amdhsa_system_sgpr_workgroup_id_z 1
		.amdhsa_system_sgpr_workgroup_info 0
		.amdhsa_system_vgpr_workitem_id 1
		.amdhsa_next_free_vgpr 30
		.amdhsa_next_free_sgpr 34
		.amdhsa_reserve_vcc 1
		.amdhsa_reserve_flat_scratch 0
		.amdhsa_float_round_mode_32 0
		.amdhsa_float_round_mode_16_64 0
		.amdhsa_float_denorm_mode_32 3
		.amdhsa_float_denorm_mode_16_64 3
		.amdhsa_dx10_clamp 1
		.amdhsa_ieee_mode 1
		.amdhsa_fp16_overflow 0
		.amdhsa_workgroup_processor_mode 1
		.amdhsa_memory_ordered 1
		.amdhsa_forward_progress 1
		.amdhsa_shared_vgpr_count 0
		.amdhsa_exception_fp_ieee_invalid_op 0
		.amdhsa_exception_fp_denorm_src 0
		.amdhsa_exception_fp_ieee_div_zero 0
		.amdhsa_exception_fp_ieee_overflow 0
		.amdhsa_exception_fp_ieee_underflow 0
		.amdhsa_exception_fp_ieee_inexact 0
		.amdhsa_exception_int_div_zero 0
	.end_amdhsa_kernel
	.section	.text._ZN12_GLOBAL__N_135rocblas_gemm_batched_general_kernelIDF16_Li16ELi16ELi32ELi32ELi8ELi32ELi8ELi8ELi32ELc78ELc84EKDF16_S1_DF16_EEvlllT_PT11_llS4_llS2_PT12_llPT13_lli,"axG",@progbits,_ZN12_GLOBAL__N_135rocblas_gemm_batched_general_kernelIDF16_Li16ELi16ELi32ELi32ELi8ELi32ELi8ELi8ELi32ELc78ELc84EKDF16_S1_DF16_EEvlllT_PT11_llS4_llS2_PT12_llPT13_lli,comdat
.Lfunc_end355:
	.size	_ZN12_GLOBAL__N_135rocblas_gemm_batched_general_kernelIDF16_Li16ELi16ELi32ELi32ELi8ELi32ELi8ELi8ELi32ELc78ELc84EKDF16_S1_DF16_EEvlllT_PT11_llS4_llS2_PT12_llPT13_lli, .Lfunc_end355-_ZN12_GLOBAL__N_135rocblas_gemm_batched_general_kernelIDF16_Li16ELi16ELi32ELi32ELi8ELi32ELi8ELi8ELi32ELc78ELc84EKDF16_S1_DF16_EEvlllT_PT11_llS4_llS2_PT12_llPT13_lli
                                        ; -- End function
	.set _ZN12_GLOBAL__N_135rocblas_gemm_batched_general_kernelIDF16_Li16ELi16ELi32ELi32ELi8ELi32ELi8ELi8ELi32ELc78ELc84EKDF16_S1_DF16_EEvlllT_PT11_llS4_llS2_PT12_llPT13_lli.num_vgpr, 30
	.set _ZN12_GLOBAL__N_135rocblas_gemm_batched_general_kernelIDF16_Li16ELi16ELi32ELi32ELi8ELi32ELi8ELi8ELi32ELc78ELc84EKDF16_S1_DF16_EEvlllT_PT11_llS4_llS2_PT12_llPT13_lli.num_agpr, 0
	.set _ZN12_GLOBAL__N_135rocblas_gemm_batched_general_kernelIDF16_Li16ELi16ELi32ELi32ELi8ELi32ELi8ELi8ELi32ELc78ELc84EKDF16_S1_DF16_EEvlllT_PT11_llS4_llS2_PT12_llPT13_lli.numbered_sgpr, 34
	.set _ZN12_GLOBAL__N_135rocblas_gemm_batched_general_kernelIDF16_Li16ELi16ELi32ELi32ELi8ELi32ELi8ELi8ELi32ELc78ELc84EKDF16_S1_DF16_EEvlllT_PT11_llS4_llS2_PT12_llPT13_lli.num_named_barrier, 0
	.set _ZN12_GLOBAL__N_135rocblas_gemm_batched_general_kernelIDF16_Li16ELi16ELi32ELi32ELi8ELi32ELi8ELi8ELi32ELc78ELc84EKDF16_S1_DF16_EEvlllT_PT11_llS4_llS2_PT12_llPT13_lli.private_seg_size, 0
	.set _ZN12_GLOBAL__N_135rocblas_gemm_batched_general_kernelIDF16_Li16ELi16ELi32ELi32ELi8ELi32ELi8ELi8ELi32ELc78ELc84EKDF16_S1_DF16_EEvlllT_PT11_llS4_llS2_PT12_llPT13_lli.uses_vcc, 1
	.set _ZN12_GLOBAL__N_135rocblas_gemm_batched_general_kernelIDF16_Li16ELi16ELi32ELi32ELi8ELi32ELi8ELi8ELi32ELc78ELc84EKDF16_S1_DF16_EEvlllT_PT11_llS4_llS2_PT12_llPT13_lli.uses_flat_scratch, 0
	.set _ZN12_GLOBAL__N_135rocblas_gemm_batched_general_kernelIDF16_Li16ELi16ELi32ELi32ELi8ELi32ELi8ELi8ELi32ELc78ELc84EKDF16_S1_DF16_EEvlllT_PT11_llS4_llS2_PT12_llPT13_lli.has_dyn_sized_stack, 0
	.set _ZN12_GLOBAL__N_135rocblas_gemm_batched_general_kernelIDF16_Li16ELi16ELi32ELi32ELi8ELi32ELi8ELi8ELi32ELc78ELc84EKDF16_S1_DF16_EEvlllT_PT11_llS4_llS2_PT12_llPT13_lli.has_recursion, 0
	.set _ZN12_GLOBAL__N_135rocblas_gemm_batched_general_kernelIDF16_Li16ELi16ELi32ELi32ELi8ELi32ELi8ELi8ELi32ELc78ELc84EKDF16_S1_DF16_EEvlllT_PT11_llS4_llS2_PT12_llPT13_lli.has_indirect_call, 0
	.section	.AMDGPU.csdata,"",@progbits
; Kernel info:
; codeLenInByte = 1932
; TotalNumSgprs: 36
; NumVgprs: 30
; ScratchSize: 0
; MemoryBound: 0
; FloatMode: 240
; IeeeMode: 1
; LDSByteSize: 1024 bytes/workgroup (compile time only)
; SGPRBlocks: 0
; VGPRBlocks: 3
; NumSGPRsForWavesPerEU: 36
; NumVGPRsForWavesPerEU: 30
; Occupancy: 16
; WaveLimiterHint : 0
; COMPUTE_PGM_RSRC2:SCRATCH_EN: 0
; COMPUTE_PGM_RSRC2:USER_SGPR: 6
; COMPUTE_PGM_RSRC2:TRAP_HANDLER: 0
; COMPUTE_PGM_RSRC2:TGID_X_EN: 1
; COMPUTE_PGM_RSRC2:TGID_Y_EN: 1
; COMPUTE_PGM_RSRC2:TGID_Z_EN: 1
; COMPUTE_PGM_RSRC2:TIDIG_COMP_CNT: 1
	.section	.text._ZN12_GLOBAL__N_135rocblas_gemm_batched_general_kernelIDF16_Li16ELi16ELi32ELi32ELi8ELi32ELi8ELi8ELi32ELc84ELc84EKDF16_S1_DF16_EEvlllT_PT11_llS4_llS2_PT12_llPT13_lli,"axG",@progbits,_ZN12_GLOBAL__N_135rocblas_gemm_batched_general_kernelIDF16_Li16ELi16ELi32ELi32ELi8ELi32ELi8ELi8ELi32ELc84ELc84EKDF16_S1_DF16_EEvlllT_PT11_llS4_llS2_PT12_llPT13_lli,comdat
	.globl	_ZN12_GLOBAL__N_135rocblas_gemm_batched_general_kernelIDF16_Li16ELi16ELi32ELi32ELi8ELi32ELi8ELi8ELi32ELc84ELc84EKDF16_S1_DF16_EEvlllT_PT11_llS4_llS2_PT12_llPT13_lli ; -- Begin function _ZN12_GLOBAL__N_135rocblas_gemm_batched_general_kernelIDF16_Li16ELi16ELi32ELi32ELi8ELi32ELi8ELi8ELi32ELc84ELc84EKDF16_S1_DF16_EEvlllT_PT11_llS4_llS2_PT12_llPT13_lli
	.p2align	8
	.type	_ZN12_GLOBAL__N_135rocblas_gemm_batched_general_kernelIDF16_Li16ELi16ELi32ELi32ELi8ELi32ELi8ELi8ELi32ELc84ELc84EKDF16_S1_DF16_EEvlllT_PT11_llS4_llS2_PT12_llPT13_lli,@function
_ZN12_GLOBAL__N_135rocblas_gemm_batched_general_kernelIDF16_Li16ELi16ELi32ELi32ELi8ELi32ELi8ELi8ELi32ELc84ELc84EKDF16_S1_DF16_EEvlllT_PT11_llS4_llS2_PT12_llPT13_lli: ; @_ZN12_GLOBAL__N_135rocblas_gemm_batched_general_kernelIDF16_Li16ELi16ELi32ELi32ELi8ELi32ELi8ELi8ELi32ELc84ELc84EKDF16_S1_DF16_EEvlllT_PT11_llS4_llS2_PT12_llPT13_lli
; %bb.0:
	s_clause 0x1
	s_load_dwordx2 s[10:11], s[4:5], 0x10
	s_load_dwordx4 s[20:23], s[4:5], 0x0
	s_mov_b32 s0, s7
	v_mov_b32_e32 v7, 0
	s_ashr_i32 s7, s6, 31
	s_ashr_i32 s1, s0, 31
	s_lshl_b64 s[6:7], s[6:7], 5
	s_waitcnt lgkmcnt(0)
	v_cmp_lt_i64_e64 s2, s[10:11], 1
	s_and_b32 vcc_lo, exec_lo, s2
	s_lshl_b64 s[2:3], s[0:1], 5
	s_cbranch_vccnz .LBB356_7
; %bb.1:
	s_load_dwordx4 s[24:27], s[4:5], 0x40
	v_lshlrev_b32_e32 v2, 4, v1
	v_and_b32_e32 v6, 7, v0
	s_load_dwordx8 s[12:19], s[4:5], 0x20
	v_mov_b32_e32 v3, s7
	s_lshl_b64 s[28:29], s[0:1], 6
	v_add_nc_u32_e32 v4, v2, v0
	v_add_nc_u32_e32 v10, 0x200, v2
	v_lshlrev_b32_e32 v8, 1, v6
	v_lshlrev_b32_e32 v9, 1, v0
	v_and_b32_e32 v12, 31, v4
	v_lshrrev_b32_e32 v15, 3, v4
	v_lshrrev_b32_e32 v11, 5, v4
	v_or_b32_e32 v2, s6, v12
	v_add_co_u32 v13, s0, v15, s2
	v_add_co_ci_u32_e64 v14, null, 0, s3, s0
	s_waitcnt lgkmcnt(0)
	v_mad_u64_u32 v[4:5], null, s24, v6, 0
	v_add_co_u32 v17, s0, s6, v12
	v_add_co_ci_u32_e64 v18, null, s7, 0, s0
	v_cmp_gt_i64_e64 s0, s[20:21], v[2:3]
	v_lshl_or_b32 v8, v15, 4, v8
	v_mad_u64_u32 v[2:3], null, s25, v6, v[5:6]
	v_cmp_gt_i64_e64 s1, s[22:23], v[13:14]
	v_mul_lo_u32 v14, s14, v18
	v_add_nc_u32_e32 v13, 0x200, v8
	v_mul_lo_u32 v8, s15, v17
	s_mul_i32 s9, s27, s8
	s_mul_hi_u32 s27, s26, s8
	v_mov_b32_e32 v5, v2
	v_mad_u64_u32 v[2:3], null, s14, v17, 0
	s_mul_i32 s26, s26, s8
	s_add_i32 s27, s27, s9
	v_lshlrev_b64 v[4:5], 1, v[4:5]
	s_lshl_b64 s[14:15], s[26:27], 1
	s_mul_i32 s9, s17, s8
	s_add_u32 s14, s28, s14
	v_add3_u32 v3, v3, v14, v8
	s_mul_hi_u32 s17, s16, s8
	s_addc_u32 s15, s29, s15
	v_add_co_u32 v4, vcc_lo, s14, v4
	v_lshlrev_b64 v[2:3], 1, v[2:3]
	v_add_co_ci_u32_e64 v5, null, s15, v5, vcc_lo
	s_add_i32 s15, s17, s9
	s_mul_i32 s14, s16, s8
	v_lshlrev_b32_e32 v8, 1, v15
	s_lshl_b64 s[14:15], s[14:15], 1
	v_lshlrev_b32_e32 v14, 1, v11
	v_add_co_u32 v2, vcc_lo, v2, s14
	v_add_co_ci_u32_e64 v3, null, s15, v3, vcc_lo
	v_add_co_u32 v4, vcc_lo, v4, v8
	v_add_co_ci_u32_e64 v5, null, 0, v5, vcc_lo
	v_add_co_u32 v8, vcc_lo, v2, v14
	v_lshlrev_b32_e32 v16, 1, v12
	v_add_co_ci_u32_e64 v14, null, 0, v3, vcc_lo
	v_add_co_u32 v2, vcc_lo, s18, v4
	v_add_co_ci_u32_e64 v3, null, s19, v5, vcc_lo
	v_add_co_u32 v4, vcc_lo, s12, v8
	v_lshl_or_b32 v12, v11, 6, v16
	v_add_co_ci_u32_e64 v5, null, s13, v14, vcc_lo
	v_mov_b32_e32 v8, 0
	s_lshl_b64 s[12:13], s[24:25], 4
	s_mov_b64 s[14:15], 0
	s_branch .LBB356_3
.LBB356_2:                              ;   in Loop: Header=BB356_3 Depth=1
	s_or_b32 exec_lo, exec_lo, s9
	s_waitcnt vmcnt(0)
	ds_write_b16 v13, v14
	s_waitcnt lgkmcnt(0)
	s_barrier
	buffer_gl0_inv
	ds_read_u16 v22, v9
	ds_read_u16 v23, v9 offset:64
	ds_read_u16 v24, v9 offset:128
	;; [unrolled: 1-line block ×7, first 2 shown]
	s_add_u32 s14, s14, 8
	s_addc_u32 s15, s15, 0
	v_add_co_u32 v2, vcc_lo, v2, s12
	v_cmp_lt_i64_e64 s9, s[14:15], s[10:11]
	v_add_co_ci_u32_e64 v3, null, s13, v3, vcc_lo
	v_add_co_u32 v4, vcc_lo, v4, 16
	v_add_co_ci_u32_e64 v5, null, 0, v5, vcc_lo
	s_and_b32 vcc_lo, exec_lo, s9
	s_waitcnt lgkmcnt(7)
	ds_read_u16_d16_hi v22, v9 offset:32
	ds_read_b128 v[14:17], v10
	ds_read_b128 v[18:21], v10 offset:256
	s_waitcnt lgkmcnt(9)
	ds_read_u16_d16_hi v23, v9 offset:96
	s_waitcnt lgkmcnt(9)
	ds_read_u16_d16_hi v24, v9 offset:160
	;; [unrolled: 2-line block ×7, first 2 shown]
	s_waitcnt lgkmcnt(0)
	s_barrier
	buffer_gl0_inv
	v_pk_fma_f16 v7, v22, v14, v7 op_sel_hi:[1,0,1]
	v_pk_fma_f16 v8, v22, v18, v8 op_sel_hi:[1,0,1]
	v_pk_fma_f16 v7, v23, v14, v7 op_sel:[0,1,0]
	v_pk_fma_f16 v8, v23, v18, v8 op_sel:[0,1,0]
	v_pk_fma_f16 v7, v24, v15, v7 op_sel_hi:[1,0,1]
	v_pk_fma_f16 v8, v24, v19, v8 op_sel_hi:[1,0,1]
	v_pk_fma_f16 v7, v25, v15, v7 op_sel:[0,1,0]
	v_pk_fma_f16 v8, v25, v19, v8 op_sel:[0,1,0]
	v_pk_fma_f16 v7, v26, v16, v7 op_sel_hi:[1,0,1]
	v_pk_fma_f16 v8, v26, v20, v8 op_sel_hi:[1,0,1]
	v_pk_fma_f16 v7, v27, v16, v7 op_sel:[0,1,0]
	v_pk_fma_f16 v8, v27, v20, v8 op_sel:[0,1,0]
	v_pk_fma_f16 v7, v28, v17, v7 op_sel_hi:[1,0,1]
	v_pk_fma_f16 v8, v28, v21, v8 op_sel_hi:[1,0,1]
	v_pk_fma_f16 v7, v29, v17, v7 op_sel:[0,1,0]
	v_pk_fma_f16 v8, v29, v21, v8 op_sel:[0,1,0]
	s_cbranch_vccz .LBB356_8
.LBB356_3:                              ; =>This Inner Loop Header: Depth=1
	v_add_co_u32 v14, s9, v11, s14
	v_add_co_ci_u32_e64 v15, null, 0, s15, s9
	v_cmp_gt_i64_e32 vcc_lo, s[10:11], v[14:15]
	v_mov_b32_e32 v14, 0
	v_mov_b32_e32 v15, 0
	s_and_b32 s16, s0, vcc_lo
	s_and_saveexec_b32 s9, s16
	s_cbranch_execz .LBB356_5
; %bb.4:                                ;   in Loop: Header=BB356_3 Depth=1
	global_load_ushort v15, v[4:5], off
.LBB356_5:                              ;   in Loop: Header=BB356_3 Depth=1
	s_or_b32 exec_lo, exec_lo, s9
	v_add_co_u32 v16, s9, v6, s14
	v_add_co_ci_u32_e64 v17, null, 0, s15, s9
	s_waitcnt vmcnt(0)
	ds_write_b16 v12, v15
	v_cmp_gt_i64_e32 vcc_lo, s[10:11], v[16:17]
	s_and_b32 s16, vcc_lo, s1
	s_and_saveexec_b32 s9, s16
	s_cbranch_execz .LBB356_2
; %bb.6:                                ;   in Loop: Header=BB356_3 Depth=1
	global_load_ushort v14, v[2:3], off
	s_branch .LBB356_2
.LBB356_7:
	v_mov_b32_e32 v8, 0
.LBB356_8:
	s_clause 0x3
	s_load_dwordx4 s[24:27], s[4:5], 0x78
	s_load_dword s9, s[4:5], 0x50
	s_load_dwordx8 s[12:19], s[4:5], 0x58
	s_load_dword s4, s[4:5], 0x18
	v_add_co_u32 v1, s0, s2, v1
	v_add_co_ci_u32_e64 v2, null, s3, 0, s0
	s_waitcnt lgkmcnt(0)
	s_mul_i32 s1, s27, s8
	s_mul_hi_u32 s2, s26, s8
	s_mul_i32 s0, s26, s8
	s_add_i32 s1, s2, s1
	v_cmp_neq_f16_e64 s2, s9, 0
	s_lshl_b64 s[10:11], s[0:1], 1
	v_cmp_gt_i64_e64 s0, s[22:23], v[1:2]
	s_add_u32 s3, s18, s10
	s_addc_u32 s5, s19, s11
	s_and_b32 vcc_lo, exec_lo, s2
	s_cbranch_vccnz .LBB356_21
; %bb.9:
	s_and_saveexec_b32 s10, s0
	s_cbranch_execz .LBB356_19
; %bb.10:
	v_mul_lo_u32 v5, v2, s24
	v_mul_lo_u32 v6, v1, s25
	v_mad_u64_u32 v[3:4], null, v1, s24, 0
	v_add3_u32 v4, v4, v6, v5
	v_add_co_u32 v5, s1, s6, v0
	v_add_co_ci_u32_e64 v6, null, s7, 0, s1
	v_lshlrev_b64 v[9:10], 1, v[3:4]
	v_cmp_gt_i64_e32 vcc_lo, s[20:21], v[5:6]
	v_lshlrev_b64 v[3:4], 1, v[5:6]
	v_add_co_u32 v9, s1, s3, v9
	v_add_co_ci_u32_e64 v10, null, s5, v10, s1
	s_and_saveexec_b32 s2, vcc_lo
	s_cbranch_execz .LBB356_12
; %bb.11:
	v_add_co_u32 v11, s1, v9, v3
	v_add_co_ci_u32_e64 v12, null, v10, v4, s1
	v_mul_f16_e32 v13, s4, v7
	global_store_short v[11:12], v13, off
.LBB356_12:
	s_or_b32 exec_lo, exec_lo, s2
	v_add_co_u32 v5, s1, v5, 16
	v_add_co_ci_u32_e64 v6, null, 0, v6, s1
	v_cmp_gt_i64_e64 s1, s[20:21], v[5:6]
	s_and_saveexec_b32 s11, s1
	s_cbranch_execz .LBB356_14
; %bb.13:
	v_add_co_u32 v5, s2, v9, v3
	v_add_co_ci_u32_e64 v6, null, v10, v4, s2
	v_mul_f16_sdwa v11, s4, v7 dst_sel:DWORD dst_unused:UNUSED_PAD src0_sel:DWORD src1_sel:WORD_1
	global_store_short v[5:6], v11, off offset:32
.LBB356_14:
	s_or_b32 exec_lo, exec_lo, s11
	v_add_co_u32 v5, s2, v1, 16
	v_add_co_ci_u32_e64 v6, null, 0, v2, s2
	v_cmp_gt_i64_e64 s2, s[22:23], v[5:6]
	s_and_b32 exec_lo, exec_lo, s2
	s_cbranch_execz .LBB356_19
; %bb.15:
	s_lshl_b64 s[18:19], s[24:25], 5
	v_add_co_u32 v5, s2, v9, s18
	v_add_co_ci_u32_e64 v6, null, s19, v10, s2
	v_add_co_u32 v3, s2, v5, v3
	v_add_co_ci_u32_e64 v4, null, v6, v4, s2
	s_and_saveexec_b32 s2, vcc_lo
	s_cbranch_execz .LBB356_17
; %bb.16:
	v_mul_f16_e32 v5, s4, v8
	global_store_short v[3:4], v5, off
.LBB356_17:
	s_or_b32 exec_lo, exec_lo, s2
	s_and_b32 exec_lo, exec_lo, s1
	s_cbranch_execz .LBB356_19
; %bb.18:
	v_mul_f16_sdwa v5, s4, v8 dst_sel:DWORD dst_unused:UNUSED_PAD src0_sel:DWORD src1_sel:WORD_1
	global_store_short v[3:4], v5, off offset:32
.LBB356_19:
	s_or_b32 exec_lo, exec_lo, s10
	s_cbranch_execz .LBB356_22
.LBB356_20:
	s_endpgm
.LBB356_21:
.LBB356_22:
	s_and_saveexec_b32 s1, s0
	s_cbranch_execz .LBB356_20
; %bb.23:
	v_mul_lo_u32 v5, v2, s14
	v_mul_lo_u32 v6, v1, s15
	v_mad_u64_u32 v[3:4], null, v1, s14, 0
	v_mul_lo_u32 v11, v2, s24
	v_mul_lo_u32 v12, v1, s25
	v_mad_u64_u32 v[9:10], null, v1, s24, 0
	s_mul_i32 s0, s17, s8
	s_mul_hi_u32 s1, s16, s8
	v_add3_u32 v4, v4, v6, v5
	s_add_i32 s1, s1, s0
	s_mul_i32 s0, s16, s8
	v_add_co_u32 v5, s2, s6, v0
	v_add3_u32 v10, v10, v12, v11
	v_lshlrev_b64 v[3:4], 1, v[3:4]
	s_lshl_b64 s[0:1], s[0:1], 1
	v_add_co_ci_u32_e64 v6, null, s7, 0, s2
	v_lshlrev_b64 v[10:11], 1, v[9:10]
	s_add_u32 s0, s12, s0
	s_addc_u32 s1, s13, s1
	v_add_co_u32 v0, s0, s0, v3
	v_add_co_ci_u32_e64 v9, null, s1, v4, s0
	v_add_co_u32 v10, s0, s3, v10
	v_cmp_gt_i64_e32 vcc_lo, s[20:21], v[5:6]
	v_lshlrev_b64 v[3:4], 1, v[5:6]
	v_add_co_ci_u32_e64 v11, null, s5, v11, s0
	s_and_saveexec_b32 s1, vcc_lo
	s_cbranch_execz .LBB356_25
; %bb.24:
	v_add_co_u32 v12, s0, v0, v3
	v_add_co_ci_u32_e64 v13, null, v9, v4, s0
	global_load_ushort v12, v[12:13], off
	s_waitcnt vmcnt(0)
	v_mul_f16_e32 v14, s9, v12
	v_add_co_u32 v12, s0, v10, v3
	v_add_co_ci_u32_e64 v13, null, v11, v4, s0
	v_fmac_f16_e32 v14, s4, v7
	global_store_short v[12:13], v14, off
.LBB356_25:
	s_or_b32 exec_lo, exec_lo, s1
	v_add_co_u32 v5, s0, v5, 16
	v_add_co_ci_u32_e64 v6, null, 0, v6, s0
	v_cmp_gt_i64_e64 s0, s[20:21], v[5:6]
	s_and_saveexec_b32 s2, s0
	s_cbranch_execz .LBB356_27
; %bb.26:
	v_add_co_u32 v5, s1, v0, v3
	v_add_co_ci_u32_e64 v6, null, v9, v4, s1
	global_load_ushort v5, v[5:6], off offset:32
	v_lshrrev_b32_e32 v6, 16, v7
	s_waitcnt vmcnt(0)
	v_mul_f16_e32 v7, s9, v5
	v_add_co_u32 v5, s1, v10, v3
	v_fmac_f16_e32 v7, s4, v6
	v_add_co_ci_u32_e64 v6, null, v11, v4, s1
	global_store_short v[5:6], v7, off offset:32
.LBB356_27:
	s_or_b32 exec_lo, exec_lo, s2
	v_add_co_u32 v1, s1, v1, 16
	v_add_co_ci_u32_e64 v2, null, 0, v2, s1
	v_cmp_gt_i64_e64 s1, s[22:23], v[1:2]
	s_and_b32 exec_lo, exec_lo, s1
	s_cbranch_execz .LBB356_20
; %bb.28:
	s_lshl_b64 s[2:3], s[14:15], 5
	v_add_co_u32 v0, s1, v0, s2
	v_add_co_ci_u32_e64 v1, null, s3, v9, s1
	s_lshl_b64 s[2:3], s[24:25], 5
	v_add_co_u32 v2, s1, v10, s2
	v_add_co_ci_u32_e64 v7, null, s3, v11, s1
	v_add_co_u32 v5, s1, v0, v3
	v_add_co_ci_u32_e64 v6, null, v1, v4, s1
	;; [unrolled: 2-line block ×3, first 2 shown]
	s_and_saveexec_b32 s1, vcc_lo
	s_cbranch_execz .LBB356_30
; %bb.29:
	global_load_ushort v2, v[5:6], off
	s_waitcnt vmcnt(0)
	v_mul_f16_e32 v2, s9, v2
	v_fmac_f16_e32 v2, s4, v8
	global_store_short v[0:1], v2, off
.LBB356_30:
	s_or_b32 exec_lo, exec_lo, s1
	s_and_b32 exec_lo, exec_lo, s0
	s_cbranch_execz .LBB356_20
; %bb.31:
	global_load_ushort v2, v[5:6], off offset:32
	v_lshrrev_b32_e32 v3, 16, v8
	s_waitcnt vmcnt(0)
	v_mul_f16_e32 v2, s9, v2
	v_fmac_f16_e32 v2, s4, v3
	global_store_short v[0:1], v2, off offset:32
	s_endpgm
	.section	.rodata,"a",@progbits
	.p2align	6, 0x0
	.amdhsa_kernel _ZN12_GLOBAL__N_135rocblas_gemm_batched_general_kernelIDF16_Li16ELi16ELi32ELi32ELi8ELi32ELi8ELi8ELi32ELc84ELc84EKDF16_S1_DF16_EEvlllT_PT11_llS4_llS2_PT12_llPT13_lli
		.amdhsa_group_segment_fixed_size 1024
		.amdhsa_private_segment_fixed_size 0
		.amdhsa_kernarg_size 140
		.amdhsa_user_sgpr_count 6
		.amdhsa_user_sgpr_private_segment_buffer 1
		.amdhsa_user_sgpr_dispatch_ptr 0
		.amdhsa_user_sgpr_queue_ptr 0
		.amdhsa_user_sgpr_kernarg_segment_ptr 1
		.amdhsa_user_sgpr_dispatch_id 0
		.amdhsa_user_sgpr_flat_scratch_init 0
		.amdhsa_user_sgpr_private_segment_size 0
		.amdhsa_wavefront_size32 1
		.amdhsa_uses_dynamic_stack 0
		.amdhsa_system_sgpr_private_segment_wavefront_offset 0
		.amdhsa_system_sgpr_workgroup_id_x 1
		.amdhsa_system_sgpr_workgroup_id_y 1
		.amdhsa_system_sgpr_workgroup_id_z 1
		.amdhsa_system_sgpr_workgroup_info 0
		.amdhsa_system_vgpr_workitem_id 1
		.amdhsa_next_free_vgpr 30
		.amdhsa_next_free_sgpr 30
		.amdhsa_reserve_vcc 1
		.amdhsa_reserve_flat_scratch 0
		.amdhsa_float_round_mode_32 0
		.amdhsa_float_round_mode_16_64 0
		.amdhsa_float_denorm_mode_32 3
		.amdhsa_float_denorm_mode_16_64 3
		.amdhsa_dx10_clamp 1
		.amdhsa_ieee_mode 1
		.amdhsa_fp16_overflow 0
		.amdhsa_workgroup_processor_mode 1
		.amdhsa_memory_ordered 1
		.amdhsa_forward_progress 1
		.amdhsa_shared_vgpr_count 0
		.amdhsa_exception_fp_ieee_invalid_op 0
		.amdhsa_exception_fp_denorm_src 0
		.amdhsa_exception_fp_ieee_div_zero 0
		.amdhsa_exception_fp_ieee_overflow 0
		.amdhsa_exception_fp_ieee_underflow 0
		.amdhsa_exception_fp_ieee_inexact 0
		.amdhsa_exception_int_div_zero 0
	.end_amdhsa_kernel
	.section	.text._ZN12_GLOBAL__N_135rocblas_gemm_batched_general_kernelIDF16_Li16ELi16ELi32ELi32ELi8ELi32ELi8ELi8ELi32ELc84ELc84EKDF16_S1_DF16_EEvlllT_PT11_llS4_llS2_PT12_llPT13_lli,"axG",@progbits,_ZN12_GLOBAL__N_135rocblas_gemm_batched_general_kernelIDF16_Li16ELi16ELi32ELi32ELi8ELi32ELi8ELi8ELi32ELc84ELc84EKDF16_S1_DF16_EEvlllT_PT11_llS4_llS2_PT12_llPT13_lli,comdat
.Lfunc_end356:
	.size	_ZN12_GLOBAL__N_135rocblas_gemm_batched_general_kernelIDF16_Li16ELi16ELi32ELi32ELi8ELi32ELi8ELi8ELi32ELc84ELc84EKDF16_S1_DF16_EEvlllT_PT11_llS4_llS2_PT12_llPT13_lli, .Lfunc_end356-_ZN12_GLOBAL__N_135rocblas_gemm_batched_general_kernelIDF16_Li16ELi16ELi32ELi32ELi8ELi32ELi8ELi8ELi32ELc84ELc84EKDF16_S1_DF16_EEvlllT_PT11_llS4_llS2_PT12_llPT13_lli
                                        ; -- End function
	.set _ZN12_GLOBAL__N_135rocblas_gemm_batched_general_kernelIDF16_Li16ELi16ELi32ELi32ELi8ELi32ELi8ELi8ELi32ELc84ELc84EKDF16_S1_DF16_EEvlllT_PT11_llS4_llS2_PT12_llPT13_lli.num_vgpr, 30
	.set _ZN12_GLOBAL__N_135rocblas_gemm_batched_general_kernelIDF16_Li16ELi16ELi32ELi32ELi8ELi32ELi8ELi8ELi32ELc84ELc84EKDF16_S1_DF16_EEvlllT_PT11_llS4_llS2_PT12_llPT13_lli.num_agpr, 0
	.set _ZN12_GLOBAL__N_135rocblas_gemm_batched_general_kernelIDF16_Li16ELi16ELi32ELi32ELi8ELi32ELi8ELi8ELi32ELc84ELc84EKDF16_S1_DF16_EEvlllT_PT11_llS4_llS2_PT12_llPT13_lli.numbered_sgpr, 30
	.set _ZN12_GLOBAL__N_135rocblas_gemm_batched_general_kernelIDF16_Li16ELi16ELi32ELi32ELi8ELi32ELi8ELi8ELi32ELc84ELc84EKDF16_S1_DF16_EEvlllT_PT11_llS4_llS2_PT12_llPT13_lli.num_named_barrier, 0
	.set _ZN12_GLOBAL__N_135rocblas_gemm_batched_general_kernelIDF16_Li16ELi16ELi32ELi32ELi8ELi32ELi8ELi8ELi32ELc84ELc84EKDF16_S1_DF16_EEvlllT_PT11_llS4_llS2_PT12_llPT13_lli.private_seg_size, 0
	.set _ZN12_GLOBAL__N_135rocblas_gemm_batched_general_kernelIDF16_Li16ELi16ELi32ELi32ELi8ELi32ELi8ELi8ELi32ELc84ELc84EKDF16_S1_DF16_EEvlllT_PT11_llS4_llS2_PT12_llPT13_lli.uses_vcc, 1
	.set _ZN12_GLOBAL__N_135rocblas_gemm_batched_general_kernelIDF16_Li16ELi16ELi32ELi32ELi8ELi32ELi8ELi8ELi32ELc84ELc84EKDF16_S1_DF16_EEvlllT_PT11_llS4_llS2_PT12_llPT13_lli.uses_flat_scratch, 0
	.set _ZN12_GLOBAL__N_135rocblas_gemm_batched_general_kernelIDF16_Li16ELi16ELi32ELi32ELi8ELi32ELi8ELi8ELi32ELc84ELc84EKDF16_S1_DF16_EEvlllT_PT11_llS4_llS2_PT12_llPT13_lli.has_dyn_sized_stack, 0
	.set _ZN12_GLOBAL__N_135rocblas_gemm_batched_general_kernelIDF16_Li16ELi16ELi32ELi32ELi8ELi32ELi8ELi8ELi32ELc84ELc84EKDF16_S1_DF16_EEvlllT_PT11_llS4_llS2_PT12_llPT13_lli.has_recursion, 0
	.set _ZN12_GLOBAL__N_135rocblas_gemm_batched_general_kernelIDF16_Li16ELi16ELi32ELi32ELi8ELi32ELi8ELi8ELi32ELc84ELc84EKDF16_S1_DF16_EEvlllT_PT11_llS4_llS2_PT12_llPT13_lli.has_indirect_call, 0
	.section	.AMDGPU.csdata,"",@progbits
; Kernel info:
; codeLenInByte = 1940
; TotalNumSgprs: 32
; NumVgprs: 30
; ScratchSize: 0
; MemoryBound: 0
; FloatMode: 240
; IeeeMode: 1
; LDSByteSize: 1024 bytes/workgroup (compile time only)
; SGPRBlocks: 0
; VGPRBlocks: 3
; NumSGPRsForWavesPerEU: 32
; NumVGPRsForWavesPerEU: 30
; Occupancy: 16
; WaveLimiterHint : 0
; COMPUTE_PGM_RSRC2:SCRATCH_EN: 0
; COMPUTE_PGM_RSRC2:USER_SGPR: 6
; COMPUTE_PGM_RSRC2:TRAP_HANDLER: 0
; COMPUTE_PGM_RSRC2:TGID_X_EN: 1
; COMPUTE_PGM_RSRC2:TGID_Y_EN: 1
; COMPUTE_PGM_RSRC2:TGID_Z_EN: 1
; COMPUTE_PGM_RSRC2:TIDIG_COMP_CNT: 1
	.section	.text._ZN12_GLOBAL__N_135rocblas_gemm_batched_general_kernelIDF16_Li16ELi16ELi32ELi32ELi8ELi32ELi8ELi8ELi32ELc67ELc67EKDF16_S1_DF16_EEvlllT_PT11_llS4_llS2_PT12_llPT13_lli,"axG",@progbits,_ZN12_GLOBAL__N_135rocblas_gemm_batched_general_kernelIDF16_Li16ELi16ELi32ELi32ELi8ELi32ELi8ELi8ELi32ELc67ELc67EKDF16_S1_DF16_EEvlllT_PT11_llS4_llS2_PT12_llPT13_lli,comdat
	.globl	_ZN12_GLOBAL__N_135rocblas_gemm_batched_general_kernelIDF16_Li16ELi16ELi32ELi32ELi8ELi32ELi8ELi8ELi32ELc67ELc67EKDF16_S1_DF16_EEvlllT_PT11_llS4_llS2_PT12_llPT13_lli ; -- Begin function _ZN12_GLOBAL__N_135rocblas_gemm_batched_general_kernelIDF16_Li16ELi16ELi32ELi32ELi8ELi32ELi8ELi8ELi32ELc67ELc67EKDF16_S1_DF16_EEvlllT_PT11_llS4_llS2_PT12_llPT13_lli
	.p2align	8
	.type	_ZN12_GLOBAL__N_135rocblas_gemm_batched_general_kernelIDF16_Li16ELi16ELi32ELi32ELi8ELi32ELi8ELi8ELi32ELc67ELc67EKDF16_S1_DF16_EEvlllT_PT11_llS4_llS2_PT12_llPT13_lli,@function
_ZN12_GLOBAL__N_135rocblas_gemm_batched_general_kernelIDF16_Li16ELi16ELi32ELi32ELi8ELi32ELi8ELi8ELi32ELc67ELc67EKDF16_S1_DF16_EEvlllT_PT11_llS4_llS2_PT12_llPT13_lli: ; @_ZN12_GLOBAL__N_135rocblas_gemm_batched_general_kernelIDF16_Li16ELi16ELi32ELi32ELi8ELi32ELi8ELi8ELi32ELc67ELc67EKDF16_S1_DF16_EEvlllT_PT11_llS4_llS2_PT12_llPT13_lli
; %bb.0:
	s_clause 0x1
	s_load_dwordx2 s[10:11], s[4:5], 0x10
	s_load_dwordx4 s[20:23], s[4:5], 0x0
	s_mov_b32 s0, s7
	v_mov_b32_e32 v7, 0
	s_ashr_i32 s7, s6, 31
	s_ashr_i32 s1, s0, 31
	s_lshl_b64 s[6:7], s[6:7], 5
	s_waitcnt lgkmcnt(0)
	v_cmp_lt_i64_e64 s2, s[10:11], 1
	s_and_b32 vcc_lo, exec_lo, s2
	s_lshl_b64 s[2:3], s[0:1], 5
	s_cbranch_vccnz .LBB357_7
; %bb.1:
	s_load_dwordx4 s[24:27], s[4:5], 0x40
	v_lshlrev_b32_e32 v2, 4, v1
	v_and_b32_e32 v6, 7, v0
	s_load_dwordx8 s[12:19], s[4:5], 0x20
	v_mov_b32_e32 v3, s7
	s_lshl_b64 s[28:29], s[0:1], 6
	v_add_nc_u32_e32 v4, v2, v0
	v_add_nc_u32_e32 v10, 0x200, v2
	v_lshlrev_b32_e32 v8, 1, v6
	v_lshlrev_b32_e32 v9, 1, v0
	v_and_b32_e32 v12, 31, v4
	v_lshrrev_b32_e32 v15, 3, v4
	v_lshrrev_b32_e32 v11, 5, v4
	v_or_b32_e32 v2, s6, v12
	v_add_co_u32 v13, s0, v15, s2
	v_add_co_ci_u32_e64 v14, null, 0, s3, s0
	s_waitcnt lgkmcnt(0)
	v_mad_u64_u32 v[4:5], null, s24, v6, 0
	v_add_co_u32 v17, s0, s6, v12
	v_add_co_ci_u32_e64 v18, null, s7, 0, s0
	v_cmp_gt_i64_e64 s0, s[20:21], v[2:3]
	v_lshl_or_b32 v8, v15, 4, v8
	v_mad_u64_u32 v[2:3], null, s25, v6, v[5:6]
	v_cmp_gt_i64_e64 s1, s[22:23], v[13:14]
	v_mul_lo_u32 v14, s14, v18
	v_add_nc_u32_e32 v13, 0x200, v8
	v_mul_lo_u32 v8, s15, v17
	s_mul_i32 s9, s27, s8
	s_mul_hi_u32 s27, s26, s8
	v_mov_b32_e32 v5, v2
	v_mad_u64_u32 v[2:3], null, s14, v17, 0
	s_mul_i32 s26, s26, s8
	s_add_i32 s27, s27, s9
	v_lshlrev_b64 v[4:5], 1, v[4:5]
	s_lshl_b64 s[14:15], s[26:27], 1
	s_mul_i32 s9, s17, s8
	s_add_u32 s14, s28, s14
	v_add3_u32 v3, v3, v14, v8
	s_mul_hi_u32 s17, s16, s8
	s_addc_u32 s15, s29, s15
	v_add_co_u32 v4, vcc_lo, s14, v4
	v_lshlrev_b64 v[2:3], 1, v[2:3]
	v_add_co_ci_u32_e64 v5, null, s15, v5, vcc_lo
	s_add_i32 s15, s17, s9
	s_mul_i32 s14, s16, s8
	v_lshlrev_b32_e32 v8, 1, v15
	s_lshl_b64 s[14:15], s[14:15], 1
	v_lshlrev_b32_e32 v14, 1, v11
	v_add_co_u32 v2, vcc_lo, v2, s14
	v_add_co_ci_u32_e64 v3, null, s15, v3, vcc_lo
	v_add_co_u32 v4, vcc_lo, v4, v8
	v_add_co_ci_u32_e64 v5, null, 0, v5, vcc_lo
	v_add_co_u32 v8, vcc_lo, v2, v14
	v_lshlrev_b32_e32 v16, 1, v12
	v_add_co_ci_u32_e64 v14, null, 0, v3, vcc_lo
	v_add_co_u32 v2, vcc_lo, s18, v4
	v_add_co_ci_u32_e64 v3, null, s19, v5, vcc_lo
	v_add_co_u32 v4, vcc_lo, s12, v8
	v_lshl_or_b32 v12, v11, 6, v16
	v_add_co_ci_u32_e64 v5, null, s13, v14, vcc_lo
	v_mov_b32_e32 v8, 0
	s_lshl_b64 s[12:13], s[24:25], 4
	s_mov_b64 s[14:15], 0
	s_branch .LBB357_3
.LBB357_2:                              ;   in Loop: Header=BB357_3 Depth=1
	s_or_b32 exec_lo, exec_lo, s9
	s_waitcnt vmcnt(0)
	ds_write_b16 v13, v14
	s_waitcnt lgkmcnt(0)
	s_barrier
	buffer_gl0_inv
	ds_read_u16 v22, v9
	ds_read_u16 v23, v9 offset:64
	ds_read_u16 v24, v9 offset:128
	ds_read_u16 v25, v9 offset:192
	ds_read_u16 v26, v9 offset:256
	ds_read_u16 v27, v9 offset:320
	ds_read_u16 v28, v9 offset:384
	ds_read_u16 v29, v9 offset:448
	s_add_u32 s14, s14, 8
	s_addc_u32 s15, s15, 0
	v_add_co_u32 v2, vcc_lo, v2, s12
	v_cmp_lt_i64_e64 s9, s[14:15], s[10:11]
	v_add_co_ci_u32_e64 v3, null, s13, v3, vcc_lo
	v_add_co_u32 v4, vcc_lo, v4, 16
	v_add_co_ci_u32_e64 v5, null, 0, v5, vcc_lo
	s_and_b32 vcc_lo, exec_lo, s9
	s_waitcnt lgkmcnt(7)
	ds_read_u16_d16_hi v22, v9 offset:32
	ds_read_b128 v[14:17], v10
	ds_read_b128 v[18:21], v10 offset:256
	s_waitcnt lgkmcnt(9)
	ds_read_u16_d16_hi v23, v9 offset:96
	s_waitcnt lgkmcnt(9)
	ds_read_u16_d16_hi v24, v9 offset:160
	;; [unrolled: 2-line block ×7, first 2 shown]
	s_waitcnt lgkmcnt(0)
	s_barrier
	buffer_gl0_inv
	v_pk_fma_f16 v7, v22, v14, v7 op_sel_hi:[1,0,1]
	v_pk_fma_f16 v8, v22, v18, v8 op_sel_hi:[1,0,1]
	v_pk_fma_f16 v7, v23, v14, v7 op_sel:[0,1,0]
	v_pk_fma_f16 v8, v23, v18, v8 op_sel:[0,1,0]
	v_pk_fma_f16 v7, v24, v15, v7 op_sel_hi:[1,0,1]
	v_pk_fma_f16 v8, v24, v19, v8 op_sel_hi:[1,0,1]
	v_pk_fma_f16 v7, v25, v15, v7 op_sel:[0,1,0]
	v_pk_fma_f16 v8, v25, v19, v8 op_sel:[0,1,0]
	;; [unrolled: 4-line block ×4, first 2 shown]
	s_cbranch_vccz .LBB357_8
.LBB357_3:                              ; =>This Inner Loop Header: Depth=1
	v_add_co_u32 v14, s9, v11, s14
	v_add_co_ci_u32_e64 v15, null, 0, s15, s9
	v_cmp_gt_i64_e32 vcc_lo, s[10:11], v[14:15]
	v_mov_b32_e32 v14, 0
	v_mov_b32_e32 v15, 0
	s_and_b32 s16, s0, vcc_lo
	s_and_saveexec_b32 s9, s16
	s_cbranch_execz .LBB357_5
; %bb.4:                                ;   in Loop: Header=BB357_3 Depth=1
	global_load_ushort v15, v[4:5], off
.LBB357_5:                              ;   in Loop: Header=BB357_3 Depth=1
	s_or_b32 exec_lo, exec_lo, s9
	v_add_co_u32 v16, s9, v6, s14
	v_add_co_ci_u32_e64 v17, null, 0, s15, s9
	s_waitcnt vmcnt(0)
	ds_write_b16 v12, v15
	v_cmp_gt_i64_e32 vcc_lo, s[10:11], v[16:17]
	s_and_b32 s16, vcc_lo, s1
	s_and_saveexec_b32 s9, s16
	s_cbranch_execz .LBB357_2
; %bb.6:                                ;   in Loop: Header=BB357_3 Depth=1
	global_load_ushort v14, v[2:3], off
	s_branch .LBB357_2
.LBB357_7:
	v_mov_b32_e32 v8, 0
.LBB357_8:
	s_clause 0x3
	s_load_dwordx4 s[24:27], s[4:5], 0x78
	s_load_dword s9, s[4:5], 0x50
	s_load_dwordx8 s[12:19], s[4:5], 0x58
	s_load_dword s4, s[4:5], 0x18
	v_add_co_u32 v1, s0, s2, v1
	v_add_co_ci_u32_e64 v2, null, s3, 0, s0
	s_waitcnt lgkmcnt(0)
	s_mul_i32 s1, s27, s8
	s_mul_hi_u32 s2, s26, s8
	s_mul_i32 s0, s26, s8
	s_add_i32 s1, s2, s1
	v_cmp_neq_f16_e64 s2, s9, 0
	s_lshl_b64 s[10:11], s[0:1], 1
	v_cmp_gt_i64_e64 s0, s[22:23], v[1:2]
	s_add_u32 s3, s18, s10
	s_addc_u32 s5, s19, s11
	s_and_b32 vcc_lo, exec_lo, s2
	s_cbranch_vccnz .LBB357_21
; %bb.9:
	s_and_saveexec_b32 s10, s0
	s_cbranch_execz .LBB357_19
; %bb.10:
	v_mul_lo_u32 v5, v2, s24
	v_mul_lo_u32 v6, v1, s25
	v_mad_u64_u32 v[3:4], null, v1, s24, 0
	v_add3_u32 v4, v4, v6, v5
	v_add_co_u32 v5, s1, s6, v0
	v_add_co_ci_u32_e64 v6, null, s7, 0, s1
	v_lshlrev_b64 v[9:10], 1, v[3:4]
	v_cmp_gt_i64_e32 vcc_lo, s[20:21], v[5:6]
	v_lshlrev_b64 v[3:4], 1, v[5:6]
	v_add_co_u32 v9, s1, s3, v9
	v_add_co_ci_u32_e64 v10, null, s5, v10, s1
	s_and_saveexec_b32 s2, vcc_lo
	s_cbranch_execz .LBB357_12
; %bb.11:
	v_add_co_u32 v11, s1, v9, v3
	v_add_co_ci_u32_e64 v12, null, v10, v4, s1
	v_mul_f16_e32 v13, s4, v7
	global_store_short v[11:12], v13, off
.LBB357_12:
	s_or_b32 exec_lo, exec_lo, s2
	v_add_co_u32 v5, s1, v5, 16
	v_add_co_ci_u32_e64 v6, null, 0, v6, s1
	v_cmp_gt_i64_e64 s1, s[20:21], v[5:6]
	s_and_saveexec_b32 s11, s1
	s_cbranch_execz .LBB357_14
; %bb.13:
	v_add_co_u32 v5, s2, v9, v3
	v_add_co_ci_u32_e64 v6, null, v10, v4, s2
	v_mul_f16_sdwa v11, s4, v7 dst_sel:DWORD dst_unused:UNUSED_PAD src0_sel:DWORD src1_sel:WORD_1
	global_store_short v[5:6], v11, off offset:32
.LBB357_14:
	s_or_b32 exec_lo, exec_lo, s11
	v_add_co_u32 v5, s2, v1, 16
	v_add_co_ci_u32_e64 v6, null, 0, v2, s2
	v_cmp_gt_i64_e64 s2, s[22:23], v[5:6]
	s_and_b32 exec_lo, exec_lo, s2
	s_cbranch_execz .LBB357_19
; %bb.15:
	s_lshl_b64 s[18:19], s[24:25], 5
	v_add_co_u32 v5, s2, v9, s18
	v_add_co_ci_u32_e64 v6, null, s19, v10, s2
	v_add_co_u32 v3, s2, v5, v3
	v_add_co_ci_u32_e64 v4, null, v6, v4, s2
	s_and_saveexec_b32 s2, vcc_lo
	s_cbranch_execz .LBB357_17
; %bb.16:
	v_mul_f16_e32 v5, s4, v8
	global_store_short v[3:4], v5, off
.LBB357_17:
	s_or_b32 exec_lo, exec_lo, s2
	s_and_b32 exec_lo, exec_lo, s1
	s_cbranch_execz .LBB357_19
; %bb.18:
	v_mul_f16_sdwa v5, s4, v8 dst_sel:DWORD dst_unused:UNUSED_PAD src0_sel:DWORD src1_sel:WORD_1
	global_store_short v[3:4], v5, off offset:32
.LBB357_19:
	s_or_b32 exec_lo, exec_lo, s10
	s_cbranch_execz .LBB357_22
.LBB357_20:
	s_endpgm
.LBB357_21:
.LBB357_22:
	s_and_saveexec_b32 s1, s0
	s_cbranch_execz .LBB357_20
; %bb.23:
	v_mul_lo_u32 v5, v2, s14
	v_mul_lo_u32 v6, v1, s15
	v_mad_u64_u32 v[3:4], null, v1, s14, 0
	v_mul_lo_u32 v11, v2, s24
	v_mul_lo_u32 v12, v1, s25
	v_mad_u64_u32 v[9:10], null, v1, s24, 0
	s_mul_i32 s0, s17, s8
	s_mul_hi_u32 s1, s16, s8
	v_add3_u32 v4, v4, v6, v5
	s_add_i32 s1, s1, s0
	s_mul_i32 s0, s16, s8
	v_add_co_u32 v5, s2, s6, v0
	v_add3_u32 v10, v10, v12, v11
	v_lshlrev_b64 v[3:4], 1, v[3:4]
	s_lshl_b64 s[0:1], s[0:1], 1
	v_add_co_ci_u32_e64 v6, null, s7, 0, s2
	v_lshlrev_b64 v[10:11], 1, v[9:10]
	s_add_u32 s0, s12, s0
	s_addc_u32 s1, s13, s1
	v_add_co_u32 v0, s0, s0, v3
	v_add_co_ci_u32_e64 v9, null, s1, v4, s0
	v_add_co_u32 v10, s0, s3, v10
	v_cmp_gt_i64_e32 vcc_lo, s[20:21], v[5:6]
	v_lshlrev_b64 v[3:4], 1, v[5:6]
	v_add_co_ci_u32_e64 v11, null, s5, v11, s0
	s_and_saveexec_b32 s1, vcc_lo
	s_cbranch_execz .LBB357_25
; %bb.24:
	v_add_co_u32 v12, s0, v0, v3
	v_add_co_ci_u32_e64 v13, null, v9, v4, s0
	global_load_ushort v12, v[12:13], off
	s_waitcnt vmcnt(0)
	v_mul_f16_e32 v14, s9, v12
	v_add_co_u32 v12, s0, v10, v3
	v_add_co_ci_u32_e64 v13, null, v11, v4, s0
	v_fmac_f16_e32 v14, s4, v7
	global_store_short v[12:13], v14, off
.LBB357_25:
	s_or_b32 exec_lo, exec_lo, s1
	v_add_co_u32 v5, s0, v5, 16
	v_add_co_ci_u32_e64 v6, null, 0, v6, s0
	v_cmp_gt_i64_e64 s0, s[20:21], v[5:6]
	s_and_saveexec_b32 s2, s0
	s_cbranch_execz .LBB357_27
; %bb.26:
	v_add_co_u32 v5, s1, v0, v3
	v_add_co_ci_u32_e64 v6, null, v9, v4, s1
	global_load_ushort v5, v[5:6], off offset:32
	v_lshrrev_b32_e32 v6, 16, v7
	s_waitcnt vmcnt(0)
	v_mul_f16_e32 v7, s9, v5
	v_add_co_u32 v5, s1, v10, v3
	v_fmac_f16_e32 v7, s4, v6
	v_add_co_ci_u32_e64 v6, null, v11, v4, s1
	global_store_short v[5:6], v7, off offset:32
.LBB357_27:
	s_or_b32 exec_lo, exec_lo, s2
	v_add_co_u32 v1, s1, v1, 16
	v_add_co_ci_u32_e64 v2, null, 0, v2, s1
	v_cmp_gt_i64_e64 s1, s[22:23], v[1:2]
	s_and_b32 exec_lo, exec_lo, s1
	s_cbranch_execz .LBB357_20
; %bb.28:
	s_lshl_b64 s[2:3], s[14:15], 5
	v_add_co_u32 v0, s1, v0, s2
	v_add_co_ci_u32_e64 v1, null, s3, v9, s1
	s_lshl_b64 s[2:3], s[24:25], 5
	v_add_co_u32 v2, s1, v10, s2
	v_add_co_ci_u32_e64 v7, null, s3, v11, s1
	v_add_co_u32 v5, s1, v0, v3
	v_add_co_ci_u32_e64 v6, null, v1, v4, s1
	;; [unrolled: 2-line block ×3, first 2 shown]
	s_and_saveexec_b32 s1, vcc_lo
	s_cbranch_execz .LBB357_30
; %bb.29:
	global_load_ushort v2, v[5:6], off
	s_waitcnt vmcnt(0)
	v_mul_f16_e32 v2, s9, v2
	v_fmac_f16_e32 v2, s4, v8
	global_store_short v[0:1], v2, off
.LBB357_30:
	s_or_b32 exec_lo, exec_lo, s1
	s_and_b32 exec_lo, exec_lo, s0
	s_cbranch_execz .LBB357_20
; %bb.31:
	global_load_ushort v2, v[5:6], off offset:32
	v_lshrrev_b32_e32 v3, 16, v8
	s_waitcnt vmcnt(0)
	v_mul_f16_e32 v2, s9, v2
	v_fmac_f16_e32 v2, s4, v3
	global_store_short v[0:1], v2, off offset:32
	s_endpgm
	.section	.rodata,"a",@progbits
	.p2align	6, 0x0
	.amdhsa_kernel _ZN12_GLOBAL__N_135rocblas_gemm_batched_general_kernelIDF16_Li16ELi16ELi32ELi32ELi8ELi32ELi8ELi8ELi32ELc67ELc67EKDF16_S1_DF16_EEvlllT_PT11_llS4_llS2_PT12_llPT13_lli
		.amdhsa_group_segment_fixed_size 1024
		.amdhsa_private_segment_fixed_size 0
		.amdhsa_kernarg_size 140
		.amdhsa_user_sgpr_count 6
		.amdhsa_user_sgpr_private_segment_buffer 1
		.amdhsa_user_sgpr_dispatch_ptr 0
		.amdhsa_user_sgpr_queue_ptr 0
		.amdhsa_user_sgpr_kernarg_segment_ptr 1
		.amdhsa_user_sgpr_dispatch_id 0
		.amdhsa_user_sgpr_flat_scratch_init 0
		.amdhsa_user_sgpr_private_segment_size 0
		.amdhsa_wavefront_size32 1
		.amdhsa_uses_dynamic_stack 0
		.amdhsa_system_sgpr_private_segment_wavefront_offset 0
		.amdhsa_system_sgpr_workgroup_id_x 1
		.amdhsa_system_sgpr_workgroup_id_y 1
		.amdhsa_system_sgpr_workgroup_id_z 1
		.amdhsa_system_sgpr_workgroup_info 0
		.amdhsa_system_vgpr_workitem_id 1
		.amdhsa_next_free_vgpr 30
		.amdhsa_next_free_sgpr 30
		.amdhsa_reserve_vcc 1
		.amdhsa_reserve_flat_scratch 0
		.amdhsa_float_round_mode_32 0
		.amdhsa_float_round_mode_16_64 0
		.amdhsa_float_denorm_mode_32 3
		.amdhsa_float_denorm_mode_16_64 3
		.amdhsa_dx10_clamp 1
		.amdhsa_ieee_mode 1
		.amdhsa_fp16_overflow 0
		.amdhsa_workgroup_processor_mode 1
		.amdhsa_memory_ordered 1
		.amdhsa_forward_progress 1
		.amdhsa_shared_vgpr_count 0
		.amdhsa_exception_fp_ieee_invalid_op 0
		.amdhsa_exception_fp_denorm_src 0
		.amdhsa_exception_fp_ieee_div_zero 0
		.amdhsa_exception_fp_ieee_overflow 0
		.amdhsa_exception_fp_ieee_underflow 0
		.amdhsa_exception_fp_ieee_inexact 0
		.amdhsa_exception_int_div_zero 0
	.end_amdhsa_kernel
	.section	.text._ZN12_GLOBAL__N_135rocblas_gemm_batched_general_kernelIDF16_Li16ELi16ELi32ELi32ELi8ELi32ELi8ELi8ELi32ELc67ELc67EKDF16_S1_DF16_EEvlllT_PT11_llS4_llS2_PT12_llPT13_lli,"axG",@progbits,_ZN12_GLOBAL__N_135rocblas_gemm_batched_general_kernelIDF16_Li16ELi16ELi32ELi32ELi8ELi32ELi8ELi8ELi32ELc67ELc67EKDF16_S1_DF16_EEvlllT_PT11_llS4_llS2_PT12_llPT13_lli,comdat
.Lfunc_end357:
	.size	_ZN12_GLOBAL__N_135rocblas_gemm_batched_general_kernelIDF16_Li16ELi16ELi32ELi32ELi8ELi32ELi8ELi8ELi32ELc67ELc67EKDF16_S1_DF16_EEvlllT_PT11_llS4_llS2_PT12_llPT13_lli, .Lfunc_end357-_ZN12_GLOBAL__N_135rocblas_gemm_batched_general_kernelIDF16_Li16ELi16ELi32ELi32ELi8ELi32ELi8ELi8ELi32ELc67ELc67EKDF16_S1_DF16_EEvlllT_PT11_llS4_llS2_PT12_llPT13_lli
                                        ; -- End function
	.set _ZN12_GLOBAL__N_135rocblas_gemm_batched_general_kernelIDF16_Li16ELi16ELi32ELi32ELi8ELi32ELi8ELi8ELi32ELc67ELc67EKDF16_S1_DF16_EEvlllT_PT11_llS4_llS2_PT12_llPT13_lli.num_vgpr, 30
	.set _ZN12_GLOBAL__N_135rocblas_gemm_batched_general_kernelIDF16_Li16ELi16ELi32ELi32ELi8ELi32ELi8ELi8ELi32ELc67ELc67EKDF16_S1_DF16_EEvlllT_PT11_llS4_llS2_PT12_llPT13_lli.num_agpr, 0
	.set _ZN12_GLOBAL__N_135rocblas_gemm_batched_general_kernelIDF16_Li16ELi16ELi32ELi32ELi8ELi32ELi8ELi8ELi32ELc67ELc67EKDF16_S1_DF16_EEvlllT_PT11_llS4_llS2_PT12_llPT13_lli.numbered_sgpr, 30
	.set _ZN12_GLOBAL__N_135rocblas_gemm_batched_general_kernelIDF16_Li16ELi16ELi32ELi32ELi8ELi32ELi8ELi8ELi32ELc67ELc67EKDF16_S1_DF16_EEvlllT_PT11_llS4_llS2_PT12_llPT13_lli.num_named_barrier, 0
	.set _ZN12_GLOBAL__N_135rocblas_gemm_batched_general_kernelIDF16_Li16ELi16ELi32ELi32ELi8ELi32ELi8ELi8ELi32ELc67ELc67EKDF16_S1_DF16_EEvlllT_PT11_llS4_llS2_PT12_llPT13_lli.private_seg_size, 0
	.set _ZN12_GLOBAL__N_135rocblas_gemm_batched_general_kernelIDF16_Li16ELi16ELi32ELi32ELi8ELi32ELi8ELi8ELi32ELc67ELc67EKDF16_S1_DF16_EEvlllT_PT11_llS4_llS2_PT12_llPT13_lli.uses_vcc, 1
	.set _ZN12_GLOBAL__N_135rocblas_gemm_batched_general_kernelIDF16_Li16ELi16ELi32ELi32ELi8ELi32ELi8ELi8ELi32ELc67ELc67EKDF16_S1_DF16_EEvlllT_PT11_llS4_llS2_PT12_llPT13_lli.uses_flat_scratch, 0
	.set _ZN12_GLOBAL__N_135rocblas_gemm_batched_general_kernelIDF16_Li16ELi16ELi32ELi32ELi8ELi32ELi8ELi8ELi32ELc67ELc67EKDF16_S1_DF16_EEvlllT_PT11_llS4_llS2_PT12_llPT13_lli.has_dyn_sized_stack, 0
	.set _ZN12_GLOBAL__N_135rocblas_gemm_batched_general_kernelIDF16_Li16ELi16ELi32ELi32ELi8ELi32ELi8ELi8ELi32ELc67ELc67EKDF16_S1_DF16_EEvlllT_PT11_llS4_llS2_PT12_llPT13_lli.has_recursion, 0
	.set _ZN12_GLOBAL__N_135rocblas_gemm_batched_general_kernelIDF16_Li16ELi16ELi32ELi32ELi8ELi32ELi8ELi8ELi32ELc67ELc67EKDF16_S1_DF16_EEvlllT_PT11_llS4_llS2_PT12_llPT13_lli.has_indirect_call, 0
	.section	.AMDGPU.csdata,"",@progbits
; Kernel info:
; codeLenInByte = 1940
; TotalNumSgprs: 32
; NumVgprs: 30
; ScratchSize: 0
; MemoryBound: 0
; FloatMode: 240
; IeeeMode: 1
; LDSByteSize: 1024 bytes/workgroup (compile time only)
; SGPRBlocks: 0
; VGPRBlocks: 3
; NumSGPRsForWavesPerEU: 32
; NumVGPRsForWavesPerEU: 30
; Occupancy: 16
; WaveLimiterHint : 0
; COMPUTE_PGM_RSRC2:SCRATCH_EN: 0
; COMPUTE_PGM_RSRC2:USER_SGPR: 6
; COMPUTE_PGM_RSRC2:TRAP_HANDLER: 0
; COMPUTE_PGM_RSRC2:TGID_X_EN: 1
; COMPUTE_PGM_RSRC2:TGID_Y_EN: 1
; COMPUTE_PGM_RSRC2:TGID_Z_EN: 1
; COMPUTE_PGM_RSRC2:TIDIG_COMP_CNT: 1
	.section	.text._ZN12_GLOBAL__N_135rocblas_gemm_batched_general_kernelIDF16_Li16ELi16ELi32ELi32ELi8ELi32ELi8ELi8ELi32ELc67ELc78EKDF16_S1_DF16_EEvlllT_PT11_llS4_llS2_PT12_llPT13_lli,"axG",@progbits,_ZN12_GLOBAL__N_135rocblas_gemm_batched_general_kernelIDF16_Li16ELi16ELi32ELi32ELi8ELi32ELi8ELi8ELi32ELc67ELc78EKDF16_S1_DF16_EEvlllT_PT11_llS4_llS2_PT12_llPT13_lli,comdat
	.globl	_ZN12_GLOBAL__N_135rocblas_gemm_batched_general_kernelIDF16_Li16ELi16ELi32ELi32ELi8ELi32ELi8ELi8ELi32ELc67ELc78EKDF16_S1_DF16_EEvlllT_PT11_llS4_llS2_PT12_llPT13_lli ; -- Begin function _ZN12_GLOBAL__N_135rocblas_gemm_batched_general_kernelIDF16_Li16ELi16ELi32ELi32ELi8ELi32ELi8ELi8ELi32ELc67ELc78EKDF16_S1_DF16_EEvlllT_PT11_llS4_llS2_PT12_llPT13_lli
	.p2align	8
	.type	_ZN12_GLOBAL__N_135rocblas_gemm_batched_general_kernelIDF16_Li16ELi16ELi32ELi32ELi8ELi32ELi8ELi8ELi32ELc67ELc78EKDF16_S1_DF16_EEvlllT_PT11_llS4_llS2_PT12_llPT13_lli,@function
_ZN12_GLOBAL__N_135rocblas_gemm_batched_general_kernelIDF16_Li16ELi16ELi32ELi32ELi8ELi32ELi8ELi8ELi32ELc67ELc78EKDF16_S1_DF16_EEvlllT_PT11_llS4_llS2_PT12_llPT13_lli: ; @_ZN12_GLOBAL__N_135rocblas_gemm_batched_general_kernelIDF16_Li16ELi16ELi32ELi32ELi8ELi32ELi8ELi8ELi32ELc67ELc78EKDF16_S1_DF16_EEvlllT_PT11_llS4_llS2_PT12_llPT13_lli
; %bb.0:
	s_clause 0x1
	s_load_dwordx2 s[10:11], s[4:5], 0x10
	s_load_dwordx4 s[20:23], s[4:5], 0x0
	s_mov_b32 s0, s7
	v_mov_b32_e32 v7, 0
	s_ashr_i32 s7, s6, 31
	s_ashr_i32 s1, s0, 31
	s_lshl_b64 s[6:7], s[6:7], 5
	s_waitcnt lgkmcnt(0)
	v_cmp_lt_i64_e64 s2, s[10:11], 1
	s_and_b32 vcc_lo, exec_lo, s2
	s_lshl_b64 s[2:3], s[0:1], 5
	s_cbranch_vccnz .LBB358_7
; %bb.1:
	v_lshlrev_b32_e32 v8, 4, v1
	s_clause 0x1
	s_load_dwordx4 s[24:27], s[4:5], 0x40
	s_load_dwordx8 s[12:19], s[4:5], 0x20
	v_and_b32_e32 v6, 7, v0
	v_mov_b32_e32 v3, s7
	v_add_nc_u32_e32 v2, v8, v0
	v_lshlrev_b32_e32 v14, 1, v6
	v_and_b32_e32 v11, 31, v2
	v_lshrrev_b32_e32 v10, 3, v2
	v_lshrrev_b32_e32 v9, 5, v2
	v_lshlrev_b32_e32 v12, 1, v11
	v_add_co_u32 v4, s0, v10, s2
	v_or_b32_e32 v2, s6, v11
	v_add_co_ci_u32_e64 v5, null, 0, s3, s0
	v_lshl_or_b32 v13, v10, 4, v14
	v_lshl_or_b32 v10, v9, 6, v12
	v_add_co_u32 v12, s1, s6, v11
	v_add_co_ci_u32_e64 v17, null, s7, 0, s1
	v_cmp_gt_i64_e64 s0, s[20:21], v[2:3]
	s_waitcnt lgkmcnt(0)
	v_mul_lo_u32 v15, s25, v4
	v_mul_lo_u32 v16, s24, v5
	v_mad_u64_u32 v[2:3], null, s24, v4, 0
	v_cmp_gt_i64_e64 s1, s[22:23], v[4:5]
	v_mul_lo_u32 v18, s15, v12
	v_mul_lo_u32 v17, s14, v17
	v_mad_u64_u32 v[4:5], null, s14, v12, 0
	s_mul_i32 s9, s27, s8
	v_add3_u32 v3, v3, v16, v15
	s_mul_hi_u32 s14, s26, s8
	v_add_nc_u32_e32 v11, 0x200, v13
	s_add_i32 s15, s14, s9
	s_mul_i32 s14, s26, s8
	v_add3_u32 v5, v5, v17, v18
	v_lshlrev_b64 v[2:3], 1, v[2:3]
	s_lshl_b64 s[14:15], s[14:15], 1
	s_mul_i32 s9, s17, s8
	s_mul_hi_u32 s17, s16, s8
	v_lshlrev_b64 v[4:5], 1, v[4:5]
	s_add_i32 s17, s17, s9
	s_mul_i32 s16, s16, s8
	v_add_co_u32 v2, vcc_lo, v2, s14
	v_add_co_ci_u32_e64 v3, null, s15, v3, vcc_lo
	s_lshl_b64 s[14:15], s[16:17], 1
	v_add_nc_u32_e32 v13, 0x200, v8
	v_add_co_u32 v4, vcc_lo, v4, s14
	v_lshlrev_b32_e32 v8, 1, v9
	v_add_co_ci_u32_e64 v5, null, s15, v5, vcc_lo
	v_add_co_u32 v2, vcc_lo, v2, v14
	v_add_co_ci_u32_e64 v3, null, 0, v3, vcc_lo
	v_add_co_u32 v4, vcc_lo, v4, v8
	;; [unrolled: 2-line block ×4, first 2 shown]
	v_lshlrev_b32_e32 v12, 1, v0
	v_add_co_ci_u32_e64 v5, null, s13, v5, vcc_lo
	v_mov_b32_e32 v8, 0
	s_mov_b64 s[12:13], 0
	s_branch .LBB358_3
.LBB358_2:                              ;   in Loop: Header=BB358_3 Depth=1
	s_or_b32 exec_lo, exec_lo, s9
	s_waitcnt vmcnt(0)
	ds_write_b16 v11, v14
	s_waitcnt lgkmcnt(0)
	s_barrier
	buffer_gl0_inv
	ds_read_u16 v22, v12
	ds_read_u16 v23, v12 offset:64
	ds_read_u16 v24, v12 offset:128
	;; [unrolled: 1-line block ×7, first 2 shown]
	s_add_u32 s12, s12, 8
	s_addc_u32 s13, s13, 0
	v_add_co_u32 v2, vcc_lo, v2, 16
	v_cmp_lt_i64_e64 s9, s[12:13], s[10:11]
	v_add_co_ci_u32_e64 v3, null, 0, v3, vcc_lo
	v_add_co_u32 v4, vcc_lo, v4, 16
	v_add_co_ci_u32_e64 v5, null, 0, v5, vcc_lo
	s_and_b32 vcc_lo, exec_lo, s9
	s_waitcnt lgkmcnt(7)
	ds_read_u16_d16_hi v22, v12 offset:32
	ds_read_b128 v[14:17], v13
	ds_read_b128 v[18:21], v13 offset:256
	s_waitcnt lgkmcnt(9)
	ds_read_u16_d16_hi v23, v12 offset:96
	s_waitcnt lgkmcnt(9)
	ds_read_u16_d16_hi v24, v12 offset:160
	;; [unrolled: 2-line block ×7, first 2 shown]
	s_waitcnt lgkmcnt(0)
	s_barrier
	buffer_gl0_inv
	v_pk_fma_f16 v7, v22, v14, v7 op_sel_hi:[1,0,1]
	v_pk_fma_f16 v8, v22, v18, v8 op_sel_hi:[1,0,1]
	v_pk_fma_f16 v7, v23, v14, v7 op_sel:[0,1,0]
	v_pk_fma_f16 v8, v23, v18, v8 op_sel:[0,1,0]
	v_pk_fma_f16 v7, v24, v15, v7 op_sel_hi:[1,0,1]
	v_pk_fma_f16 v8, v24, v19, v8 op_sel_hi:[1,0,1]
	v_pk_fma_f16 v7, v25, v15, v7 op_sel:[0,1,0]
	v_pk_fma_f16 v8, v25, v19, v8 op_sel:[0,1,0]
	;; [unrolled: 4-line block ×4, first 2 shown]
	s_cbranch_vccz .LBB358_8
.LBB358_3:                              ; =>This Inner Loop Header: Depth=1
	v_add_co_u32 v14, s9, v9, s12
	v_add_co_ci_u32_e64 v15, null, 0, s13, s9
	v_cmp_gt_i64_e32 vcc_lo, s[10:11], v[14:15]
	v_mov_b32_e32 v14, 0
	v_mov_b32_e32 v15, 0
	s_and_b32 s14, s0, vcc_lo
	s_and_saveexec_b32 s9, s14
	s_cbranch_execz .LBB358_5
; %bb.4:                                ;   in Loop: Header=BB358_3 Depth=1
	global_load_ushort v15, v[4:5], off
.LBB358_5:                              ;   in Loop: Header=BB358_3 Depth=1
	s_or_b32 exec_lo, exec_lo, s9
	v_add_co_u32 v16, s9, v6, s12
	v_add_co_ci_u32_e64 v17, null, 0, s13, s9
	s_waitcnt vmcnt(0)
	ds_write_b16 v10, v15
	v_cmp_gt_i64_e32 vcc_lo, s[10:11], v[16:17]
	s_and_b32 s14, vcc_lo, s1
	s_and_saveexec_b32 s9, s14
	s_cbranch_execz .LBB358_2
; %bb.6:                                ;   in Loop: Header=BB358_3 Depth=1
	global_load_ushort v14, v[2:3], off
	s_branch .LBB358_2
.LBB358_7:
	v_mov_b32_e32 v8, 0
.LBB358_8:
	s_clause 0x3
	s_load_dwordx4 s[24:27], s[4:5], 0x78
	s_load_dword s9, s[4:5], 0x50
	s_load_dwordx8 s[12:19], s[4:5], 0x58
	s_load_dword s4, s[4:5], 0x18
	v_add_co_u32 v1, s0, s2, v1
	v_add_co_ci_u32_e64 v2, null, s3, 0, s0
	s_waitcnt lgkmcnt(0)
	s_mul_i32 s1, s27, s8
	s_mul_hi_u32 s2, s26, s8
	s_mul_i32 s0, s26, s8
	s_add_i32 s1, s2, s1
	v_cmp_neq_f16_e64 s2, s9, 0
	s_lshl_b64 s[10:11], s[0:1], 1
	v_cmp_gt_i64_e64 s0, s[22:23], v[1:2]
	s_add_u32 s3, s18, s10
	s_addc_u32 s5, s19, s11
	s_and_b32 vcc_lo, exec_lo, s2
	s_cbranch_vccnz .LBB358_21
; %bb.9:
	s_and_saveexec_b32 s10, s0
	s_cbranch_execz .LBB358_19
; %bb.10:
	v_mul_lo_u32 v5, v2, s24
	v_mul_lo_u32 v6, v1, s25
	v_mad_u64_u32 v[3:4], null, v1, s24, 0
	v_add3_u32 v4, v4, v6, v5
	v_add_co_u32 v5, s1, s6, v0
	v_add_co_ci_u32_e64 v6, null, s7, 0, s1
	v_lshlrev_b64 v[9:10], 1, v[3:4]
	v_cmp_gt_i64_e32 vcc_lo, s[20:21], v[5:6]
	v_lshlrev_b64 v[3:4], 1, v[5:6]
	v_add_co_u32 v9, s1, s3, v9
	v_add_co_ci_u32_e64 v10, null, s5, v10, s1
	s_and_saveexec_b32 s2, vcc_lo
	s_cbranch_execz .LBB358_12
; %bb.11:
	v_add_co_u32 v11, s1, v9, v3
	v_add_co_ci_u32_e64 v12, null, v10, v4, s1
	v_mul_f16_e32 v13, s4, v7
	global_store_short v[11:12], v13, off
.LBB358_12:
	s_or_b32 exec_lo, exec_lo, s2
	v_add_co_u32 v5, s1, v5, 16
	v_add_co_ci_u32_e64 v6, null, 0, v6, s1
	v_cmp_gt_i64_e64 s1, s[20:21], v[5:6]
	s_and_saveexec_b32 s11, s1
	s_cbranch_execz .LBB358_14
; %bb.13:
	v_add_co_u32 v5, s2, v9, v3
	v_add_co_ci_u32_e64 v6, null, v10, v4, s2
	v_mul_f16_sdwa v11, s4, v7 dst_sel:DWORD dst_unused:UNUSED_PAD src0_sel:DWORD src1_sel:WORD_1
	global_store_short v[5:6], v11, off offset:32
.LBB358_14:
	s_or_b32 exec_lo, exec_lo, s11
	v_add_co_u32 v5, s2, v1, 16
	v_add_co_ci_u32_e64 v6, null, 0, v2, s2
	v_cmp_gt_i64_e64 s2, s[22:23], v[5:6]
	s_and_b32 exec_lo, exec_lo, s2
	s_cbranch_execz .LBB358_19
; %bb.15:
	s_lshl_b64 s[18:19], s[24:25], 5
	v_add_co_u32 v5, s2, v9, s18
	v_add_co_ci_u32_e64 v6, null, s19, v10, s2
	v_add_co_u32 v3, s2, v5, v3
	v_add_co_ci_u32_e64 v4, null, v6, v4, s2
	s_and_saveexec_b32 s2, vcc_lo
	s_cbranch_execz .LBB358_17
; %bb.16:
	v_mul_f16_e32 v5, s4, v8
	global_store_short v[3:4], v5, off
.LBB358_17:
	s_or_b32 exec_lo, exec_lo, s2
	s_and_b32 exec_lo, exec_lo, s1
	s_cbranch_execz .LBB358_19
; %bb.18:
	v_mul_f16_sdwa v5, s4, v8 dst_sel:DWORD dst_unused:UNUSED_PAD src0_sel:DWORD src1_sel:WORD_1
	global_store_short v[3:4], v5, off offset:32
.LBB358_19:
	s_or_b32 exec_lo, exec_lo, s10
	s_cbranch_execz .LBB358_22
.LBB358_20:
	s_endpgm
.LBB358_21:
.LBB358_22:
	s_and_saveexec_b32 s1, s0
	s_cbranch_execz .LBB358_20
; %bb.23:
	v_mul_lo_u32 v5, v2, s14
	v_mul_lo_u32 v6, v1, s15
	v_mad_u64_u32 v[3:4], null, v1, s14, 0
	v_mul_lo_u32 v11, v2, s24
	v_mul_lo_u32 v12, v1, s25
	v_mad_u64_u32 v[9:10], null, v1, s24, 0
	s_mul_i32 s0, s17, s8
	s_mul_hi_u32 s1, s16, s8
	v_add3_u32 v4, v4, v6, v5
	s_add_i32 s1, s1, s0
	s_mul_i32 s0, s16, s8
	v_add_co_u32 v5, s2, s6, v0
	v_add3_u32 v10, v10, v12, v11
	v_lshlrev_b64 v[3:4], 1, v[3:4]
	s_lshl_b64 s[0:1], s[0:1], 1
	v_add_co_ci_u32_e64 v6, null, s7, 0, s2
	v_lshlrev_b64 v[10:11], 1, v[9:10]
	s_add_u32 s0, s12, s0
	s_addc_u32 s1, s13, s1
	v_add_co_u32 v0, s0, s0, v3
	v_add_co_ci_u32_e64 v9, null, s1, v4, s0
	v_add_co_u32 v10, s0, s3, v10
	v_cmp_gt_i64_e32 vcc_lo, s[20:21], v[5:6]
	v_lshlrev_b64 v[3:4], 1, v[5:6]
	v_add_co_ci_u32_e64 v11, null, s5, v11, s0
	s_and_saveexec_b32 s1, vcc_lo
	s_cbranch_execz .LBB358_25
; %bb.24:
	v_add_co_u32 v12, s0, v0, v3
	v_add_co_ci_u32_e64 v13, null, v9, v4, s0
	global_load_ushort v12, v[12:13], off
	s_waitcnt vmcnt(0)
	v_mul_f16_e32 v14, s9, v12
	v_add_co_u32 v12, s0, v10, v3
	v_add_co_ci_u32_e64 v13, null, v11, v4, s0
	v_fmac_f16_e32 v14, s4, v7
	global_store_short v[12:13], v14, off
.LBB358_25:
	s_or_b32 exec_lo, exec_lo, s1
	v_add_co_u32 v5, s0, v5, 16
	v_add_co_ci_u32_e64 v6, null, 0, v6, s0
	v_cmp_gt_i64_e64 s0, s[20:21], v[5:6]
	s_and_saveexec_b32 s2, s0
	s_cbranch_execz .LBB358_27
; %bb.26:
	v_add_co_u32 v5, s1, v0, v3
	v_add_co_ci_u32_e64 v6, null, v9, v4, s1
	global_load_ushort v5, v[5:6], off offset:32
	v_lshrrev_b32_e32 v6, 16, v7
	s_waitcnt vmcnt(0)
	v_mul_f16_e32 v7, s9, v5
	v_add_co_u32 v5, s1, v10, v3
	v_fmac_f16_e32 v7, s4, v6
	v_add_co_ci_u32_e64 v6, null, v11, v4, s1
	global_store_short v[5:6], v7, off offset:32
.LBB358_27:
	s_or_b32 exec_lo, exec_lo, s2
	v_add_co_u32 v1, s1, v1, 16
	v_add_co_ci_u32_e64 v2, null, 0, v2, s1
	v_cmp_gt_i64_e64 s1, s[22:23], v[1:2]
	s_and_b32 exec_lo, exec_lo, s1
	s_cbranch_execz .LBB358_20
; %bb.28:
	s_lshl_b64 s[2:3], s[14:15], 5
	v_add_co_u32 v0, s1, v0, s2
	v_add_co_ci_u32_e64 v1, null, s3, v9, s1
	s_lshl_b64 s[2:3], s[24:25], 5
	v_add_co_u32 v2, s1, v10, s2
	v_add_co_ci_u32_e64 v7, null, s3, v11, s1
	v_add_co_u32 v5, s1, v0, v3
	v_add_co_ci_u32_e64 v6, null, v1, v4, s1
	;; [unrolled: 2-line block ×3, first 2 shown]
	s_and_saveexec_b32 s1, vcc_lo
	s_cbranch_execz .LBB358_30
; %bb.29:
	global_load_ushort v2, v[5:6], off
	s_waitcnt vmcnt(0)
	v_mul_f16_e32 v2, s9, v2
	v_fmac_f16_e32 v2, s4, v8
	global_store_short v[0:1], v2, off
.LBB358_30:
	s_or_b32 exec_lo, exec_lo, s1
	s_and_b32 exec_lo, exec_lo, s0
	s_cbranch_execz .LBB358_20
; %bb.31:
	global_load_ushort v2, v[5:6], off offset:32
	v_lshrrev_b32_e32 v3, 16, v8
	s_waitcnt vmcnt(0)
	v_mul_f16_e32 v2, s9, v2
	v_fmac_f16_e32 v2, s4, v3
	global_store_short v[0:1], v2, off offset:32
	s_endpgm
	.section	.rodata,"a",@progbits
	.p2align	6, 0x0
	.amdhsa_kernel _ZN12_GLOBAL__N_135rocblas_gemm_batched_general_kernelIDF16_Li16ELi16ELi32ELi32ELi8ELi32ELi8ELi8ELi32ELc67ELc78EKDF16_S1_DF16_EEvlllT_PT11_llS4_llS2_PT12_llPT13_lli
		.amdhsa_group_segment_fixed_size 1024
		.amdhsa_private_segment_fixed_size 0
		.amdhsa_kernarg_size 140
		.amdhsa_user_sgpr_count 6
		.amdhsa_user_sgpr_private_segment_buffer 1
		.amdhsa_user_sgpr_dispatch_ptr 0
		.amdhsa_user_sgpr_queue_ptr 0
		.amdhsa_user_sgpr_kernarg_segment_ptr 1
		.amdhsa_user_sgpr_dispatch_id 0
		.amdhsa_user_sgpr_flat_scratch_init 0
		.amdhsa_user_sgpr_private_segment_size 0
		.amdhsa_wavefront_size32 1
		.amdhsa_uses_dynamic_stack 0
		.amdhsa_system_sgpr_private_segment_wavefront_offset 0
		.amdhsa_system_sgpr_workgroup_id_x 1
		.amdhsa_system_sgpr_workgroup_id_y 1
		.amdhsa_system_sgpr_workgroup_id_z 1
		.amdhsa_system_sgpr_workgroup_info 0
		.amdhsa_system_vgpr_workitem_id 1
		.amdhsa_next_free_vgpr 30
		.amdhsa_next_free_sgpr 28
		.amdhsa_reserve_vcc 1
		.amdhsa_reserve_flat_scratch 0
		.amdhsa_float_round_mode_32 0
		.amdhsa_float_round_mode_16_64 0
		.amdhsa_float_denorm_mode_32 3
		.amdhsa_float_denorm_mode_16_64 3
		.amdhsa_dx10_clamp 1
		.amdhsa_ieee_mode 1
		.amdhsa_fp16_overflow 0
		.amdhsa_workgroup_processor_mode 1
		.amdhsa_memory_ordered 1
		.amdhsa_forward_progress 1
		.amdhsa_shared_vgpr_count 0
		.amdhsa_exception_fp_ieee_invalid_op 0
		.amdhsa_exception_fp_denorm_src 0
		.amdhsa_exception_fp_ieee_div_zero 0
		.amdhsa_exception_fp_ieee_overflow 0
		.amdhsa_exception_fp_ieee_underflow 0
		.amdhsa_exception_fp_ieee_inexact 0
		.amdhsa_exception_int_div_zero 0
	.end_amdhsa_kernel
	.section	.text._ZN12_GLOBAL__N_135rocblas_gemm_batched_general_kernelIDF16_Li16ELi16ELi32ELi32ELi8ELi32ELi8ELi8ELi32ELc67ELc78EKDF16_S1_DF16_EEvlllT_PT11_llS4_llS2_PT12_llPT13_lli,"axG",@progbits,_ZN12_GLOBAL__N_135rocblas_gemm_batched_general_kernelIDF16_Li16ELi16ELi32ELi32ELi8ELi32ELi8ELi8ELi32ELc67ELc78EKDF16_S1_DF16_EEvlllT_PT11_llS4_llS2_PT12_llPT13_lli,comdat
.Lfunc_end358:
	.size	_ZN12_GLOBAL__N_135rocblas_gemm_batched_general_kernelIDF16_Li16ELi16ELi32ELi32ELi8ELi32ELi8ELi8ELi32ELc67ELc78EKDF16_S1_DF16_EEvlllT_PT11_llS4_llS2_PT12_llPT13_lli, .Lfunc_end358-_ZN12_GLOBAL__N_135rocblas_gemm_batched_general_kernelIDF16_Li16ELi16ELi32ELi32ELi8ELi32ELi8ELi8ELi32ELc67ELc78EKDF16_S1_DF16_EEvlllT_PT11_llS4_llS2_PT12_llPT13_lli
                                        ; -- End function
	.set _ZN12_GLOBAL__N_135rocblas_gemm_batched_general_kernelIDF16_Li16ELi16ELi32ELi32ELi8ELi32ELi8ELi8ELi32ELc67ELc78EKDF16_S1_DF16_EEvlllT_PT11_llS4_llS2_PT12_llPT13_lli.num_vgpr, 30
	.set _ZN12_GLOBAL__N_135rocblas_gemm_batched_general_kernelIDF16_Li16ELi16ELi32ELi32ELi8ELi32ELi8ELi8ELi32ELc67ELc78EKDF16_S1_DF16_EEvlllT_PT11_llS4_llS2_PT12_llPT13_lli.num_agpr, 0
	.set _ZN12_GLOBAL__N_135rocblas_gemm_batched_general_kernelIDF16_Li16ELi16ELi32ELi32ELi8ELi32ELi8ELi8ELi32ELc67ELc78EKDF16_S1_DF16_EEvlllT_PT11_llS4_llS2_PT12_llPT13_lli.numbered_sgpr, 28
	.set _ZN12_GLOBAL__N_135rocblas_gemm_batched_general_kernelIDF16_Li16ELi16ELi32ELi32ELi8ELi32ELi8ELi8ELi32ELc67ELc78EKDF16_S1_DF16_EEvlllT_PT11_llS4_llS2_PT12_llPT13_lli.num_named_barrier, 0
	.set _ZN12_GLOBAL__N_135rocblas_gemm_batched_general_kernelIDF16_Li16ELi16ELi32ELi32ELi8ELi32ELi8ELi8ELi32ELc67ELc78EKDF16_S1_DF16_EEvlllT_PT11_llS4_llS2_PT12_llPT13_lli.private_seg_size, 0
	.set _ZN12_GLOBAL__N_135rocblas_gemm_batched_general_kernelIDF16_Li16ELi16ELi32ELi32ELi8ELi32ELi8ELi8ELi32ELc67ELc78EKDF16_S1_DF16_EEvlllT_PT11_llS4_llS2_PT12_llPT13_lli.uses_vcc, 1
	.set _ZN12_GLOBAL__N_135rocblas_gemm_batched_general_kernelIDF16_Li16ELi16ELi32ELi32ELi8ELi32ELi8ELi8ELi32ELc67ELc78EKDF16_S1_DF16_EEvlllT_PT11_llS4_llS2_PT12_llPT13_lli.uses_flat_scratch, 0
	.set _ZN12_GLOBAL__N_135rocblas_gemm_batched_general_kernelIDF16_Li16ELi16ELi32ELi32ELi8ELi32ELi8ELi8ELi32ELc67ELc78EKDF16_S1_DF16_EEvlllT_PT11_llS4_llS2_PT12_llPT13_lli.has_dyn_sized_stack, 0
	.set _ZN12_GLOBAL__N_135rocblas_gemm_batched_general_kernelIDF16_Li16ELi16ELi32ELi32ELi8ELi32ELi8ELi8ELi32ELc67ELc78EKDF16_S1_DF16_EEvlllT_PT11_llS4_llS2_PT12_llPT13_lli.has_recursion, 0
	.set _ZN12_GLOBAL__N_135rocblas_gemm_batched_general_kernelIDF16_Li16ELi16ELi32ELi32ELi8ELi32ELi8ELi8ELi32ELc67ELc78EKDF16_S1_DF16_EEvlllT_PT11_llS4_llS2_PT12_llPT13_lli.has_indirect_call, 0
	.section	.AMDGPU.csdata,"",@progbits
; Kernel info:
; codeLenInByte = 1936
; TotalNumSgprs: 30
; NumVgprs: 30
; ScratchSize: 0
; MemoryBound: 0
; FloatMode: 240
; IeeeMode: 1
; LDSByteSize: 1024 bytes/workgroup (compile time only)
; SGPRBlocks: 0
; VGPRBlocks: 3
; NumSGPRsForWavesPerEU: 30
; NumVGPRsForWavesPerEU: 30
; Occupancy: 16
; WaveLimiterHint : 0
; COMPUTE_PGM_RSRC2:SCRATCH_EN: 0
; COMPUTE_PGM_RSRC2:USER_SGPR: 6
; COMPUTE_PGM_RSRC2:TRAP_HANDLER: 0
; COMPUTE_PGM_RSRC2:TGID_X_EN: 1
; COMPUTE_PGM_RSRC2:TGID_Y_EN: 1
; COMPUTE_PGM_RSRC2:TGID_Z_EN: 1
; COMPUTE_PGM_RSRC2:TIDIG_COMP_CNT: 1
	.section	.text._ZN12_GLOBAL__N_135rocblas_gemm_batched_general_kernelIDF16_Li16ELi16ELi32ELi32ELi8ELi32ELi8ELi8ELi32ELc67ELc84EKDF16_S1_DF16_EEvlllT_PT11_llS4_llS2_PT12_llPT13_lli,"axG",@progbits,_ZN12_GLOBAL__N_135rocblas_gemm_batched_general_kernelIDF16_Li16ELi16ELi32ELi32ELi8ELi32ELi8ELi8ELi32ELc67ELc84EKDF16_S1_DF16_EEvlllT_PT11_llS4_llS2_PT12_llPT13_lli,comdat
	.globl	_ZN12_GLOBAL__N_135rocblas_gemm_batched_general_kernelIDF16_Li16ELi16ELi32ELi32ELi8ELi32ELi8ELi8ELi32ELc67ELc84EKDF16_S1_DF16_EEvlllT_PT11_llS4_llS2_PT12_llPT13_lli ; -- Begin function _ZN12_GLOBAL__N_135rocblas_gemm_batched_general_kernelIDF16_Li16ELi16ELi32ELi32ELi8ELi32ELi8ELi8ELi32ELc67ELc84EKDF16_S1_DF16_EEvlllT_PT11_llS4_llS2_PT12_llPT13_lli
	.p2align	8
	.type	_ZN12_GLOBAL__N_135rocblas_gemm_batched_general_kernelIDF16_Li16ELi16ELi32ELi32ELi8ELi32ELi8ELi8ELi32ELc67ELc84EKDF16_S1_DF16_EEvlllT_PT11_llS4_llS2_PT12_llPT13_lli,@function
_ZN12_GLOBAL__N_135rocblas_gemm_batched_general_kernelIDF16_Li16ELi16ELi32ELi32ELi8ELi32ELi8ELi8ELi32ELc67ELc84EKDF16_S1_DF16_EEvlllT_PT11_llS4_llS2_PT12_llPT13_lli: ; @_ZN12_GLOBAL__N_135rocblas_gemm_batched_general_kernelIDF16_Li16ELi16ELi32ELi32ELi8ELi32ELi8ELi8ELi32ELc67ELc84EKDF16_S1_DF16_EEvlllT_PT11_llS4_llS2_PT12_llPT13_lli
; %bb.0:
	s_clause 0x1
	s_load_dwordx2 s[10:11], s[4:5], 0x10
	s_load_dwordx4 s[20:23], s[4:5], 0x0
	s_mov_b32 s0, s7
	v_mov_b32_e32 v7, 0
	s_ashr_i32 s7, s6, 31
	s_ashr_i32 s1, s0, 31
	s_lshl_b64 s[6:7], s[6:7], 5
	s_waitcnt lgkmcnt(0)
	v_cmp_lt_i64_e64 s2, s[10:11], 1
	s_and_b32 vcc_lo, exec_lo, s2
	s_lshl_b64 s[2:3], s[0:1], 5
	s_cbranch_vccnz .LBB359_7
; %bb.1:
	s_load_dwordx4 s[24:27], s[4:5], 0x40
	v_lshlrev_b32_e32 v2, 4, v1
	v_and_b32_e32 v6, 7, v0
	s_load_dwordx8 s[12:19], s[4:5], 0x20
	v_mov_b32_e32 v3, s7
	s_lshl_b64 s[28:29], s[0:1], 6
	v_add_nc_u32_e32 v4, v2, v0
	v_add_nc_u32_e32 v10, 0x200, v2
	v_lshlrev_b32_e32 v8, 1, v6
	v_lshlrev_b32_e32 v9, 1, v0
	v_and_b32_e32 v12, 31, v4
	v_lshrrev_b32_e32 v15, 3, v4
	v_lshrrev_b32_e32 v11, 5, v4
	v_or_b32_e32 v2, s6, v12
	v_add_co_u32 v13, s0, v15, s2
	v_add_co_ci_u32_e64 v14, null, 0, s3, s0
	s_waitcnt lgkmcnt(0)
	v_mad_u64_u32 v[4:5], null, s24, v6, 0
	v_add_co_u32 v17, s0, s6, v12
	v_add_co_ci_u32_e64 v18, null, s7, 0, s0
	v_cmp_gt_i64_e64 s0, s[20:21], v[2:3]
	v_lshl_or_b32 v8, v15, 4, v8
	v_mad_u64_u32 v[2:3], null, s25, v6, v[5:6]
	v_cmp_gt_i64_e64 s1, s[22:23], v[13:14]
	v_mul_lo_u32 v14, s14, v18
	v_add_nc_u32_e32 v13, 0x200, v8
	v_mul_lo_u32 v8, s15, v17
	s_mul_i32 s9, s27, s8
	s_mul_hi_u32 s27, s26, s8
	v_mov_b32_e32 v5, v2
	v_mad_u64_u32 v[2:3], null, s14, v17, 0
	s_mul_i32 s26, s26, s8
	s_add_i32 s27, s27, s9
	v_lshlrev_b64 v[4:5], 1, v[4:5]
	s_lshl_b64 s[14:15], s[26:27], 1
	s_mul_i32 s9, s17, s8
	s_add_u32 s14, s28, s14
	v_add3_u32 v3, v3, v14, v8
	s_mul_hi_u32 s17, s16, s8
	s_addc_u32 s15, s29, s15
	v_add_co_u32 v4, vcc_lo, s14, v4
	v_lshlrev_b64 v[2:3], 1, v[2:3]
	v_add_co_ci_u32_e64 v5, null, s15, v5, vcc_lo
	s_add_i32 s15, s17, s9
	s_mul_i32 s14, s16, s8
	v_lshlrev_b32_e32 v8, 1, v15
	s_lshl_b64 s[14:15], s[14:15], 1
	v_lshlrev_b32_e32 v14, 1, v11
	v_add_co_u32 v2, vcc_lo, v2, s14
	v_add_co_ci_u32_e64 v3, null, s15, v3, vcc_lo
	v_add_co_u32 v4, vcc_lo, v4, v8
	v_add_co_ci_u32_e64 v5, null, 0, v5, vcc_lo
	v_add_co_u32 v8, vcc_lo, v2, v14
	v_lshlrev_b32_e32 v16, 1, v12
	v_add_co_ci_u32_e64 v14, null, 0, v3, vcc_lo
	v_add_co_u32 v2, vcc_lo, s18, v4
	v_add_co_ci_u32_e64 v3, null, s19, v5, vcc_lo
	v_add_co_u32 v4, vcc_lo, s12, v8
	v_lshl_or_b32 v12, v11, 6, v16
	v_add_co_ci_u32_e64 v5, null, s13, v14, vcc_lo
	v_mov_b32_e32 v8, 0
	s_lshl_b64 s[12:13], s[24:25], 4
	s_mov_b64 s[14:15], 0
	s_branch .LBB359_3
.LBB359_2:                              ;   in Loop: Header=BB359_3 Depth=1
	s_or_b32 exec_lo, exec_lo, s9
	s_waitcnt vmcnt(0)
	ds_write_b16 v13, v14
	s_waitcnt lgkmcnt(0)
	s_barrier
	buffer_gl0_inv
	ds_read_u16 v22, v9
	ds_read_u16 v23, v9 offset:64
	ds_read_u16 v24, v9 offset:128
	;; [unrolled: 1-line block ×7, first 2 shown]
	s_add_u32 s14, s14, 8
	s_addc_u32 s15, s15, 0
	v_add_co_u32 v2, vcc_lo, v2, s12
	v_cmp_lt_i64_e64 s9, s[14:15], s[10:11]
	v_add_co_ci_u32_e64 v3, null, s13, v3, vcc_lo
	v_add_co_u32 v4, vcc_lo, v4, 16
	v_add_co_ci_u32_e64 v5, null, 0, v5, vcc_lo
	s_and_b32 vcc_lo, exec_lo, s9
	s_waitcnt lgkmcnt(7)
	ds_read_u16_d16_hi v22, v9 offset:32
	ds_read_b128 v[14:17], v10
	ds_read_b128 v[18:21], v10 offset:256
	s_waitcnt lgkmcnt(9)
	ds_read_u16_d16_hi v23, v9 offset:96
	s_waitcnt lgkmcnt(9)
	ds_read_u16_d16_hi v24, v9 offset:160
	;; [unrolled: 2-line block ×7, first 2 shown]
	s_waitcnt lgkmcnt(0)
	s_barrier
	buffer_gl0_inv
	v_pk_fma_f16 v7, v22, v14, v7 op_sel_hi:[1,0,1]
	v_pk_fma_f16 v8, v22, v18, v8 op_sel_hi:[1,0,1]
	v_pk_fma_f16 v7, v23, v14, v7 op_sel:[0,1,0]
	v_pk_fma_f16 v8, v23, v18, v8 op_sel:[0,1,0]
	v_pk_fma_f16 v7, v24, v15, v7 op_sel_hi:[1,0,1]
	v_pk_fma_f16 v8, v24, v19, v8 op_sel_hi:[1,0,1]
	v_pk_fma_f16 v7, v25, v15, v7 op_sel:[0,1,0]
	v_pk_fma_f16 v8, v25, v19, v8 op_sel:[0,1,0]
	;; [unrolled: 4-line block ×4, first 2 shown]
	s_cbranch_vccz .LBB359_8
.LBB359_3:                              ; =>This Inner Loop Header: Depth=1
	v_add_co_u32 v14, s9, v11, s14
	v_add_co_ci_u32_e64 v15, null, 0, s15, s9
	v_cmp_gt_i64_e32 vcc_lo, s[10:11], v[14:15]
	v_mov_b32_e32 v14, 0
	v_mov_b32_e32 v15, 0
	s_and_b32 s16, s0, vcc_lo
	s_and_saveexec_b32 s9, s16
	s_cbranch_execz .LBB359_5
; %bb.4:                                ;   in Loop: Header=BB359_3 Depth=1
	global_load_ushort v15, v[4:5], off
.LBB359_5:                              ;   in Loop: Header=BB359_3 Depth=1
	s_or_b32 exec_lo, exec_lo, s9
	v_add_co_u32 v16, s9, v6, s14
	v_add_co_ci_u32_e64 v17, null, 0, s15, s9
	s_waitcnt vmcnt(0)
	ds_write_b16 v12, v15
	v_cmp_gt_i64_e32 vcc_lo, s[10:11], v[16:17]
	s_and_b32 s16, vcc_lo, s1
	s_and_saveexec_b32 s9, s16
	s_cbranch_execz .LBB359_2
; %bb.6:                                ;   in Loop: Header=BB359_3 Depth=1
	global_load_ushort v14, v[2:3], off
	s_branch .LBB359_2
.LBB359_7:
	v_mov_b32_e32 v8, 0
.LBB359_8:
	s_clause 0x3
	s_load_dwordx4 s[24:27], s[4:5], 0x78
	s_load_dword s9, s[4:5], 0x50
	s_load_dwordx8 s[12:19], s[4:5], 0x58
	s_load_dword s4, s[4:5], 0x18
	v_add_co_u32 v1, s0, s2, v1
	v_add_co_ci_u32_e64 v2, null, s3, 0, s0
	s_waitcnt lgkmcnt(0)
	s_mul_i32 s1, s27, s8
	s_mul_hi_u32 s2, s26, s8
	s_mul_i32 s0, s26, s8
	s_add_i32 s1, s2, s1
	v_cmp_neq_f16_e64 s2, s9, 0
	s_lshl_b64 s[10:11], s[0:1], 1
	v_cmp_gt_i64_e64 s0, s[22:23], v[1:2]
	s_add_u32 s3, s18, s10
	s_addc_u32 s5, s19, s11
	s_and_b32 vcc_lo, exec_lo, s2
	s_cbranch_vccnz .LBB359_21
; %bb.9:
	s_and_saveexec_b32 s10, s0
	s_cbranch_execz .LBB359_19
; %bb.10:
	v_mul_lo_u32 v5, v2, s24
	v_mul_lo_u32 v6, v1, s25
	v_mad_u64_u32 v[3:4], null, v1, s24, 0
	v_add3_u32 v4, v4, v6, v5
	v_add_co_u32 v5, s1, s6, v0
	v_add_co_ci_u32_e64 v6, null, s7, 0, s1
	v_lshlrev_b64 v[9:10], 1, v[3:4]
	v_cmp_gt_i64_e32 vcc_lo, s[20:21], v[5:6]
	v_lshlrev_b64 v[3:4], 1, v[5:6]
	v_add_co_u32 v9, s1, s3, v9
	v_add_co_ci_u32_e64 v10, null, s5, v10, s1
	s_and_saveexec_b32 s2, vcc_lo
	s_cbranch_execz .LBB359_12
; %bb.11:
	v_add_co_u32 v11, s1, v9, v3
	v_add_co_ci_u32_e64 v12, null, v10, v4, s1
	v_mul_f16_e32 v13, s4, v7
	global_store_short v[11:12], v13, off
.LBB359_12:
	s_or_b32 exec_lo, exec_lo, s2
	v_add_co_u32 v5, s1, v5, 16
	v_add_co_ci_u32_e64 v6, null, 0, v6, s1
	v_cmp_gt_i64_e64 s1, s[20:21], v[5:6]
	s_and_saveexec_b32 s11, s1
	s_cbranch_execz .LBB359_14
; %bb.13:
	v_add_co_u32 v5, s2, v9, v3
	v_add_co_ci_u32_e64 v6, null, v10, v4, s2
	v_mul_f16_sdwa v11, s4, v7 dst_sel:DWORD dst_unused:UNUSED_PAD src0_sel:DWORD src1_sel:WORD_1
	global_store_short v[5:6], v11, off offset:32
.LBB359_14:
	s_or_b32 exec_lo, exec_lo, s11
	v_add_co_u32 v5, s2, v1, 16
	v_add_co_ci_u32_e64 v6, null, 0, v2, s2
	v_cmp_gt_i64_e64 s2, s[22:23], v[5:6]
	s_and_b32 exec_lo, exec_lo, s2
	s_cbranch_execz .LBB359_19
; %bb.15:
	s_lshl_b64 s[18:19], s[24:25], 5
	v_add_co_u32 v5, s2, v9, s18
	v_add_co_ci_u32_e64 v6, null, s19, v10, s2
	v_add_co_u32 v3, s2, v5, v3
	v_add_co_ci_u32_e64 v4, null, v6, v4, s2
	s_and_saveexec_b32 s2, vcc_lo
	s_cbranch_execz .LBB359_17
; %bb.16:
	v_mul_f16_e32 v5, s4, v8
	global_store_short v[3:4], v5, off
.LBB359_17:
	s_or_b32 exec_lo, exec_lo, s2
	s_and_b32 exec_lo, exec_lo, s1
	s_cbranch_execz .LBB359_19
; %bb.18:
	v_mul_f16_sdwa v5, s4, v8 dst_sel:DWORD dst_unused:UNUSED_PAD src0_sel:DWORD src1_sel:WORD_1
	global_store_short v[3:4], v5, off offset:32
.LBB359_19:
	s_or_b32 exec_lo, exec_lo, s10
	s_cbranch_execz .LBB359_22
.LBB359_20:
	s_endpgm
.LBB359_21:
.LBB359_22:
	s_and_saveexec_b32 s1, s0
	s_cbranch_execz .LBB359_20
; %bb.23:
	v_mul_lo_u32 v5, v2, s14
	v_mul_lo_u32 v6, v1, s15
	v_mad_u64_u32 v[3:4], null, v1, s14, 0
	v_mul_lo_u32 v11, v2, s24
	v_mul_lo_u32 v12, v1, s25
	v_mad_u64_u32 v[9:10], null, v1, s24, 0
	s_mul_i32 s0, s17, s8
	s_mul_hi_u32 s1, s16, s8
	v_add3_u32 v4, v4, v6, v5
	s_add_i32 s1, s1, s0
	s_mul_i32 s0, s16, s8
	v_add_co_u32 v5, s2, s6, v0
	v_add3_u32 v10, v10, v12, v11
	v_lshlrev_b64 v[3:4], 1, v[3:4]
	s_lshl_b64 s[0:1], s[0:1], 1
	v_add_co_ci_u32_e64 v6, null, s7, 0, s2
	v_lshlrev_b64 v[10:11], 1, v[9:10]
	s_add_u32 s0, s12, s0
	s_addc_u32 s1, s13, s1
	v_add_co_u32 v0, s0, s0, v3
	v_add_co_ci_u32_e64 v9, null, s1, v4, s0
	v_add_co_u32 v10, s0, s3, v10
	v_cmp_gt_i64_e32 vcc_lo, s[20:21], v[5:6]
	v_lshlrev_b64 v[3:4], 1, v[5:6]
	v_add_co_ci_u32_e64 v11, null, s5, v11, s0
	s_and_saveexec_b32 s1, vcc_lo
	s_cbranch_execz .LBB359_25
; %bb.24:
	v_add_co_u32 v12, s0, v0, v3
	v_add_co_ci_u32_e64 v13, null, v9, v4, s0
	global_load_ushort v12, v[12:13], off
	s_waitcnt vmcnt(0)
	v_mul_f16_e32 v14, s9, v12
	v_add_co_u32 v12, s0, v10, v3
	v_add_co_ci_u32_e64 v13, null, v11, v4, s0
	v_fmac_f16_e32 v14, s4, v7
	global_store_short v[12:13], v14, off
.LBB359_25:
	s_or_b32 exec_lo, exec_lo, s1
	v_add_co_u32 v5, s0, v5, 16
	v_add_co_ci_u32_e64 v6, null, 0, v6, s0
	v_cmp_gt_i64_e64 s0, s[20:21], v[5:6]
	s_and_saveexec_b32 s2, s0
	s_cbranch_execz .LBB359_27
; %bb.26:
	v_add_co_u32 v5, s1, v0, v3
	v_add_co_ci_u32_e64 v6, null, v9, v4, s1
	global_load_ushort v5, v[5:6], off offset:32
	v_lshrrev_b32_e32 v6, 16, v7
	s_waitcnt vmcnt(0)
	v_mul_f16_e32 v7, s9, v5
	v_add_co_u32 v5, s1, v10, v3
	v_fmac_f16_e32 v7, s4, v6
	v_add_co_ci_u32_e64 v6, null, v11, v4, s1
	global_store_short v[5:6], v7, off offset:32
.LBB359_27:
	s_or_b32 exec_lo, exec_lo, s2
	v_add_co_u32 v1, s1, v1, 16
	v_add_co_ci_u32_e64 v2, null, 0, v2, s1
	v_cmp_gt_i64_e64 s1, s[22:23], v[1:2]
	s_and_b32 exec_lo, exec_lo, s1
	s_cbranch_execz .LBB359_20
; %bb.28:
	s_lshl_b64 s[2:3], s[14:15], 5
	v_add_co_u32 v0, s1, v0, s2
	v_add_co_ci_u32_e64 v1, null, s3, v9, s1
	s_lshl_b64 s[2:3], s[24:25], 5
	v_add_co_u32 v2, s1, v10, s2
	v_add_co_ci_u32_e64 v7, null, s3, v11, s1
	v_add_co_u32 v5, s1, v0, v3
	v_add_co_ci_u32_e64 v6, null, v1, v4, s1
	;; [unrolled: 2-line block ×3, first 2 shown]
	s_and_saveexec_b32 s1, vcc_lo
	s_cbranch_execz .LBB359_30
; %bb.29:
	global_load_ushort v2, v[5:6], off
	s_waitcnt vmcnt(0)
	v_mul_f16_e32 v2, s9, v2
	v_fmac_f16_e32 v2, s4, v8
	global_store_short v[0:1], v2, off
.LBB359_30:
	s_or_b32 exec_lo, exec_lo, s1
	s_and_b32 exec_lo, exec_lo, s0
	s_cbranch_execz .LBB359_20
; %bb.31:
	global_load_ushort v2, v[5:6], off offset:32
	v_lshrrev_b32_e32 v3, 16, v8
	s_waitcnt vmcnt(0)
	v_mul_f16_e32 v2, s9, v2
	v_fmac_f16_e32 v2, s4, v3
	global_store_short v[0:1], v2, off offset:32
	s_endpgm
	.section	.rodata,"a",@progbits
	.p2align	6, 0x0
	.amdhsa_kernel _ZN12_GLOBAL__N_135rocblas_gemm_batched_general_kernelIDF16_Li16ELi16ELi32ELi32ELi8ELi32ELi8ELi8ELi32ELc67ELc84EKDF16_S1_DF16_EEvlllT_PT11_llS4_llS2_PT12_llPT13_lli
		.amdhsa_group_segment_fixed_size 1024
		.amdhsa_private_segment_fixed_size 0
		.amdhsa_kernarg_size 140
		.amdhsa_user_sgpr_count 6
		.amdhsa_user_sgpr_private_segment_buffer 1
		.amdhsa_user_sgpr_dispatch_ptr 0
		.amdhsa_user_sgpr_queue_ptr 0
		.amdhsa_user_sgpr_kernarg_segment_ptr 1
		.amdhsa_user_sgpr_dispatch_id 0
		.amdhsa_user_sgpr_flat_scratch_init 0
		.amdhsa_user_sgpr_private_segment_size 0
		.amdhsa_wavefront_size32 1
		.amdhsa_uses_dynamic_stack 0
		.amdhsa_system_sgpr_private_segment_wavefront_offset 0
		.amdhsa_system_sgpr_workgroup_id_x 1
		.amdhsa_system_sgpr_workgroup_id_y 1
		.amdhsa_system_sgpr_workgroup_id_z 1
		.amdhsa_system_sgpr_workgroup_info 0
		.amdhsa_system_vgpr_workitem_id 1
		.amdhsa_next_free_vgpr 30
		.amdhsa_next_free_sgpr 30
		.amdhsa_reserve_vcc 1
		.amdhsa_reserve_flat_scratch 0
		.amdhsa_float_round_mode_32 0
		.amdhsa_float_round_mode_16_64 0
		.amdhsa_float_denorm_mode_32 3
		.amdhsa_float_denorm_mode_16_64 3
		.amdhsa_dx10_clamp 1
		.amdhsa_ieee_mode 1
		.amdhsa_fp16_overflow 0
		.amdhsa_workgroup_processor_mode 1
		.amdhsa_memory_ordered 1
		.amdhsa_forward_progress 1
		.amdhsa_shared_vgpr_count 0
		.amdhsa_exception_fp_ieee_invalid_op 0
		.amdhsa_exception_fp_denorm_src 0
		.amdhsa_exception_fp_ieee_div_zero 0
		.amdhsa_exception_fp_ieee_overflow 0
		.amdhsa_exception_fp_ieee_underflow 0
		.amdhsa_exception_fp_ieee_inexact 0
		.amdhsa_exception_int_div_zero 0
	.end_amdhsa_kernel
	.section	.text._ZN12_GLOBAL__N_135rocblas_gemm_batched_general_kernelIDF16_Li16ELi16ELi32ELi32ELi8ELi32ELi8ELi8ELi32ELc67ELc84EKDF16_S1_DF16_EEvlllT_PT11_llS4_llS2_PT12_llPT13_lli,"axG",@progbits,_ZN12_GLOBAL__N_135rocblas_gemm_batched_general_kernelIDF16_Li16ELi16ELi32ELi32ELi8ELi32ELi8ELi8ELi32ELc67ELc84EKDF16_S1_DF16_EEvlllT_PT11_llS4_llS2_PT12_llPT13_lli,comdat
.Lfunc_end359:
	.size	_ZN12_GLOBAL__N_135rocblas_gemm_batched_general_kernelIDF16_Li16ELi16ELi32ELi32ELi8ELi32ELi8ELi8ELi32ELc67ELc84EKDF16_S1_DF16_EEvlllT_PT11_llS4_llS2_PT12_llPT13_lli, .Lfunc_end359-_ZN12_GLOBAL__N_135rocblas_gemm_batched_general_kernelIDF16_Li16ELi16ELi32ELi32ELi8ELi32ELi8ELi8ELi32ELc67ELc84EKDF16_S1_DF16_EEvlllT_PT11_llS4_llS2_PT12_llPT13_lli
                                        ; -- End function
	.set _ZN12_GLOBAL__N_135rocblas_gemm_batched_general_kernelIDF16_Li16ELi16ELi32ELi32ELi8ELi32ELi8ELi8ELi32ELc67ELc84EKDF16_S1_DF16_EEvlllT_PT11_llS4_llS2_PT12_llPT13_lli.num_vgpr, 30
	.set _ZN12_GLOBAL__N_135rocblas_gemm_batched_general_kernelIDF16_Li16ELi16ELi32ELi32ELi8ELi32ELi8ELi8ELi32ELc67ELc84EKDF16_S1_DF16_EEvlllT_PT11_llS4_llS2_PT12_llPT13_lli.num_agpr, 0
	.set _ZN12_GLOBAL__N_135rocblas_gemm_batched_general_kernelIDF16_Li16ELi16ELi32ELi32ELi8ELi32ELi8ELi8ELi32ELc67ELc84EKDF16_S1_DF16_EEvlllT_PT11_llS4_llS2_PT12_llPT13_lli.numbered_sgpr, 30
	.set _ZN12_GLOBAL__N_135rocblas_gemm_batched_general_kernelIDF16_Li16ELi16ELi32ELi32ELi8ELi32ELi8ELi8ELi32ELc67ELc84EKDF16_S1_DF16_EEvlllT_PT11_llS4_llS2_PT12_llPT13_lli.num_named_barrier, 0
	.set _ZN12_GLOBAL__N_135rocblas_gemm_batched_general_kernelIDF16_Li16ELi16ELi32ELi32ELi8ELi32ELi8ELi8ELi32ELc67ELc84EKDF16_S1_DF16_EEvlllT_PT11_llS4_llS2_PT12_llPT13_lli.private_seg_size, 0
	.set _ZN12_GLOBAL__N_135rocblas_gemm_batched_general_kernelIDF16_Li16ELi16ELi32ELi32ELi8ELi32ELi8ELi8ELi32ELc67ELc84EKDF16_S1_DF16_EEvlllT_PT11_llS4_llS2_PT12_llPT13_lli.uses_vcc, 1
	.set _ZN12_GLOBAL__N_135rocblas_gemm_batched_general_kernelIDF16_Li16ELi16ELi32ELi32ELi8ELi32ELi8ELi8ELi32ELc67ELc84EKDF16_S1_DF16_EEvlllT_PT11_llS4_llS2_PT12_llPT13_lli.uses_flat_scratch, 0
	.set _ZN12_GLOBAL__N_135rocblas_gemm_batched_general_kernelIDF16_Li16ELi16ELi32ELi32ELi8ELi32ELi8ELi8ELi32ELc67ELc84EKDF16_S1_DF16_EEvlllT_PT11_llS4_llS2_PT12_llPT13_lli.has_dyn_sized_stack, 0
	.set _ZN12_GLOBAL__N_135rocblas_gemm_batched_general_kernelIDF16_Li16ELi16ELi32ELi32ELi8ELi32ELi8ELi8ELi32ELc67ELc84EKDF16_S1_DF16_EEvlllT_PT11_llS4_llS2_PT12_llPT13_lli.has_recursion, 0
	.set _ZN12_GLOBAL__N_135rocblas_gemm_batched_general_kernelIDF16_Li16ELi16ELi32ELi32ELi8ELi32ELi8ELi8ELi32ELc67ELc84EKDF16_S1_DF16_EEvlllT_PT11_llS4_llS2_PT12_llPT13_lli.has_indirect_call, 0
	.section	.AMDGPU.csdata,"",@progbits
; Kernel info:
; codeLenInByte = 1940
; TotalNumSgprs: 32
; NumVgprs: 30
; ScratchSize: 0
; MemoryBound: 0
; FloatMode: 240
; IeeeMode: 1
; LDSByteSize: 1024 bytes/workgroup (compile time only)
; SGPRBlocks: 0
; VGPRBlocks: 3
; NumSGPRsForWavesPerEU: 32
; NumVGPRsForWavesPerEU: 30
; Occupancy: 16
; WaveLimiterHint : 0
; COMPUTE_PGM_RSRC2:SCRATCH_EN: 0
; COMPUTE_PGM_RSRC2:USER_SGPR: 6
; COMPUTE_PGM_RSRC2:TRAP_HANDLER: 0
; COMPUTE_PGM_RSRC2:TGID_X_EN: 1
; COMPUTE_PGM_RSRC2:TGID_Y_EN: 1
; COMPUTE_PGM_RSRC2:TGID_Z_EN: 1
; COMPUTE_PGM_RSRC2:TIDIG_COMP_CNT: 1
	.section	.text._ZN12_GLOBAL__N_135rocblas_gemm_batched_general_kernelIDF16_Li16ELi16ELi32ELi32ELi8ELi32ELi8ELi8ELi32ELc78ELc67EKDF16_S1_DF16_EEvlllT_PT11_llS4_llS2_PT12_llPT13_lli,"axG",@progbits,_ZN12_GLOBAL__N_135rocblas_gemm_batched_general_kernelIDF16_Li16ELi16ELi32ELi32ELi8ELi32ELi8ELi8ELi32ELc78ELc67EKDF16_S1_DF16_EEvlllT_PT11_llS4_llS2_PT12_llPT13_lli,comdat
	.globl	_ZN12_GLOBAL__N_135rocblas_gemm_batched_general_kernelIDF16_Li16ELi16ELi32ELi32ELi8ELi32ELi8ELi8ELi32ELc78ELc67EKDF16_S1_DF16_EEvlllT_PT11_llS4_llS2_PT12_llPT13_lli ; -- Begin function _ZN12_GLOBAL__N_135rocblas_gemm_batched_general_kernelIDF16_Li16ELi16ELi32ELi32ELi8ELi32ELi8ELi8ELi32ELc78ELc67EKDF16_S1_DF16_EEvlllT_PT11_llS4_llS2_PT12_llPT13_lli
	.p2align	8
	.type	_ZN12_GLOBAL__N_135rocblas_gemm_batched_general_kernelIDF16_Li16ELi16ELi32ELi32ELi8ELi32ELi8ELi8ELi32ELc78ELc67EKDF16_S1_DF16_EEvlllT_PT11_llS4_llS2_PT12_llPT13_lli,@function
_ZN12_GLOBAL__N_135rocblas_gemm_batched_general_kernelIDF16_Li16ELi16ELi32ELi32ELi8ELi32ELi8ELi8ELi32ELc78ELc67EKDF16_S1_DF16_EEvlllT_PT11_llS4_llS2_PT12_llPT13_lli: ; @_ZN12_GLOBAL__N_135rocblas_gemm_batched_general_kernelIDF16_Li16ELi16ELi32ELi32ELi8ELi32ELi8ELi8ELi32ELc78ELc67EKDF16_S1_DF16_EEvlllT_PT11_llS4_llS2_PT12_llPT13_lli
; %bb.0:
	s_clause 0x1
	s_load_dwordx2 s[28:29], s[4:5], 0x10
	s_load_dwordx4 s[20:23], s[4:5], 0x0
	s_mov_b32 s0, s7
	v_mov_b32_e32 v7, 0
	s_ashr_i32 s7, s6, 31
	s_ashr_i32 s1, s0, 31
	s_lshl_b64 s[10:11], s[6:7], 5
	s_waitcnt lgkmcnt(0)
	v_cmp_lt_i64_e64 s2, s[28:29], 1
	s_and_b32 vcc_lo, exec_lo, s2
	s_lshl_b64 s[2:3], s[0:1], 5
	s_cbranch_vccnz .LBB360_7
; %bb.1:
	s_load_dwordx4 s[24:27], s[4:5], 0x40
	v_lshlrev_b32_e32 v2, 4, v1
	s_load_dwordx8 s[12:19], s[4:5], 0x20
	v_and_b32_e32 v6, 7, v0
	v_mov_b32_e32 v3, s11
	s_lshl_b64 s[30:31], s[0:1], 6
	v_add_nc_u32_e32 v4, v2, v0
	v_add_nc_u32_e32 v10, 0x200, v2
	v_lshlrev_b32_e32 v8, 1, v6
	v_lshlrev_b32_e32 v9, 1, v0
	v_and_b32_e32 v5, 31, v4
	v_lshrrev_b32_e32 v11, 5, v4
	v_lshrrev_b32_e32 v12, 3, v4
	v_or_b32_e32 v2, s10, v5
	v_lshlrev_b32_e32 v17, 1, v5
	v_add_co_u32 v13, s0, v12, s2
	s_waitcnt lgkmcnt(0)
	v_mad_u64_u32 v[4:5], null, s24, v6, 0
	v_add_co_ci_u32_e64 v14, null, 0, s3, s0
	v_cmp_gt_i64_e64 s0, s[20:21], v[2:3]
	v_mad_u64_u32 v[15:16], null, s14, v11, 0
	s_mul_i32 s9, s27, s8
	v_mov_b32_e32 v2, v5
	s_mul_hi_u32 s27, s26, s8
	s_mul_i32 s26, s26, s8
	s_add_i32 s27, s27, s9
	s_mul_i32 s17, s17, s8
	v_mad_u64_u32 v[2:3], null, s25, v6, v[2:3]
	v_mov_b32_e32 v3, v16
	s_lshl_b64 s[26:27], s[26:27], 1
	s_mul_hi_u32 s33, s16, s8
	s_add_u32 s9, s30, s26
	s_mul_i32 s16, s16, s8
	s_addc_u32 s26, s31, s27
	v_mov_b32_e32 v5, v2
	v_mad_u64_u32 v[2:3], null, s15, v11, v[3:4]
	s_add_i32 s17, s33, s17
	v_lshlrev_b32_e32 v18, 1, v12
	v_lshlrev_b64 v[3:4], 1, v[4:5]
	s_lshl_b64 s[16:17], s[16:17], 1
	v_lshl_or_b32 v8, v12, 4, v8
	v_cmp_gt_i64_e64 s1, s[22:23], v[13:14]
	v_mov_b32_e32 v16, v2
	v_lshl_or_b32 v12, v11, 6, v17
	v_add_co_u32 v5, vcc_lo, s9, v3
	v_add_co_ci_u32_e64 v4, null, s26, v4, vcc_lo
	v_lshlrev_b64 v[2:3], 1, v[15:16]
	s_lshl_b64 s[26:27], s[6:7], 6
	s_lshl_b64 s[6:7], s[24:25], 4
	s_add_u32 s9, s26, s16
	s_addc_u32 s16, s27, s17
	v_add_nc_u32_e32 v13, 0x200, v8
	v_add_co_u32 v2, vcc_lo, s9, v2
	v_add_co_ci_u32_e64 v3, null, s16, v3, vcc_lo
	v_add_co_u32 v5, vcc_lo, v5, v18
	v_add_co_ci_u32_e64 v4, null, 0, v4, vcc_lo
	;; [unrolled: 2-line block ×5, first 2 shown]
	v_mov_b32_e32 v8, 0
	s_lshl_b64 s[12:13], s[14:15], 4
	s_mov_b64 s[14:15], 0
	s_branch .LBB360_3
.LBB360_2:                              ;   in Loop: Header=BB360_3 Depth=1
	s_or_b32 exec_lo, exec_lo, s9
	s_waitcnt vmcnt(0)
	ds_write_b16 v13, v14
	s_waitcnt lgkmcnt(0)
	s_barrier
	buffer_gl0_inv
	ds_read_u16 v22, v9
	ds_read_u16 v23, v9 offset:64
	ds_read_u16 v24, v9 offset:128
	ds_read_u16 v25, v9 offset:192
	ds_read_u16 v26, v9 offset:256
	ds_read_u16 v27, v9 offset:320
	ds_read_u16 v28, v9 offset:384
	ds_read_u16 v29, v9 offset:448
	s_add_u32 s14, s14, 8
	s_addc_u32 s15, s15, 0
	v_add_co_u32 v2, vcc_lo, v2, s6
	v_cmp_lt_i64_e64 s9, s[14:15], s[28:29]
	v_add_co_ci_u32_e64 v3, null, s7, v3, vcc_lo
	v_add_co_u32 v4, vcc_lo, v4, s12
	v_add_co_ci_u32_e64 v5, null, s13, v5, vcc_lo
	s_and_b32 vcc_lo, exec_lo, s9
	s_waitcnt lgkmcnt(7)
	ds_read_u16_d16_hi v22, v9 offset:32
	ds_read_b128 v[14:17], v10
	ds_read_b128 v[18:21], v10 offset:256
	s_waitcnt lgkmcnt(9)
	ds_read_u16_d16_hi v23, v9 offset:96
	s_waitcnt lgkmcnt(9)
	ds_read_u16_d16_hi v24, v9 offset:160
	s_waitcnt lgkmcnt(9)
	ds_read_u16_d16_hi v25, v9 offset:224
	s_waitcnt lgkmcnt(9)
	ds_read_u16_d16_hi v26, v9 offset:288
	s_waitcnt lgkmcnt(9)
	ds_read_u16_d16_hi v27, v9 offset:352
	s_waitcnt lgkmcnt(9)
	ds_read_u16_d16_hi v28, v9 offset:416
	s_waitcnt lgkmcnt(9)
	ds_read_u16_d16_hi v29, v9 offset:480
	s_waitcnt lgkmcnt(0)
	s_barrier
	buffer_gl0_inv
	v_pk_fma_f16 v7, v22, v14, v7 op_sel_hi:[1,0,1]
	v_pk_fma_f16 v8, v22, v18, v8 op_sel_hi:[1,0,1]
	v_pk_fma_f16 v7, v23, v14, v7 op_sel:[0,1,0]
	v_pk_fma_f16 v8, v23, v18, v8 op_sel:[0,1,0]
	v_pk_fma_f16 v7, v24, v15, v7 op_sel_hi:[1,0,1]
	v_pk_fma_f16 v8, v24, v19, v8 op_sel_hi:[1,0,1]
	v_pk_fma_f16 v7, v25, v15, v7 op_sel:[0,1,0]
	v_pk_fma_f16 v8, v25, v19, v8 op_sel:[0,1,0]
	;; [unrolled: 4-line block ×4, first 2 shown]
	s_cbranch_vccz .LBB360_8
.LBB360_3:                              ; =>This Inner Loop Header: Depth=1
	v_add_co_u32 v14, s9, v11, s14
	v_add_co_ci_u32_e64 v15, null, 0, s15, s9
	v_cmp_gt_i64_e32 vcc_lo, s[28:29], v[14:15]
	v_mov_b32_e32 v14, 0
	v_mov_b32_e32 v15, 0
	s_and_b32 s16, s0, vcc_lo
	s_and_saveexec_b32 s9, s16
	s_cbranch_execz .LBB360_5
; %bb.4:                                ;   in Loop: Header=BB360_3 Depth=1
	global_load_ushort v15, v[4:5], off
.LBB360_5:                              ;   in Loop: Header=BB360_3 Depth=1
	s_or_b32 exec_lo, exec_lo, s9
	v_add_co_u32 v16, s9, v6, s14
	v_add_co_ci_u32_e64 v17, null, 0, s15, s9
	s_waitcnt vmcnt(0)
	ds_write_b16 v12, v15
	v_cmp_gt_i64_e32 vcc_lo, s[28:29], v[16:17]
	s_and_b32 s16, vcc_lo, s1
	s_and_saveexec_b32 s9, s16
	s_cbranch_execz .LBB360_2
; %bb.6:                                ;   in Loop: Header=BB360_3 Depth=1
	global_load_ushort v14, v[2:3], off
	s_branch .LBB360_2
.LBB360_7:
	v_mov_b32_e32 v8, 0
.LBB360_8:
	s_clause 0x3
	s_load_dwordx4 s[24:27], s[4:5], 0x78
	s_load_dword s6, s[4:5], 0x50
	s_load_dwordx8 s[12:19], s[4:5], 0x58
	s_load_dword s4, s[4:5], 0x18
	v_add_co_u32 v1, s0, s2, v1
	v_add_co_ci_u32_e64 v2, null, s3, 0, s0
	s_waitcnt lgkmcnt(0)
	s_mul_i32 s1, s27, s8
	s_mul_hi_u32 s2, s26, s8
	s_mul_i32 s0, s26, s8
	s_add_i32 s1, s2, s1
	v_cmp_neq_f16_e64 s2, s6, 0
	s_lshl_b64 s[26:27], s[0:1], 1
	v_cmp_gt_i64_e64 s0, s[22:23], v[1:2]
	s_add_u32 s3, s18, s26
	s_addc_u32 s5, s19, s27
	s_and_b32 vcc_lo, exec_lo, s2
	s_cbranch_vccnz .LBB360_21
; %bb.9:
	s_and_saveexec_b32 s7, s0
	s_cbranch_execz .LBB360_19
; %bb.10:
	v_mul_lo_u32 v5, v2, s24
	v_mul_lo_u32 v6, v1, s25
	v_mad_u64_u32 v[3:4], null, v1, s24, 0
	v_add3_u32 v4, v4, v6, v5
	v_add_co_u32 v5, s1, s10, v0
	v_add_co_ci_u32_e64 v6, null, s11, 0, s1
	v_lshlrev_b64 v[9:10], 1, v[3:4]
	v_cmp_gt_i64_e32 vcc_lo, s[20:21], v[5:6]
	v_lshlrev_b64 v[3:4], 1, v[5:6]
	v_add_co_u32 v9, s1, s3, v9
	v_add_co_ci_u32_e64 v10, null, s5, v10, s1
	s_and_saveexec_b32 s2, vcc_lo
	s_cbranch_execz .LBB360_12
; %bb.11:
	v_add_co_u32 v11, s1, v9, v3
	v_add_co_ci_u32_e64 v12, null, v10, v4, s1
	v_mul_f16_e32 v13, s4, v7
	global_store_short v[11:12], v13, off
.LBB360_12:
	s_or_b32 exec_lo, exec_lo, s2
	v_add_co_u32 v5, s1, v5, 16
	v_add_co_ci_u32_e64 v6, null, 0, v6, s1
	v_cmp_gt_i64_e64 s1, s[20:21], v[5:6]
	s_and_saveexec_b32 s9, s1
	s_cbranch_execz .LBB360_14
; %bb.13:
	v_add_co_u32 v5, s2, v9, v3
	v_add_co_ci_u32_e64 v6, null, v10, v4, s2
	v_mul_f16_sdwa v11, s4, v7 dst_sel:DWORD dst_unused:UNUSED_PAD src0_sel:DWORD src1_sel:WORD_1
	global_store_short v[5:6], v11, off offset:32
.LBB360_14:
	s_or_b32 exec_lo, exec_lo, s9
	v_add_co_u32 v5, s2, v1, 16
	v_add_co_ci_u32_e64 v6, null, 0, v2, s2
	v_cmp_gt_i64_e64 s2, s[22:23], v[5:6]
	s_and_b32 exec_lo, exec_lo, s2
	s_cbranch_execz .LBB360_19
; %bb.15:
	s_lshl_b64 s[18:19], s[24:25], 5
	v_add_co_u32 v5, s2, v9, s18
	v_add_co_ci_u32_e64 v6, null, s19, v10, s2
	v_add_co_u32 v3, s2, v5, v3
	v_add_co_ci_u32_e64 v4, null, v6, v4, s2
	s_and_saveexec_b32 s2, vcc_lo
	s_cbranch_execz .LBB360_17
; %bb.16:
	v_mul_f16_e32 v5, s4, v8
	global_store_short v[3:4], v5, off
.LBB360_17:
	s_or_b32 exec_lo, exec_lo, s2
	s_and_b32 exec_lo, exec_lo, s1
	s_cbranch_execz .LBB360_19
; %bb.18:
	v_mul_f16_sdwa v5, s4, v8 dst_sel:DWORD dst_unused:UNUSED_PAD src0_sel:DWORD src1_sel:WORD_1
	global_store_short v[3:4], v5, off offset:32
.LBB360_19:
	s_or_b32 exec_lo, exec_lo, s7
	s_cbranch_execz .LBB360_22
.LBB360_20:
	s_endpgm
.LBB360_21:
.LBB360_22:
	s_and_saveexec_b32 s1, s0
	s_cbranch_execz .LBB360_20
; %bb.23:
	v_mul_lo_u32 v5, v2, s14
	v_mul_lo_u32 v6, v1, s15
	v_mad_u64_u32 v[3:4], null, v1, s14, 0
	v_mul_lo_u32 v11, v2, s24
	v_mul_lo_u32 v12, v1, s25
	v_mad_u64_u32 v[9:10], null, v1, s24, 0
	s_mul_i32 s0, s17, s8
	s_mul_hi_u32 s1, s16, s8
	v_add3_u32 v4, v4, v6, v5
	s_add_i32 s1, s1, s0
	s_mul_i32 s0, s16, s8
	v_add_co_u32 v5, s2, s10, v0
	v_add3_u32 v10, v10, v12, v11
	v_lshlrev_b64 v[3:4], 1, v[3:4]
	s_lshl_b64 s[0:1], s[0:1], 1
	v_add_co_ci_u32_e64 v6, null, s11, 0, s2
	v_lshlrev_b64 v[10:11], 1, v[9:10]
	s_add_u32 s0, s12, s0
	s_addc_u32 s1, s13, s1
	v_add_co_u32 v0, s0, s0, v3
	v_add_co_ci_u32_e64 v9, null, s1, v4, s0
	v_add_co_u32 v10, s0, s3, v10
	v_cmp_gt_i64_e32 vcc_lo, s[20:21], v[5:6]
	v_lshlrev_b64 v[3:4], 1, v[5:6]
	v_add_co_ci_u32_e64 v11, null, s5, v11, s0
	s_and_saveexec_b32 s1, vcc_lo
	s_cbranch_execz .LBB360_25
; %bb.24:
	v_add_co_u32 v12, s0, v0, v3
	v_add_co_ci_u32_e64 v13, null, v9, v4, s0
	global_load_ushort v12, v[12:13], off
	s_waitcnt vmcnt(0)
	v_mul_f16_e32 v14, s6, v12
	v_add_co_u32 v12, s0, v10, v3
	v_add_co_ci_u32_e64 v13, null, v11, v4, s0
	v_fmac_f16_e32 v14, s4, v7
	global_store_short v[12:13], v14, off
.LBB360_25:
	s_or_b32 exec_lo, exec_lo, s1
	v_add_co_u32 v5, s0, v5, 16
	v_add_co_ci_u32_e64 v6, null, 0, v6, s0
	v_cmp_gt_i64_e64 s0, s[20:21], v[5:6]
	s_and_saveexec_b32 s2, s0
	s_cbranch_execz .LBB360_27
; %bb.26:
	v_add_co_u32 v5, s1, v0, v3
	v_add_co_ci_u32_e64 v6, null, v9, v4, s1
	global_load_ushort v5, v[5:6], off offset:32
	v_lshrrev_b32_e32 v6, 16, v7
	s_waitcnt vmcnt(0)
	v_mul_f16_e32 v7, s6, v5
	v_add_co_u32 v5, s1, v10, v3
	v_fmac_f16_e32 v7, s4, v6
	v_add_co_ci_u32_e64 v6, null, v11, v4, s1
	global_store_short v[5:6], v7, off offset:32
.LBB360_27:
	s_or_b32 exec_lo, exec_lo, s2
	v_add_co_u32 v1, s1, v1, 16
	v_add_co_ci_u32_e64 v2, null, 0, v2, s1
	v_cmp_gt_i64_e64 s1, s[22:23], v[1:2]
	s_and_b32 exec_lo, exec_lo, s1
	s_cbranch_execz .LBB360_20
; %bb.28:
	s_lshl_b64 s[2:3], s[14:15], 5
	v_add_co_u32 v0, s1, v0, s2
	v_add_co_ci_u32_e64 v1, null, s3, v9, s1
	s_lshl_b64 s[2:3], s[24:25], 5
	v_add_co_u32 v2, s1, v10, s2
	v_add_co_ci_u32_e64 v7, null, s3, v11, s1
	v_add_co_u32 v5, s1, v0, v3
	v_add_co_ci_u32_e64 v6, null, v1, v4, s1
	;; [unrolled: 2-line block ×3, first 2 shown]
	s_and_saveexec_b32 s1, vcc_lo
	s_cbranch_execz .LBB360_30
; %bb.29:
	global_load_ushort v2, v[5:6], off
	s_waitcnt vmcnt(0)
	v_mul_f16_e32 v2, s6, v2
	v_fmac_f16_e32 v2, s4, v8
	global_store_short v[0:1], v2, off
.LBB360_30:
	s_or_b32 exec_lo, exec_lo, s1
	s_and_b32 exec_lo, exec_lo, s0
	s_cbranch_execz .LBB360_20
; %bb.31:
	global_load_ushort v2, v[5:6], off offset:32
	v_lshrrev_b32_e32 v3, 16, v8
	s_waitcnt vmcnt(0)
	v_mul_f16_e32 v2, s6, v2
	v_fmac_f16_e32 v2, s4, v3
	global_store_short v[0:1], v2, off offset:32
	s_endpgm
	.section	.rodata,"a",@progbits
	.p2align	6, 0x0
	.amdhsa_kernel _ZN12_GLOBAL__N_135rocblas_gemm_batched_general_kernelIDF16_Li16ELi16ELi32ELi32ELi8ELi32ELi8ELi8ELi32ELc78ELc67EKDF16_S1_DF16_EEvlllT_PT11_llS4_llS2_PT12_llPT13_lli
		.amdhsa_group_segment_fixed_size 1024
		.amdhsa_private_segment_fixed_size 0
		.amdhsa_kernarg_size 140
		.amdhsa_user_sgpr_count 6
		.amdhsa_user_sgpr_private_segment_buffer 1
		.amdhsa_user_sgpr_dispatch_ptr 0
		.amdhsa_user_sgpr_queue_ptr 0
		.amdhsa_user_sgpr_kernarg_segment_ptr 1
		.amdhsa_user_sgpr_dispatch_id 0
		.amdhsa_user_sgpr_flat_scratch_init 0
		.amdhsa_user_sgpr_private_segment_size 0
		.amdhsa_wavefront_size32 1
		.amdhsa_uses_dynamic_stack 0
		.amdhsa_system_sgpr_private_segment_wavefront_offset 0
		.amdhsa_system_sgpr_workgroup_id_x 1
		.amdhsa_system_sgpr_workgroup_id_y 1
		.amdhsa_system_sgpr_workgroup_id_z 1
		.amdhsa_system_sgpr_workgroup_info 0
		.amdhsa_system_vgpr_workitem_id 1
		.amdhsa_next_free_vgpr 30
		.amdhsa_next_free_sgpr 34
		.amdhsa_reserve_vcc 1
		.amdhsa_reserve_flat_scratch 0
		.amdhsa_float_round_mode_32 0
		.amdhsa_float_round_mode_16_64 0
		.amdhsa_float_denorm_mode_32 3
		.amdhsa_float_denorm_mode_16_64 3
		.amdhsa_dx10_clamp 1
		.amdhsa_ieee_mode 1
		.amdhsa_fp16_overflow 0
		.amdhsa_workgroup_processor_mode 1
		.amdhsa_memory_ordered 1
		.amdhsa_forward_progress 1
		.amdhsa_shared_vgpr_count 0
		.amdhsa_exception_fp_ieee_invalid_op 0
		.amdhsa_exception_fp_denorm_src 0
		.amdhsa_exception_fp_ieee_div_zero 0
		.amdhsa_exception_fp_ieee_overflow 0
		.amdhsa_exception_fp_ieee_underflow 0
		.amdhsa_exception_fp_ieee_inexact 0
		.amdhsa_exception_int_div_zero 0
	.end_amdhsa_kernel
	.section	.text._ZN12_GLOBAL__N_135rocblas_gemm_batched_general_kernelIDF16_Li16ELi16ELi32ELi32ELi8ELi32ELi8ELi8ELi32ELc78ELc67EKDF16_S1_DF16_EEvlllT_PT11_llS4_llS2_PT12_llPT13_lli,"axG",@progbits,_ZN12_GLOBAL__N_135rocblas_gemm_batched_general_kernelIDF16_Li16ELi16ELi32ELi32ELi8ELi32ELi8ELi8ELi32ELc78ELc67EKDF16_S1_DF16_EEvlllT_PT11_llS4_llS2_PT12_llPT13_lli,comdat
.Lfunc_end360:
	.size	_ZN12_GLOBAL__N_135rocblas_gemm_batched_general_kernelIDF16_Li16ELi16ELi32ELi32ELi8ELi32ELi8ELi8ELi32ELc78ELc67EKDF16_S1_DF16_EEvlllT_PT11_llS4_llS2_PT12_llPT13_lli, .Lfunc_end360-_ZN12_GLOBAL__N_135rocblas_gemm_batched_general_kernelIDF16_Li16ELi16ELi32ELi32ELi8ELi32ELi8ELi8ELi32ELc78ELc67EKDF16_S1_DF16_EEvlllT_PT11_llS4_llS2_PT12_llPT13_lli
                                        ; -- End function
	.set _ZN12_GLOBAL__N_135rocblas_gemm_batched_general_kernelIDF16_Li16ELi16ELi32ELi32ELi8ELi32ELi8ELi8ELi32ELc78ELc67EKDF16_S1_DF16_EEvlllT_PT11_llS4_llS2_PT12_llPT13_lli.num_vgpr, 30
	.set _ZN12_GLOBAL__N_135rocblas_gemm_batched_general_kernelIDF16_Li16ELi16ELi32ELi32ELi8ELi32ELi8ELi8ELi32ELc78ELc67EKDF16_S1_DF16_EEvlllT_PT11_llS4_llS2_PT12_llPT13_lli.num_agpr, 0
	.set _ZN12_GLOBAL__N_135rocblas_gemm_batched_general_kernelIDF16_Li16ELi16ELi32ELi32ELi8ELi32ELi8ELi8ELi32ELc78ELc67EKDF16_S1_DF16_EEvlllT_PT11_llS4_llS2_PT12_llPT13_lli.numbered_sgpr, 34
	.set _ZN12_GLOBAL__N_135rocblas_gemm_batched_general_kernelIDF16_Li16ELi16ELi32ELi32ELi8ELi32ELi8ELi8ELi32ELc78ELc67EKDF16_S1_DF16_EEvlllT_PT11_llS4_llS2_PT12_llPT13_lli.num_named_barrier, 0
	.set _ZN12_GLOBAL__N_135rocblas_gemm_batched_general_kernelIDF16_Li16ELi16ELi32ELi32ELi8ELi32ELi8ELi8ELi32ELc78ELc67EKDF16_S1_DF16_EEvlllT_PT11_llS4_llS2_PT12_llPT13_lli.private_seg_size, 0
	.set _ZN12_GLOBAL__N_135rocblas_gemm_batched_general_kernelIDF16_Li16ELi16ELi32ELi32ELi8ELi32ELi8ELi8ELi32ELc78ELc67EKDF16_S1_DF16_EEvlllT_PT11_llS4_llS2_PT12_llPT13_lli.uses_vcc, 1
	.set _ZN12_GLOBAL__N_135rocblas_gemm_batched_general_kernelIDF16_Li16ELi16ELi32ELi32ELi8ELi32ELi8ELi8ELi32ELc78ELc67EKDF16_S1_DF16_EEvlllT_PT11_llS4_llS2_PT12_llPT13_lli.uses_flat_scratch, 0
	.set _ZN12_GLOBAL__N_135rocblas_gemm_batched_general_kernelIDF16_Li16ELi16ELi32ELi32ELi8ELi32ELi8ELi8ELi32ELc78ELc67EKDF16_S1_DF16_EEvlllT_PT11_llS4_llS2_PT12_llPT13_lli.has_dyn_sized_stack, 0
	.set _ZN12_GLOBAL__N_135rocblas_gemm_batched_general_kernelIDF16_Li16ELi16ELi32ELi32ELi8ELi32ELi8ELi8ELi32ELc78ELc67EKDF16_S1_DF16_EEvlllT_PT11_llS4_llS2_PT12_llPT13_lli.has_recursion, 0
	.set _ZN12_GLOBAL__N_135rocblas_gemm_batched_general_kernelIDF16_Li16ELi16ELi32ELi32ELi8ELi32ELi8ELi8ELi32ELc78ELc67EKDF16_S1_DF16_EEvlllT_PT11_llS4_llS2_PT12_llPT13_lli.has_indirect_call, 0
	.section	.AMDGPU.csdata,"",@progbits
; Kernel info:
; codeLenInByte = 1932
; TotalNumSgprs: 36
; NumVgprs: 30
; ScratchSize: 0
; MemoryBound: 0
; FloatMode: 240
; IeeeMode: 1
; LDSByteSize: 1024 bytes/workgroup (compile time only)
; SGPRBlocks: 0
; VGPRBlocks: 3
; NumSGPRsForWavesPerEU: 36
; NumVGPRsForWavesPerEU: 30
; Occupancy: 16
; WaveLimiterHint : 0
; COMPUTE_PGM_RSRC2:SCRATCH_EN: 0
; COMPUTE_PGM_RSRC2:USER_SGPR: 6
; COMPUTE_PGM_RSRC2:TRAP_HANDLER: 0
; COMPUTE_PGM_RSRC2:TGID_X_EN: 1
; COMPUTE_PGM_RSRC2:TGID_Y_EN: 1
; COMPUTE_PGM_RSRC2:TGID_Z_EN: 1
; COMPUTE_PGM_RSRC2:TIDIG_COMP_CNT: 1
	.section	.text._ZN12_GLOBAL__N_135rocblas_gemm_batched_general_kernelIDF16_Li16ELi16ELi32ELi32ELi8ELi32ELi8ELi8ELi32ELc84ELc67EKDF16_S1_DF16_EEvlllT_PT11_llS4_llS2_PT12_llPT13_lli,"axG",@progbits,_ZN12_GLOBAL__N_135rocblas_gemm_batched_general_kernelIDF16_Li16ELi16ELi32ELi32ELi8ELi32ELi8ELi8ELi32ELc84ELc67EKDF16_S1_DF16_EEvlllT_PT11_llS4_llS2_PT12_llPT13_lli,comdat
	.globl	_ZN12_GLOBAL__N_135rocblas_gemm_batched_general_kernelIDF16_Li16ELi16ELi32ELi32ELi8ELi32ELi8ELi8ELi32ELc84ELc67EKDF16_S1_DF16_EEvlllT_PT11_llS4_llS2_PT12_llPT13_lli ; -- Begin function _ZN12_GLOBAL__N_135rocblas_gemm_batched_general_kernelIDF16_Li16ELi16ELi32ELi32ELi8ELi32ELi8ELi8ELi32ELc84ELc67EKDF16_S1_DF16_EEvlllT_PT11_llS4_llS2_PT12_llPT13_lli
	.p2align	8
	.type	_ZN12_GLOBAL__N_135rocblas_gemm_batched_general_kernelIDF16_Li16ELi16ELi32ELi32ELi8ELi32ELi8ELi8ELi32ELc84ELc67EKDF16_S1_DF16_EEvlllT_PT11_llS4_llS2_PT12_llPT13_lli,@function
_ZN12_GLOBAL__N_135rocblas_gemm_batched_general_kernelIDF16_Li16ELi16ELi32ELi32ELi8ELi32ELi8ELi8ELi32ELc84ELc67EKDF16_S1_DF16_EEvlllT_PT11_llS4_llS2_PT12_llPT13_lli: ; @_ZN12_GLOBAL__N_135rocblas_gemm_batched_general_kernelIDF16_Li16ELi16ELi32ELi32ELi8ELi32ELi8ELi8ELi32ELc84ELc67EKDF16_S1_DF16_EEvlllT_PT11_llS4_llS2_PT12_llPT13_lli
; %bb.0:
	s_clause 0x1
	s_load_dwordx2 s[10:11], s[4:5], 0x10
	s_load_dwordx4 s[20:23], s[4:5], 0x0
	s_mov_b32 s0, s7
	v_mov_b32_e32 v7, 0
	s_ashr_i32 s7, s6, 31
	s_ashr_i32 s1, s0, 31
	s_lshl_b64 s[6:7], s[6:7], 5
	s_waitcnt lgkmcnt(0)
	v_cmp_lt_i64_e64 s2, s[10:11], 1
	s_and_b32 vcc_lo, exec_lo, s2
	s_lshl_b64 s[2:3], s[0:1], 5
	s_cbranch_vccnz .LBB361_7
; %bb.1:
	s_load_dwordx4 s[24:27], s[4:5], 0x40
	v_lshlrev_b32_e32 v2, 4, v1
	v_and_b32_e32 v6, 7, v0
	s_load_dwordx8 s[12:19], s[4:5], 0x20
	v_mov_b32_e32 v3, s7
	s_lshl_b64 s[28:29], s[0:1], 6
	v_add_nc_u32_e32 v4, v2, v0
	v_add_nc_u32_e32 v10, 0x200, v2
	v_lshlrev_b32_e32 v8, 1, v6
	v_lshlrev_b32_e32 v9, 1, v0
	v_and_b32_e32 v12, 31, v4
	v_lshrrev_b32_e32 v15, 3, v4
	v_lshrrev_b32_e32 v11, 5, v4
	v_or_b32_e32 v2, s6, v12
	v_add_co_u32 v13, s0, v15, s2
	v_add_co_ci_u32_e64 v14, null, 0, s3, s0
	s_waitcnt lgkmcnt(0)
	v_mad_u64_u32 v[4:5], null, s24, v6, 0
	v_add_co_u32 v17, s0, s6, v12
	v_add_co_ci_u32_e64 v18, null, s7, 0, s0
	v_cmp_gt_i64_e64 s0, s[20:21], v[2:3]
	v_lshl_or_b32 v8, v15, 4, v8
	v_mad_u64_u32 v[2:3], null, s25, v6, v[5:6]
	v_cmp_gt_i64_e64 s1, s[22:23], v[13:14]
	v_mul_lo_u32 v14, s14, v18
	v_add_nc_u32_e32 v13, 0x200, v8
	v_mul_lo_u32 v8, s15, v17
	s_mul_i32 s9, s27, s8
	s_mul_hi_u32 s27, s26, s8
	v_mov_b32_e32 v5, v2
	v_mad_u64_u32 v[2:3], null, s14, v17, 0
	s_mul_i32 s26, s26, s8
	s_add_i32 s27, s27, s9
	v_lshlrev_b64 v[4:5], 1, v[4:5]
	s_lshl_b64 s[14:15], s[26:27], 1
	s_mul_i32 s9, s17, s8
	s_add_u32 s14, s28, s14
	v_add3_u32 v3, v3, v14, v8
	s_mul_hi_u32 s17, s16, s8
	s_addc_u32 s15, s29, s15
	v_add_co_u32 v4, vcc_lo, s14, v4
	v_lshlrev_b64 v[2:3], 1, v[2:3]
	v_add_co_ci_u32_e64 v5, null, s15, v5, vcc_lo
	s_add_i32 s15, s17, s9
	s_mul_i32 s14, s16, s8
	v_lshlrev_b32_e32 v8, 1, v15
	s_lshl_b64 s[14:15], s[14:15], 1
	v_lshlrev_b32_e32 v14, 1, v11
	v_add_co_u32 v2, vcc_lo, v2, s14
	v_add_co_ci_u32_e64 v3, null, s15, v3, vcc_lo
	v_add_co_u32 v4, vcc_lo, v4, v8
	v_add_co_ci_u32_e64 v5, null, 0, v5, vcc_lo
	v_add_co_u32 v8, vcc_lo, v2, v14
	v_lshlrev_b32_e32 v16, 1, v12
	v_add_co_ci_u32_e64 v14, null, 0, v3, vcc_lo
	v_add_co_u32 v2, vcc_lo, s18, v4
	v_add_co_ci_u32_e64 v3, null, s19, v5, vcc_lo
	v_add_co_u32 v4, vcc_lo, s12, v8
	v_lshl_or_b32 v12, v11, 6, v16
	v_add_co_ci_u32_e64 v5, null, s13, v14, vcc_lo
	v_mov_b32_e32 v8, 0
	s_lshl_b64 s[12:13], s[24:25], 4
	s_mov_b64 s[14:15], 0
	s_branch .LBB361_3
.LBB361_2:                              ;   in Loop: Header=BB361_3 Depth=1
	s_or_b32 exec_lo, exec_lo, s9
	s_waitcnt vmcnt(0)
	ds_write_b16 v13, v14
	s_waitcnt lgkmcnt(0)
	s_barrier
	buffer_gl0_inv
	ds_read_u16 v22, v9
	ds_read_u16 v23, v9 offset:64
	ds_read_u16 v24, v9 offset:128
	;; [unrolled: 1-line block ×7, first 2 shown]
	s_add_u32 s14, s14, 8
	s_addc_u32 s15, s15, 0
	v_add_co_u32 v2, vcc_lo, v2, s12
	v_cmp_lt_i64_e64 s9, s[14:15], s[10:11]
	v_add_co_ci_u32_e64 v3, null, s13, v3, vcc_lo
	v_add_co_u32 v4, vcc_lo, v4, 16
	v_add_co_ci_u32_e64 v5, null, 0, v5, vcc_lo
	s_and_b32 vcc_lo, exec_lo, s9
	s_waitcnt lgkmcnt(7)
	ds_read_u16_d16_hi v22, v9 offset:32
	ds_read_b128 v[14:17], v10
	ds_read_b128 v[18:21], v10 offset:256
	s_waitcnt lgkmcnt(9)
	ds_read_u16_d16_hi v23, v9 offset:96
	s_waitcnt lgkmcnt(9)
	ds_read_u16_d16_hi v24, v9 offset:160
	;; [unrolled: 2-line block ×7, first 2 shown]
	s_waitcnt lgkmcnt(0)
	s_barrier
	buffer_gl0_inv
	v_pk_fma_f16 v7, v22, v14, v7 op_sel_hi:[1,0,1]
	v_pk_fma_f16 v8, v22, v18, v8 op_sel_hi:[1,0,1]
	v_pk_fma_f16 v7, v23, v14, v7 op_sel:[0,1,0]
	v_pk_fma_f16 v8, v23, v18, v8 op_sel:[0,1,0]
	v_pk_fma_f16 v7, v24, v15, v7 op_sel_hi:[1,0,1]
	v_pk_fma_f16 v8, v24, v19, v8 op_sel_hi:[1,0,1]
	v_pk_fma_f16 v7, v25, v15, v7 op_sel:[0,1,0]
	v_pk_fma_f16 v8, v25, v19, v8 op_sel:[0,1,0]
	v_pk_fma_f16 v7, v26, v16, v7 op_sel_hi:[1,0,1]
	v_pk_fma_f16 v8, v26, v20, v8 op_sel_hi:[1,0,1]
	v_pk_fma_f16 v7, v27, v16, v7 op_sel:[0,1,0]
	v_pk_fma_f16 v8, v27, v20, v8 op_sel:[0,1,0]
	v_pk_fma_f16 v7, v28, v17, v7 op_sel_hi:[1,0,1]
	v_pk_fma_f16 v8, v28, v21, v8 op_sel_hi:[1,0,1]
	v_pk_fma_f16 v7, v29, v17, v7 op_sel:[0,1,0]
	v_pk_fma_f16 v8, v29, v21, v8 op_sel:[0,1,0]
	s_cbranch_vccz .LBB361_8
.LBB361_3:                              ; =>This Inner Loop Header: Depth=1
	v_add_co_u32 v14, s9, v11, s14
	v_add_co_ci_u32_e64 v15, null, 0, s15, s9
	v_cmp_gt_i64_e32 vcc_lo, s[10:11], v[14:15]
	v_mov_b32_e32 v14, 0
	v_mov_b32_e32 v15, 0
	s_and_b32 s16, s0, vcc_lo
	s_and_saveexec_b32 s9, s16
	s_cbranch_execz .LBB361_5
; %bb.4:                                ;   in Loop: Header=BB361_3 Depth=1
	global_load_ushort v15, v[4:5], off
.LBB361_5:                              ;   in Loop: Header=BB361_3 Depth=1
	s_or_b32 exec_lo, exec_lo, s9
	v_add_co_u32 v16, s9, v6, s14
	v_add_co_ci_u32_e64 v17, null, 0, s15, s9
	s_waitcnt vmcnt(0)
	ds_write_b16 v12, v15
	v_cmp_gt_i64_e32 vcc_lo, s[10:11], v[16:17]
	s_and_b32 s16, vcc_lo, s1
	s_and_saveexec_b32 s9, s16
	s_cbranch_execz .LBB361_2
; %bb.6:                                ;   in Loop: Header=BB361_3 Depth=1
	global_load_ushort v14, v[2:3], off
	s_branch .LBB361_2
.LBB361_7:
	v_mov_b32_e32 v8, 0
.LBB361_8:
	s_clause 0x3
	s_load_dwordx4 s[24:27], s[4:5], 0x78
	s_load_dword s9, s[4:5], 0x50
	s_load_dwordx8 s[12:19], s[4:5], 0x58
	s_load_dword s4, s[4:5], 0x18
	v_add_co_u32 v1, s0, s2, v1
	v_add_co_ci_u32_e64 v2, null, s3, 0, s0
	s_waitcnt lgkmcnt(0)
	s_mul_i32 s1, s27, s8
	s_mul_hi_u32 s2, s26, s8
	s_mul_i32 s0, s26, s8
	s_add_i32 s1, s2, s1
	v_cmp_neq_f16_e64 s2, s9, 0
	s_lshl_b64 s[10:11], s[0:1], 1
	v_cmp_gt_i64_e64 s0, s[22:23], v[1:2]
	s_add_u32 s3, s18, s10
	s_addc_u32 s5, s19, s11
	s_and_b32 vcc_lo, exec_lo, s2
	s_cbranch_vccnz .LBB361_21
; %bb.9:
	s_and_saveexec_b32 s10, s0
	s_cbranch_execz .LBB361_19
; %bb.10:
	v_mul_lo_u32 v5, v2, s24
	v_mul_lo_u32 v6, v1, s25
	v_mad_u64_u32 v[3:4], null, v1, s24, 0
	v_add3_u32 v4, v4, v6, v5
	v_add_co_u32 v5, s1, s6, v0
	v_add_co_ci_u32_e64 v6, null, s7, 0, s1
	v_lshlrev_b64 v[9:10], 1, v[3:4]
	v_cmp_gt_i64_e32 vcc_lo, s[20:21], v[5:6]
	v_lshlrev_b64 v[3:4], 1, v[5:6]
	v_add_co_u32 v9, s1, s3, v9
	v_add_co_ci_u32_e64 v10, null, s5, v10, s1
	s_and_saveexec_b32 s2, vcc_lo
	s_cbranch_execz .LBB361_12
; %bb.11:
	v_add_co_u32 v11, s1, v9, v3
	v_add_co_ci_u32_e64 v12, null, v10, v4, s1
	v_mul_f16_e32 v13, s4, v7
	global_store_short v[11:12], v13, off
.LBB361_12:
	s_or_b32 exec_lo, exec_lo, s2
	v_add_co_u32 v5, s1, v5, 16
	v_add_co_ci_u32_e64 v6, null, 0, v6, s1
	v_cmp_gt_i64_e64 s1, s[20:21], v[5:6]
	s_and_saveexec_b32 s11, s1
	s_cbranch_execz .LBB361_14
; %bb.13:
	v_add_co_u32 v5, s2, v9, v3
	v_add_co_ci_u32_e64 v6, null, v10, v4, s2
	v_mul_f16_sdwa v11, s4, v7 dst_sel:DWORD dst_unused:UNUSED_PAD src0_sel:DWORD src1_sel:WORD_1
	global_store_short v[5:6], v11, off offset:32
.LBB361_14:
	s_or_b32 exec_lo, exec_lo, s11
	v_add_co_u32 v5, s2, v1, 16
	v_add_co_ci_u32_e64 v6, null, 0, v2, s2
	v_cmp_gt_i64_e64 s2, s[22:23], v[5:6]
	s_and_b32 exec_lo, exec_lo, s2
	s_cbranch_execz .LBB361_19
; %bb.15:
	s_lshl_b64 s[18:19], s[24:25], 5
	v_add_co_u32 v5, s2, v9, s18
	v_add_co_ci_u32_e64 v6, null, s19, v10, s2
	v_add_co_u32 v3, s2, v5, v3
	v_add_co_ci_u32_e64 v4, null, v6, v4, s2
	s_and_saveexec_b32 s2, vcc_lo
	s_cbranch_execz .LBB361_17
; %bb.16:
	v_mul_f16_e32 v5, s4, v8
	global_store_short v[3:4], v5, off
.LBB361_17:
	s_or_b32 exec_lo, exec_lo, s2
	s_and_b32 exec_lo, exec_lo, s1
	s_cbranch_execz .LBB361_19
; %bb.18:
	v_mul_f16_sdwa v5, s4, v8 dst_sel:DWORD dst_unused:UNUSED_PAD src0_sel:DWORD src1_sel:WORD_1
	global_store_short v[3:4], v5, off offset:32
.LBB361_19:
	s_or_b32 exec_lo, exec_lo, s10
	s_cbranch_execz .LBB361_22
.LBB361_20:
	s_endpgm
.LBB361_21:
.LBB361_22:
	s_and_saveexec_b32 s1, s0
	s_cbranch_execz .LBB361_20
; %bb.23:
	v_mul_lo_u32 v5, v2, s14
	v_mul_lo_u32 v6, v1, s15
	v_mad_u64_u32 v[3:4], null, v1, s14, 0
	v_mul_lo_u32 v11, v2, s24
	v_mul_lo_u32 v12, v1, s25
	v_mad_u64_u32 v[9:10], null, v1, s24, 0
	s_mul_i32 s0, s17, s8
	s_mul_hi_u32 s1, s16, s8
	v_add3_u32 v4, v4, v6, v5
	s_add_i32 s1, s1, s0
	s_mul_i32 s0, s16, s8
	v_add_co_u32 v5, s2, s6, v0
	v_add3_u32 v10, v10, v12, v11
	v_lshlrev_b64 v[3:4], 1, v[3:4]
	s_lshl_b64 s[0:1], s[0:1], 1
	v_add_co_ci_u32_e64 v6, null, s7, 0, s2
	v_lshlrev_b64 v[10:11], 1, v[9:10]
	s_add_u32 s0, s12, s0
	s_addc_u32 s1, s13, s1
	v_add_co_u32 v0, s0, s0, v3
	v_add_co_ci_u32_e64 v9, null, s1, v4, s0
	v_add_co_u32 v10, s0, s3, v10
	v_cmp_gt_i64_e32 vcc_lo, s[20:21], v[5:6]
	v_lshlrev_b64 v[3:4], 1, v[5:6]
	v_add_co_ci_u32_e64 v11, null, s5, v11, s0
	s_and_saveexec_b32 s1, vcc_lo
	s_cbranch_execz .LBB361_25
; %bb.24:
	v_add_co_u32 v12, s0, v0, v3
	v_add_co_ci_u32_e64 v13, null, v9, v4, s0
	global_load_ushort v12, v[12:13], off
	s_waitcnt vmcnt(0)
	v_mul_f16_e32 v14, s9, v12
	v_add_co_u32 v12, s0, v10, v3
	v_add_co_ci_u32_e64 v13, null, v11, v4, s0
	v_fmac_f16_e32 v14, s4, v7
	global_store_short v[12:13], v14, off
.LBB361_25:
	s_or_b32 exec_lo, exec_lo, s1
	v_add_co_u32 v5, s0, v5, 16
	v_add_co_ci_u32_e64 v6, null, 0, v6, s0
	v_cmp_gt_i64_e64 s0, s[20:21], v[5:6]
	s_and_saveexec_b32 s2, s0
	s_cbranch_execz .LBB361_27
; %bb.26:
	v_add_co_u32 v5, s1, v0, v3
	v_add_co_ci_u32_e64 v6, null, v9, v4, s1
	global_load_ushort v5, v[5:6], off offset:32
	v_lshrrev_b32_e32 v6, 16, v7
	s_waitcnt vmcnt(0)
	v_mul_f16_e32 v7, s9, v5
	v_add_co_u32 v5, s1, v10, v3
	v_fmac_f16_e32 v7, s4, v6
	v_add_co_ci_u32_e64 v6, null, v11, v4, s1
	global_store_short v[5:6], v7, off offset:32
.LBB361_27:
	s_or_b32 exec_lo, exec_lo, s2
	v_add_co_u32 v1, s1, v1, 16
	v_add_co_ci_u32_e64 v2, null, 0, v2, s1
	v_cmp_gt_i64_e64 s1, s[22:23], v[1:2]
	s_and_b32 exec_lo, exec_lo, s1
	s_cbranch_execz .LBB361_20
; %bb.28:
	s_lshl_b64 s[2:3], s[14:15], 5
	v_add_co_u32 v0, s1, v0, s2
	v_add_co_ci_u32_e64 v1, null, s3, v9, s1
	s_lshl_b64 s[2:3], s[24:25], 5
	v_add_co_u32 v2, s1, v10, s2
	v_add_co_ci_u32_e64 v7, null, s3, v11, s1
	v_add_co_u32 v5, s1, v0, v3
	v_add_co_ci_u32_e64 v6, null, v1, v4, s1
	;; [unrolled: 2-line block ×3, first 2 shown]
	s_and_saveexec_b32 s1, vcc_lo
	s_cbranch_execz .LBB361_30
; %bb.29:
	global_load_ushort v2, v[5:6], off
	s_waitcnt vmcnt(0)
	v_mul_f16_e32 v2, s9, v2
	v_fmac_f16_e32 v2, s4, v8
	global_store_short v[0:1], v2, off
.LBB361_30:
	s_or_b32 exec_lo, exec_lo, s1
	s_and_b32 exec_lo, exec_lo, s0
	s_cbranch_execz .LBB361_20
; %bb.31:
	global_load_ushort v2, v[5:6], off offset:32
	v_lshrrev_b32_e32 v3, 16, v8
	s_waitcnt vmcnt(0)
	v_mul_f16_e32 v2, s9, v2
	v_fmac_f16_e32 v2, s4, v3
	global_store_short v[0:1], v2, off offset:32
	s_endpgm
	.section	.rodata,"a",@progbits
	.p2align	6, 0x0
	.amdhsa_kernel _ZN12_GLOBAL__N_135rocblas_gemm_batched_general_kernelIDF16_Li16ELi16ELi32ELi32ELi8ELi32ELi8ELi8ELi32ELc84ELc67EKDF16_S1_DF16_EEvlllT_PT11_llS4_llS2_PT12_llPT13_lli
		.amdhsa_group_segment_fixed_size 1024
		.amdhsa_private_segment_fixed_size 0
		.amdhsa_kernarg_size 140
		.amdhsa_user_sgpr_count 6
		.amdhsa_user_sgpr_private_segment_buffer 1
		.amdhsa_user_sgpr_dispatch_ptr 0
		.amdhsa_user_sgpr_queue_ptr 0
		.amdhsa_user_sgpr_kernarg_segment_ptr 1
		.amdhsa_user_sgpr_dispatch_id 0
		.amdhsa_user_sgpr_flat_scratch_init 0
		.amdhsa_user_sgpr_private_segment_size 0
		.amdhsa_wavefront_size32 1
		.amdhsa_uses_dynamic_stack 0
		.amdhsa_system_sgpr_private_segment_wavefront_offset 0
		.amdhsa_system_sgpr_workgroup_id_x 1
		.amdhsa_system_sgpr_workgroup_id_y 1
		.amdhsa_system_sgpr_workgroup_id_z 1
		.amdhsa_system_sgpr_workgroup_info 0
		.amdhsa_system_vgpr_workitem_id 1
		.amdhsa_next_free_vgpr 30
		.amdhsa_next_free_sgpr 30
		.amdhsa_reserve_vcc 1
		.amdhsa_reserve_flat_scratch 0
		.amdhsa_float_round_mode_32 0
		.amdhsa_float_round_mode_16_64 0
		.amdhsa_float_denorm_mode_32 3
		.amdhsa_float_denorm_mode_16_64 3
		.amdhsa_dx10_clamp 1
		.amdhsa_ieee_mode 1
		.amdhsa_fp16_overflow 0
		.amdhsa_workgroup_processor_mode 1
		.amdhsa_memory_ordered 1
		.amdhsa_forward_progress 1
		.amdhsa_shared_vgpr_count 0
		.amdhsa_exception_fp_ieee_invalid_op 0
		.amdhsa_exception_fp_denorm_src 0
		.amdhsa_exception_fp_ieee_div_zero 0
		.amdhsa_exception_fp_ieee_overflow 0
		.amdhsa_exception_fp_ieee_underflow 0
		.amdhsa_exception_fp_ieee_inexact 0
		.amdhsa_exception_int_div_zero 0
	.end_amdhsa_kernel
	.section	.text._ZN12_GLOBAL__N_135rocblas_gemm_batched_general_kernelIDF16_Li16ELi16ELi32ELi32ELi8ELi32ELi8ELi8ELi32ELc84ELc67EKDF16_S1_DF16_EEvlllT_PT11_llS4_llS2_PT12_llPT13_lli,"axG",@progbits,_ZN12_GLOBAL__N_135rocblas_gemm_batched_general_kernelIDF16_Li16ELi16ELi32ELi32ELi8ELi32ELi8ELi8ELi32ELc84ELc67EKDF16_S1_DF16_EEvlllT_PT11_llS4_llS2_PT12_llPT13_lli,comdat
.Lfunc_end361:
	.size	_ZN12_GLOBAL__N_135rocblas_gemm_batched_general_kernelIDF16_Li16ELi16ELi32ELi32ELi8ELi32ELi8ELi8ELi32ELc84ELc67EKDF16_S1_DF16_EEvlllT_PT11_llS4_llS2_PT12_llPT13_lli, .Lfunc_end361-_ZN12_GLOBAL__N_135rocblas_gemm_batched_general_kernelIDF16_Li16ELi16ELi32ELi32ELi8ELi32ELi8ELi8ELi32ELc84ELc67EKDF16_S1_DF16_EEvlllT_PT11_llS4_llS2_PT12_llPT13_lli
                                        ; -- End function
	.set _ZN12_GLOBAL__N_135rocblas_gemm_batched_general_kernelIDF16_Li16ELi16ELi32ELi32ELi8ELi32ELi8ELi8ELi32ELc84ELc67EKDF16_S1_DF16_EEvlllT_PT11_llS4_llS2_PT12_llPT13_lli.num_vgpr, 30
	.set _ZN12_GLOBAL__N_135rocblas_gemm_batched_general_kernelIDF16_Li16ELi16ELi32ELi32ELi8ELi32ELi8ELi8ELi32ELc84ELc67EKDF16_S1_DF16_EEvlllT_PT11_llS4_llS2_PT12_llPT13_lli.num_agpr, 0
	.set _ZN12_GLOBAL__N_135rocblas_gemm_batched_general_kernelIDF16_Li16ELi16ELi32ELi32ELi8ELi32ELi8ELi8ELi32ELc84ELc67EKDF16_S1_DF16_EEvlllT_PT11_llS4_llS2_PT12_llPT13_lli.numbered_sgpr, 30
	.set _ZN12_GLOBAL__N_135rocblas_gemm_batched_general_kernelIDF16_Li16ELi16ELi32ELi32ELi8ELi32ELi8ELi8ELi32ELc84ELc67EKDF16_S1_DF16_EEvlllT_PT11_llS4_llS2_PT12_llPT13_lli.num_named_barrier, 0
	.set _ZN12_GLOBAL__N_135rocblas_gemm_batched_general_kernelIDF16_Li16ELi16ELi32ELi32ELi8ELi32ELi8ELi8ELi32ELc84ELc67EKDF16_S1_DF16_EEvlllT_PT11_llS4_llS2_PT12_llPT13_lli.private_seg_size, 0
	.set _ZN12_GLOBAL__N_135rocblas_gemm_batched_general_kernelIDF16_Li16ELi16ELi32ELi32ELi8ELi32ELi8ELi8ELi32ELc84ELc67EKDF16_S1_DF16_EEvlllT_PT11_llS4_llS2_PT12_llPT13_lli.uses_vcc, 1
	.set _ZN12_GLOBAL__N_135rocblas_gemm_batched_general_kernelIDF16_Li16ELi16ELi32ELi32ELi8ELi32ELi8ELi8ELi32ELc84ELc67EKDF16_S1_DF16_EEvlllT_PT11_llS4_llS2_PT12_llPT13_lli.uses_flat_scratch, 0
	.set _ZN12_GLOBAL__N_135rocblas_gemm_batched_general_kernelIDF16_Li16ELi16ELi32ELi32ELi8ELi32ELi8ELi8ELi32ELc84ELc67EKDF16_S1_DF16_EEvlllT_PT11_llS4_llS2_PT12_llPT13_lli.has_dyn_sized_stack, 0
	.set _ZN12_GLOBAL__N_135rocblas_gemm_batched_general_kernelIDF16_Li16ELi16ELi32ELi32ELi8ELi32ELi8ELi8ELi32ELc84ELc67EKDF16_S1_DF16_EEvlllT_PT11_llS4_llS2_PT12_llPT13_lli.has_recursion, 0
	.set _ZN12_GLOBAL__N_135rocblas_gemm_batched_general_kernelIDF16_Li16ELi16ELi32ELi32ELi8ELi32ELi8ELi8ELi32ELc84ELc67EKDF16_S1_DF16_EEvlllT_PT11_llS4_llS2_PT12_llPT13_lli.has_indirect_call, 0
	.section	.AMDGPU.csdata,"",@progbits
; Kernel info:
; codeLenInByte = 1940
; TotalNumSgprs: 32
; NumVgprs: 30
; ScratchSize: 0
; MemoryBound: 0
; FloatMode: 240
; IeeeMode: 1
; LDSByteSize: 1024 bytes/workgroup (compile time only)
; SGPRBlocks: 0
; VGPRBlocks: 3
; NumSGPRsForWavesPerEU: 32
; NumVGPRsForWavesPerEU: 30
; Occupancy: 16
; WaveLimiterHint : 0
; COMPUTE_PGM_RSRC2:SCRATCH_EN: 0
; COMPUTE_PGM_RSRC2:USER_SGPR: 6
; COMPUTE_PGM_RSRC2:TRAP_HANDLER: 0
; COMPUTE_PGM_RSRC2:TGID_X_EN: 1
; COMPUTE_PGM_RSRC2:TGID_Y_EN: 1
; COMPUTE_PGM_RSRC2:TGID_Z_EN: 1
; COMPUTE_PGM_RSRC2:TIDIG_COMP_CNT: 1
	.section	.text._ZN12_GLOBAL__N_120gemm_ex_scale_kernelILi32ELi32EfPKDF16_PDF16_EEviiT1_T2_lllT3_llli,"axG",@progbits,_ZN12_GLOBAL__N_120gemm_ex_scale_kernelILi32ELi32EfPKDF16_PDF16_EEviiT1_T2_lllT3_llli,comdat
	.globl	_ZN12_GLOBAL__N_120gemm_ex_scale_kernelILi32ELi32EfPKDF16_PDF16_EEviiT1_T2_lllT3_llli ; -- Begin function _ZN12_GLOBAL__N_120gemm_ex_scale_kernelILi32ELi32EfPKDF16_PDF16_EEviiT1_T2_lllT3_llli
	.p2align	8
	.type	_ZN12_GLOBAL__N_120gemm_ex_scale_kernelILi32ELi32EfPKDF16_PDF16_EEviiT1_T2_lllT3_llli,@function
_ZN12_GLOBAL__N_120gemm_ex_scale_kernelILi32ELi32EfPKDF16_PDF16_EEviiT1_T2_lllT3_llli: ; @_ZN12_GLOBAL__N_120gemm_ex_scale_kernelILi32ELi32EfPKDF16_PDF16_EEviiT1_T2_lllT3_llli
; %bb.0:
	s_load_dwordx4 s[0:3], s[4:5], 0x0
	v_lshl_add_u32 v0, s6, 5, v0
	v_lshl_add_u32 v4, s7, 5, v1
	s_waitcnt lgkmcnt(0)
	v_cmp_gt_u32_e32 vcc_lo, s0, v0
	v_cmp_gt_u32_e64 s0, s1, v4
	s_and_b32 s0, vcc_lo, s0
	s_and_saveexec_b32 s1, s0
	s_cbranch_execz .LBB362_5
; %bb.1:
	v_cmp_neq_f32_e64 s0, s2, 0
	v_mov_b32_e32 v1, 0
	s_and_b32 vcc_lo, exec_lo, s0
	s_mov_b32 s0, 0
	s_cbranch_vccnz .LBB362_6
; %bb.2:
	v_mov_b32_e32 v3, 0
	v_mov_b32_e32 v2, v0
	s_load_dwordx16 s[12:27], s[4:5], 0x10
	s_andn2_b32 vcc_lo, exec_lo, s0
	s_cbranch_vccnz .LBB362_4
.LBB362_3:
	s_waitcnt lgkmcnt(0)
	v_mad_u64_u32 v[5:6], null, s16, v4, 0
	s_mul_i32 s1, s19, s8
	s_mul_hi_u32 s3, s18, s8
	s_mul_i32 s0, s18, s8
	s_add_i32 s1, s3, s1
	v_lshlrev_b64 v[0:1], 1, v[0:1]
	s_lshl_b64 s[0:1], s[0:1], 1
	v_mad_u64_u32 v[6:7], null, s17, v4, v[6:7]
	s_add_u32 s3, s12, s0
	s_addc_u32 s4, s13, s1
	s_lshl_b64 s[0:1], s[14:15], 1
	s_add_u32 s0, s3, s0
	s_addc_u32 s1, s4, s1
	v_lshlrev_b64 v[5:6], 1, v[5:6]
	v_add_co_u32 v5, vcc_lo, s0, v5
	v_add_co_ci_u32_e64 v6, null, s1, v6, vcc_lo
	v_add_co_u32 v0, vcc_lo, v5, v0
	v_add_co_ci_u32_e64 v1, null, v6, v1, vcc_lo
	global_load_ushort v0, v[0:1], off
	s_waitcnt vmcnt(0)
	v_fma_mixlo_f16 v1, s2, v0, 0 op_sel_hi:[0,1,0]
.LBB362_4:
	s_waitcnt lgkmcnt(0)
	v_mad_u64_u32 v[5:6], null, s24, v4, 0
	s_mul_i32 s1, s27, s8
	s_mul_hi_u32 s2, s26, s8
	s_mul_i32 s0, s26, s8
	s_add_i32 s1, s2, s1
	v_lshlrev_b64 v[2:3], 1, v[2:3]
	s_lshl_b64 s[0:1], s[0:1], 1
	v_mov_b32_e32 v0, v6
	s_add_u32 s2, s20, s0
	s_addc_u32 s3, s21, s1
	s_lshl_b64 s[0:1], s[22:23], 1
	s_add_u32 s0, s2, s0
	v_mad_u64_u32 v[6:7], null, s25, v4, v[0:1]
	s_addc_u32 s1, s3, s1
	v_lshlrev_b64 v[4:5], 1, v[5:6]
	v_add_co_u32 v0, vcc_lo, s0, v4
	v_add_co_ci_u32_e64 v4, null, s1, v5, vcc_lo
	v_add_co_u32 v2, vcc_lo, v0, v2
	v_add_co_ci_u32_e64 v3, null, v4, v3, vcc_lo
	global_store_short v[2:3], v1, off
.LBB362_5:
	s_endpgm
.LBB362_6:
	v_mov_b32_e32 v3, v1
	v_mov_b32_e32 v2, v0
	s_load_dwordx16 s[12:27], s[4:5], 0x10
	s_branch .LBB362_3
	.section	.rodata,"a",@progbits
	.p2align	6, 0x0
	.amdhsa_kernel _ZN12_GLOBAL__N_120gemm_ex_scale_kernelILi32ELi32EfPKDF16_PDF16_EEviiT1_T2_lllT3_llli
		.amdhsa_group_segment_fixed_size 0
		.amdhsa_private_segment_fixed_size 0
		.amdhsa_kernarg_size 84
		.amdhsa_user_sgpr_count 6
		.amdhsa_user_sgpr_private_segment_buffer 1
		.amdhsa_user_sgpr_dispatch_ptr 0
		.amdhsa_user_sgpr_queue_ptr 0
		.amdhsa_user_sgpr_kernarg_segment_ptr 1
		.amdhsa_user_sgpr_dispatch_id 0
		.amdhsa_user_sgpr_flat_scratch_init 0
		.amdhsa_user_sgpr_private_segment_size 0
		.amdhsa_wavefront_size32 1
		.amdhsa_uses_dynamic_stack 0
		.amdhsa_system_sgpr_private_segment_wavefront_offset 0
		.amdhsa_system_sgpr_workgroup_id_x 1
		.amdhsa_system_sgpr_workgroup_id_y 1
		.amdhsa_system_sgpr_workgroup_id_z 1
		.amdhsa_system_sgpr_workgroup_info 0
		.amdhsa_system_vgpr_workitem_id 1
		.amdhsa_next_free_vgpr 8
		.amdhsa_next_free_sgpr 28
		.amdhsa_reserve_vcc 1
		.amdhsa_reserve_flat_scratch 0
		.amdhsa_float_round_mode_32 0
		.amdhsa_float_round_mode_16_64 0
		.amdhsa_float_denorm_mode_32 3
		.amdhsa_float_denorm_mode_16_64 3
		.amdhsa_dx10_clamp 1
		.amdhsa_ieee_mode 1
		.amdhsa_fp16_overflow 0
		.amdhsa_workgroup_processor_mode 1
		.amdhsa_memory_ordered 1
		.amdhsa_forward_progress 1
		.amdhsa_shared_vgpr_count 0
		.amdhsa_exception_fp_ieee_invalid_op 0
		.amdhsa_exception_fp_denorm_src 0
		.amdhsa_exception_fp_ieee_div_zero 0
		.amdhsa_exception_fp_ieee_overflow 0
		.amdhsa_exception_fp_ieee_underflow 0
		.amdhsa_exception_fp_ieee_inexact 0
		.amdhsa_exception_int_div_zero 0
	.end_amdhsa_kernel
	.section	.text._ZN12_GLOBAL__N_120gemm_ex_scale_kernelILi32ELi32EfPKDF16_PDF16_EEviiT1_T2_lllT3_llli,"axG",@progbits,_ZN12_GLOBAL__N_120gemm_ex_scale_kernelILi32ELi32EfPKDF16_PDF16_EEviiT1_T2_lllT3_llli,comdat
.Lfunc_end362:
	.size	_ZN12_GLOBAL__N_120gemm_ex_scale_kernelILi32ELi32EfPKDF16_PDF16_EEviiT1_T2_lllT3_llli, .Lfunc_end362-_ZN12_GLOBAL__N_120gemm_ex_scale_kernelILi32ELi32EfPKDF16_PDF16_EEviiT1_T2_lllT3_llli
                                        ; -- End function
	.set _ZN12_GLOBAL__N_120gemm_ex_scale_kernelILi32ELi32EfPKDF16_PDF16_EEviiT1_T2_lllT3_llli.num_vgpr, 8
	.set _ZN12_GLOBAL__N_120gemm_ex_scale_kernelILi32ELi32EfPKDF16_PDF16_EEviiT1_T2_lllT3_llli.num_agpr, 0
	.set _ZN12_GLOBAL__N_120gemm_ex_scale_kernelILi32ELi32EfPKDF16_PDF16_EEviiT1_T2_lllT3_llli.numbered_sgpr, 28
	.set _ZN12_GLOBAL__N_120gemm_ex_scale_kernelILi32ELi32EfPKDF16_PDF16_EEviiT1_T2_lllT3_llli.num_named_barrier, 0
	.set _ZN12_GLOBAL__N_120gemm_ex_scale_kernelILi32ELi32EfPKDF16_PDF16_EEviiT1_T2_lllT3_llli.private_seg_size, 0
	.set _ZN12_GLOBAL__N_120gemm_ex_scale_kernelILi32ELi32EfPKDF16_PDF16_EEviiT1_T2_lllT3_llli.uses_vcc, 1
	.set _ZN12_GLOBAL__N_120gemm_ex_scale_kernelILi32ELi32EfPKDF16_PDF16_EEviiT1_T2_lllT3_llli.uses_flat_scratch, 0
	.set _ZN12_GLOBAL__N_120gemm_ex_scale_kernelILi32ELi32EfPKDF16_PDF16_EEviiT1_T2_lllT3_llli.has_dyn_sized_stack, 0
	.set _ZN12_GLOBAL__N_120gemm_ex_scale_kernelILi32ELi32EfPKDF16_PDF16_EEviiT1_T2_lllT3_llli.has_recursion, 0
	.set _ZN12_GLOBAL__N_120gemm_ex_scale_kernelILi32ELi32EfPKDF16_PDF16_EEviiT1_T2_lllT3_llli.has_indirect_call, 0
	.section	.AMDGPU.csdata,"",@progbits
; Kernel info:
; codeLenInByte = 372
; TotalNumSgprs: 30
; NumVgprs: 8
; ScratchSize: 0
; MemoryBound: 0
; FloatMode: 240
; IeeeMode: 1
; LDSByteSize: 0 bytes/workgroup (compile time only)
; SGPRBlocks: 0
; VGPRBlocks: 0
; NumSGPRsForWavesPerEU: 30
; NumVGPRsForWavesPerEU: 8
; Occupancy: 16
; WaveLimiterHint : 0
; COMPUTE_PGM_RSRC2:SCRATCH_EN: 0
; COMPUTE_PGM_RSRC2:USER_SGPR: 6
; COMPUTE_PGM_RSRC2:TRAP_HANDLER: 0
; COMPUTE_PGM_RSRC2:TGID_X_EN: 1
; COMPUTE_PGM_RSRC2:TGID_Y_EN: 1
; COMPUTE_PGM_RSRC2:TGID_Z_EN: 1
; COMPUTE_PGM_RSRC2:TIDIG_COMP_CNT: 1
	.section	.text._ZN12_GLOBAL__N_127rocblas_gemm_batched_kernelIfLi16ELi16ELi64ELi64ELi4ELi64ELi4ELi4ELi64ELc78ELc78EKDF16_S1_DF16_EEvlllT_PT11_llS4_llS2_PT12_llPT13_lli,"axG",@progbits,_ZN12_GLOBAL__N_127rocblas_gemm_batched_kernelIfLi16ELi16ELi64ELi64ELi4ELi64ELi4ELi4ELi64ELc78ELc78EKDF16_S1_DF16_EEvlllT_PT11_llS4_llS2_PT12_llPT13_lli,comdat
	.globl	_ZN12_GLOBAL__N_127rocblas_gemm_batched_kernelIfLi16ELi16ELi64ELi64ELi4ELi64ELi4ELi4ELi64ELc78ELc78EKDF16_S1_DF16_EEvlllT_PT11_llS4_llS2_PT12_llPT13_lli ; -- Begin function _ZN12_GLOBAL__N_127rocblas_gemm_batched_kernelIfLi16ELi16ELi64ELi64ELi4ELi64ELi4ELi4ELi64ELc78ELc78EKDF16_S1_DF16_EEvlllT_PT11_llS4_llS2_PT12_llPT13_lli
	.p2align	8
	.type	_ZN12_GLOBAL__N_127rocblas_gemm_batched_kernelIfLi16ELi16ELi64ELi64ELi4ELi64ELi4ELi4ELi64ELc78ELc78EKDF16_S1_DF16_EEvlllT_PT11_llS4_llS2_PT12_llPT13_lli,@function
_ZN12_GLOBAL__N_127rocblas_gemm_batched_kernelIfLi16ELi16ELi64ELi64ELi4ELi64ELi4ELi4ELi64ELc78ELc78EKDF16_S1_DF16_EEvlllT_PT11_llS4_llS2_PT12_llPT13_lli: ; @_ZN12_GLOBAL__N_127rocblas_gemm_batched_kernelIfLi16ELi16ELi64ELi64ELi4ELi64ELi4ELi4ELi64ELc78ELc78EKDF16_S1_DF16_EEvlllT_PT11_llS4_llS2_PT12_llPT13_lli
; %bb.0:
	s_load_dwordx2 s[20:21], s[4:5], 0x10
	s_mov_b32 s0, s7
	v_mov_b32_e32 v19, 0
	v_mov_b32_e32 v21, 0
	;; [unrolled: 1-line block ×16, first 2 shown]
	s_ashr_i32 s7, s6, 31
	s_ashr_i32 s1, s0, 31
	s_waitcnt lgkmcnt(0)
	v_cmp_lt_i64_e64 s2, s[20:21], 1
	s_lshl_b64 s[6:7], s[6:7], 6
	s_lshl_b64 s[10:11], s[0:1], 6
	s_and_b32 vcc_lo, exec_lo, s2
	s_cbranch_vccnz .LBB363_3
; %bb.1:
	v_lshlrev_b32_e32 v4, 4, v1
	s_clause 0x1
	s_load_dwordx4 s[0:3], s[4:5], 0x40
	s_load_dwordx8 s[12:19], s[4:5], 0x20
	v_and_b32_e32 v7, 3, v0
	v_lshlrev_b32_e32 v22, 2, v0
	v_add_nc_u32_e32 v2, v4, v0
	v_add_nc_u32_e32 v23, 0x400, v4
	v_mov_b32_e32 v14, 0
	v_lshlrev_b32_e32 v8, 2, v7
	v_mov_b32_e32 v15, 0
	v_lshrrev_b32_e32 v5, 2, v2
	v_and_b32_e32 v9, 63, v2
	v_lshrrev_b32_e32 v10, 6, v2
	v_mov_b32_e32 v16, 0
	v_mov_b32_e32 v17, 0
	v_add_co_u32 v3, s9, v5, s10
	v_add_co_ci_u32_e64 v6, null, 0, s11, s9
	v_lshl_or_b32 v5, v5, 4, v8
	v_lshlrev_b32_e32 v13, 2, v9
	s_waitcnt lgkmcnt(0)
	v_mul_lo_u32 v11, s1, v3
	v_mul_lo_u32 v12, s0, v6
	v_mad_u64_u32 v[2:3], null, s0, v3, 0
	v_add_nc_u32_e32 v25, 0x400, v5
	v_mad_u64_u32 v[4:5], null, s14, v10, s[6:7]
	s_mul_i32 s1, s3, s8
	s_mul_hi_u32 s3, s2, s8
	s_mul_i32 s0, s2, s8
	v_add3_u32 v3, v3, v12, v11
	s_add_i32 s1, s3, s1
	v_mov_b32_e32 v6, 0
	s_lshl_b64 s[0:1], s[0:1], 1
	s_mul_i32 s2, s17, s8
	v_lshlrev_b64 v[2:3], 1, v[2:3]
	v_lshl_or_b32 v24, v10, 8, v13
	v_mov_b32_e32 v12, 0
	v_mov_b32_e32 v13, 0
	;; [unrolled: 1-line block ×4, first 2 shown]
	v_add_co_u32 v8, vcc_lo, v2, s0
	v_add_co_ci_u32_e64 v11, null, s1, v3, vcc_lo
	v_mad_u64_u32 v[2:3], null, s15, v10, v[5:6]
	v_add_co_u32 v3, vcc_lo, v4, v9
	v_lshlrev_b32_e32 v5, 1, v7
	s_mul_hi_u32 s0, s16, s8
	v_mov_b32_e32 v9, 0
	s_add_i32 s1, s0, s2
	v_add_co_ci_u32_e64 v4, null, 0, v2, vcc_lo
	v_add_co_u32 v2, vcc_lo, v8, v5
	s_mul_i32 s0, s16, s8
	v_lshlrev_b64 v[4:5], 1, v[3:4]
	v_add_co_ci_u32_e64 v7, null, 0, v11, vcc_lo
	s_lshl_b64 s[0:1], s[0:1], 1
	v_add_co_u32 v2, vcc_lo, s18, v2
	s_add_u32 s0, s12, s0
	v_add_co_ci_u32_e64 v3, null, s19, v7, vcc_lo
	s_addc_u32 s1, s13, s1
	v_add_co_u32 v4, vcc_lo, s0, v4
	v_add_co_ci_u32_e64 v5, null, s1, v5, vcc_lo
	v_mov_b32_e32 v7, 0
	v_mov_b32_e32 v8, 0
	;; [unrolled: 1-line block ×6, first 2 shown]
	s_lshl_b64 s[0:1], s[14:15], 3
	s_mov_b64 s[2:3], 0
.LBB363_2:                              ; =>This Inner Loop Header: Depth=1
	global_load_ushort v26, v[4:5], off
	global_load_ushort v27, v[2:3], off
	s_add_u32 s2, s2, 4
	s_addc_u32 s3, s3, 0
	v_add_co_u32 v2, vcc_lo, v2, 8
	v_cmp_lt_i64_e64 s9, s[2:3], s[20:21]
	v_add_co_ci_u32_e64 v3, null, 0, v3, vcc_lo
	v_add_co_u32 v4, vcc_lo, v4, s0
	v_add_co_ci_u32_e64 v5, null, s1, v5, vcc_lo
	s_and_b32 vcc_lo, exec_lo, s9
	s_waitcnt vmcnt(1)
	v_cvt_f32_f16_e32 v26, v26
	s_waitcnt vmcnt(0)
	v_cvt_f32_f16_e32 v27, v27
	ds_write_b32 v24, v26
	ds_write_b32 v25, v27
	s_waitcnt lgkmcnt(0)
	s_barrier
	buffer_gl0_inv
	ds_read_b128 v[26:29], v23
	ds_read2_b32 v[42:43], v22 offset1:16
	ds_read2_b32 v[44:45], v22 offset0:32 offset1:48
	ds_read_b128 v[30:33], v23 offset:256
	ds_read_b128 v[34:37], v23 offset:512
	;; [unrolled: 1-line block ×3, first 2 shown]
	ds_read2_b32 v[46:47], v22 offset0:64 offset1:80
	ds_read2_b32 v[48:49], v22 offset0:96 offset1:112
	ds_read2_b32 v[50:51], v22 offset0:128 offset1:144
	ds_read2_b32 v[52:53], v22 offset0:160 offset1:176
	ds_read2_b32 v[54:55], v22 offset0:192 offset1:208
	ds_read2_b32 v[56:57], v22 offset0:224 offset1:240
	s_waitcnt lgkmcnt(0)
	s_barrier
	buffer_gl0_inv
	v_fmac_f32_e32 v19, v42, v26
	v_fmac_f32_e32 v21, v43, v26
	;; [unrolled: 1-line block ×64, first 2 shown]
	s_cbranch_vccnz .LBB363_2
.LBB363_3:
	s_clause 0x3
	s_load_dwordx4 s[0:3], s[4:5], 0x78
	s_load_dword s9, s[4:5], 0x50
	s_load_dwordx8 s[12:19], s[4:5], 0x58
	s_load_dword s4, s[4:5], 0x18
	v_add_co_u32 v3, s5, s6, v0
	v_add_co_ci_u32_e64 v4, null, s7, 0, s5
	v_add_co_u32 v2, s5, s10, v1
	v_add_co_ci_u32_e64 v5, null, s11, 0, s5
	v_lshlrev_b64 v[0:1], 1, v[3:4]
	s_waitcnt lgkmcnt(0)
	s_mul_i32 s3, s3, s8
	s_mul_hi_u32 s5, s2, s8
	v_mul_lo_u32 v3, v5, s0
	v_mul_lo_u32 v4, v2, s1
	s_mul_i32 s2, s2, s8
	v_cmp_neq_f32_e64 s6, s9, 0
	s_add_i32 s3, s5, s3
	s_mov_b32 s5, 0
	s_lshl_b64 s[2:3], s[2:3], 1
	s_add_u32 s2, s18, s2
	s_addc_u32 s3, s19, s3
	s_and_b32 vcc_lo, exec_lo, s6
	s_cbranch_vccnz .LBB363_7
; %bb.4:
	v_mad_u64_u32 v[22:23], null, v2, s0, 0
	s_lshl_b64 s[6:7], s[0:1], 5
	v_fma_mixlo_f16 v26, s4, v19, 0
	v_fma_mixlo_f16 v27, s4, v21, 0
	;; [unrolled: 1-line block ×5, first 2 shown]
	v_add3_u32 v23, v23, v4, v3
	v_fma_mixlo_f16 v31, s4, v16, 0
	v_fma_mixlo_f16 v32, s4, v15, 0
	;; [unrolled: 1-line block ×3, first 2 shown]
	v_lshlrev_b64 v[22:23], 1, v[22:23]
	v_add_co_u32 v22, vcc_lo, s2, v22
	v_add_co_ci_u32_e64 v23, null, s3, v23, vcc_lo
	v_add_co_u32 v34, vcc_lo, v22, s6
	v_add_co_ci_u32_e64 v35, null, s7, v23, vcc_lo
	;; [unrolled: 2-line block ×4, first 2 shown]
	global_store_short v[22:23], v26, off
	global_store_short v[22:23], v27, off offset:32
	global_store_short v[22:23], v28, off offset:64
	;; [unrolled: 1-line block ×3, first 2 shown]
	global_store_short v[24:25], v30, off
	global_store_short v[24:25], v31, off offset:32
	v_add_co_u32 v26, vcc_lo, v34, s6
	v_add_co_ci_u32_e64 v27, null, s7, v35, vcc_lo
	v_fma_mixlo_f16 v28, s4, v13, 0
	v_add_co_u32 v22, vcc_lo, v26, v0
	v_add_co_ci_u32_e64 v23, null, v27, v1, vcc_lo
	v_fma_mixlo_f16 v29, s4, v12, 0
	v_fma_mixlo_f16 v30, s4, v11, 0
	global_store_short v[24:25], v32, off offset:64
	global_store_short v[24:25], v33, off offset:96
	global_store_short v[22:23], v28, off
	global_store_short v[22:23], v29, off offset:32
	global_store_short v[22:23], v30, off offset:64
	v_add_co_u32 v24, vcc_lo, v26, s6
	v_add_co_ci_u32_e64 v25, null, s7, v27, vcc_lo
	v_fma_mixlo_f16 v28, s4, v10, 0
	v_add_co_u32 v24, vcc_lo, v24, v0
	v_fma_mixlo_f16 v26, s4, v9, 0
	v_add_co_ci_u32_e64 v25, null, v25, v1, vcc_lo
	v_fma_mixlo_f16 v27, s4, v8, 0
	v_fma_mixlo_f16 v29, s4, v7, 0
	;; [unrolled: 1-line block ×3, first 2 shown]
	global_store_short v[22:23], v28, off offset:96
	global_store_short v[24:25], v26, off
	global_store_short v[24:25], v27, off offset:32
	global_store_short v[24:25], v29, off offset:64
	;; [unrolled: 1-line block ×3, first 2 shown]
	s_andn2_b32 vcc_lo, exec_lo, s5
	s_cbranch_vccnz .LBB363_6
.LBB363_5:
	v_mul_lo_u32 v5, v5, s14
	v_mul_lo_u32 v24, v2, s15
	v_mad_u64_u32 v[22:23], null, v2, s14, 0
	s_mul_i32 s5, s17, s8
	s_mul_hi_u32 s7, s16, s8
	s_mul_i32 s6, s16, s8
	s_add_i32 s7, s7, s5
	s_lshl_b64 s[6:7], s[6:7], 1
	v_add3_u32 v23, v23, v24, v5
	s_add_u32 s5, s12, s6
	s_addc_u32 s6, s13, s7
	v_mad_u64_u32 v[24:25], null, v2, s0, 0
	v_lshlrev_b64 v[22:23], 1, v[22:23]
	s_lshl_b64 s[0:1], s[0:1], 5
	v_add3_u32 v25, v25, v4, v3
	v_add_co_u32 v5, vcc_lo, s5, v22
	v_add_co_ci_u32_e64 v26, null, s6, v23, vcc_lo
	v_lshlrev_b64 v[2:3], 1, v[24:25]
	v_add_co_u32 v22, vcc_lo, v5, v0
	v_add_co_ci_u32_e64 v23, null, v26, v1, vcc_lo
	v_add_co_u32 v24, vcc_lo, s2, v2
	global_load_ushort v27, v[22:23], off
	v_add_co_ci_u32_e64 v25, null, s3, v3, vcc_lo
	v_add_co_u32 v2, vcc_lo, v24, v0
	s_lshl_b64 s[2:3], s[14:15], 5
	v_add_co_ci_u32_e64 v3, null, v25, v1, vcc_lo
	s_waitcnt vmcnt(0)
	v_cvt_f32_f16_e32 v4, v27
	v_mul_f32_e32 v4, s9, v4
	v_fma_mixlo_f16 v4, s4, v19, v4
	v_add_co_u32 v19, vcc_lo, v5, s2
	global_store_short v[2:3], v4, off
	global_load_ushort v4, v[22:23], off offset:32
	s_waitcnt vmcnt(0)
	v_cvt_f32_f16_e32 v4, v4
	v_mul_f32_e32 v4, s9, v4
	v_fma_mixlo_f16 v4, s4, v21, v4
	global_store_short v[2:3], v4, off offset:32
	global_load_ushort v4, v[22:23], off offset:64
	s_waitcnt vmcnt(0)
	v_cvt_f32_f16_e32 v4, v4
	v_mul_f32_e32 v4, s9, v4
	v_fma_mixlo_f16 v4, s4, v20, v4
	v_add_co_ci_u32_e64 v20, null, s3, v26, vcc_lo
	global_store_short v[2:3], v4, off offset:64
	global_load_ushort v4, v[22:23], off offset:96
	s_waitcnt vmcnt(0)
	v_cvt_f32_f16_e32 v4, v4
	v_mul_f32_e32 v4, s9, v4
	v_fma_mixlo_f16 v18, s4, v18, v4
	v_add_co_u32 v4, vcc_lo, v19, v0
	v_add_co_ci_u32_e64 v5, null, v20, v1, vcc_lo
	global_store_short v[2:3], v18, off offset:96
	v_add_co_u32 v18, vcc_lo, v24, s0
	global_load_ushort v2, v[4:5], off
	v_add_co_ci_u32_e64 v21, null, s1, v25, vcc_lo
	s_waitcnt vmcnt(0)
	v_cvt_f32_f16_e32 v2, v2
	v_mul_f32_e32 v22, s9, v2
	v_add_co_u32 v2, vcc_lo, v18, v0
	v_add_co_ci_u32_e64 v3, null, v21, v1, vcc_lo
	v_fma_mixlo_f16 v17, s4, v17, v22
	global_store_short v[2:3], v17, off
	global_load_ushort v17, v[4:5], off offset:32
	s_waitcnt vmcnt(0)
	v_cvt_f32_f16_e32 v17, v17
	v_mul_f32_e32 v17, s9, v17
	v_fma_mixlo_f16 v16, s4, v16, v17
	global_store_short v[2:3], v16, off offset:32
	global_load_ushort v16, v[4:5], off offset:64
	s_waitcnt vmcnt(0)
	v_cvt_f32_f16_e32 v16, v16
	v_mul_f32_e32 v16, s9, v16
	v_fma_mixlo_f16 v15, s4, v15, v16
	global_store_short v[2:3], v15, off offset:64
	global_load_ushort v4, v[4:5], off offset:96
	v_add_co_u32 v15, vcc_lo, v19, s2
	v_add_co_ci_u32_e64 v16, null, s3, v20, vcc_lo
	s_waitcnt vmcnt(0)
	v_cvt_f32_f16_e32 v4, v4
	v_mul_f32_e32 v4, s9, v4
	v_fma_mixlo_f16 v14, s4, v14, v4
	v_add_co_u32 v4, vcc_lo, v15, v0
	v_add_co_ci_u32_e64 v5, null, v16, v1, vcc_lo
	global_store_short v[2:3], v14, off offset:96
	v_add_co_u32 v14, vcc_lo, v18, s0
	global_load_ushort v2, v[4:5], off
	v_add_co_ci_u32_e64 v17, null, s1, v21, vcc_lo
	s_waitcnt vmcnt(0)
	v_cvt_f32_f16_e32 v2, v2
	v_mul_f32_e32 v18, s9, v2
	v_add_co_u32 v2, vcc_lo, v14, v0
	v_add_co_ci_u32_e64 v3, null, v17, v1, vcc_lo
	v_fma_mixlo_f16 v13, s4, v13, v18
	global_store_short v[2:3], v13, off
	global_load_ushort v13, v[4:5], off offset:32
	s_waitcnt vmcnt(0)
	v_cvt_f32_f16_e32 v13, v13
	v_mul_f32_e32 v13, s9, v13
	v_fma_mixlo_f16 v12, s4, v12, v13
	global_store_short v[2:3], v12, off offset:32
	global_load_ushort v12, v[4:5], off offset:64
	s_waitcnt vmcnt(0)
	v_cvt_f32_f16_e32 v12, v12
	v_mul_f32_e32 v12, s9, v12
	v_fma_mixlo_f16 v11, s4, v11, v12
	global_store_short v[2:3], v11, off offset:64
	global_load_ushort v4, v[4:5], off offset:96
	v_add_co_u32 v5, vcc_lo, v15, s2
	v_add_co_ci_u32_e64 v11, null, s3, v16, vcc_lo
	s_waitcnt vmcnt(0)
	v_cvt_f32_f16_e32 v4, v4
	v_mul_f32_e32 v4, s9, v4
	v_fma_mixlo_f16 v10, s4, v10, v4
	v_add_co_u32 v4, vcc_lo, v5, v0
	v_add_co_ci_u32_e64 v5, null, v11, v1, vcc_lo
	global_store_short v[2:3], v10, off offset:96
	v_add_co_u32 v3, vcc_lo, v14, s0
	global_load_ushort v2, v[4:5], off
	v_add_co_ci_u32_e64 v10, null, s1, v17, vcc_lo
	v_add_co_u32 v0, vcc_lo, v3, v0
	v_add_co_ci_u32_e64 v1, null, v10, v1, vcc_lo
	s_waitcnt vmcnt(0)
	v_cvt_f32_f16_e32 v2, v2
	v_mul_f32_e32 v2, s9, v2
	v_fma_mixlo_f16 v2, s4, v9, v2
	global_store_short v[0:1], v2, off
	global_load_ushort v2, v[4:5], off offset:32
	s_waitcnt vmcnt(0)
	v_cvt_f32_f16_e32 v2, v2
	v_mul_f32_e32 v2, s9, v2
	v_fma_mixlo_f16 v2, s4, v8, v2
	global_store_short v[0:1], v2, off offset:32
	global_load_ushort v2, v[4:5], off offset:64
	s_waitcnt vmcnt(0)
	v_cvt_f32_f16_e32 v2, v2
	v_mul_f32_e32 v2, s9, v2
	v_fma_mixlo_f16 v2, s4, v7, v2
	global_store_short v[0:1], v2, off offset:64
	;; [unrolled: 6-line block ×3, first 2 shown]
.LBB363_6:
	s_endpgm
.LBB363_7:
	s_branch .LBB363_5
	.section	.rodata,"a",@progbits
	.p2align	6, 0x0
	.amdhsa_kernel _ZN12_GLOBAL__N_127rocblas_gemm_batched_kernelIfLi16ELi16ELi64ELi64ELi4ELi64ELi4ELi4ELi64ELc78ELc78EKDF16_S1_DF16_EEvlllT_PT11_llS4_llS2_PT12_llPT13_lli
		.amdhsa_group_segment_fixed_size 2048
		.amdhsa_private_segment_fixed_size 0
		.amdhsa_kernarg_size 140
		.amdhsa_user_sgpr_count 6
		.amdhsa_user_sgpr_private_segment_buffer 1
		.amdhsa_user_sgpr_dispatch_ptr 0
		.amdhsa_user_sgpr_queue_ptr 0
		.amdhsa_user_sgpr_kernarg_segment_ptr 1
		.amdhsa_user_sgpr_dispatch_id 0
		.amdhsa_user_sgpr_flat_scratch_init 0
		.amdhsa_user_sgpr_private_segment_size 0
		.amdhsa_wavefront_size32 1
		.amdhsa_uses_dynamic_stack 0
		.amdhsa_system_sgpr_private_segment_wavefront_offset 0
		.amdhsa_system_sgpr_workgroup_id_x 1
		.amdhsa_system_sgpr_workgroup_id_y 1
		.amdhsa_system_sgpr_workgroup_id_z 1
		.amdhsa_system_sgpr_workgroup_info 0
		.amdhsa_system_vgpr_workitem_id 1
		.amdhsa_next_free_vgpr 58
		.amdhsa_next_free_sgpr 22
		.amdhsa_reserve_vcc 1
		.amdhsa_reserve_flat_scratch 0
		.amdhsa_float_round_mode_32 0
		.amdhsa_float_round_mode_16_64 0
		.amdhsa_float_denorm_mode_32 3
		.amdhsa_float_denorm_mode_16_64 3
		.amdhsa_dx10_clamp 1
		.amdhsa_ieee_mode 1
		.amdhsa_fp16_overflow 0
		.amdhsa_workgroup_processor_mode 1
		.amdhsa_memory_ordered 1
		.amdhsa_forward_progress 1
		.amdhsa_shared_vgpr_count 0
		.amdhsa_exception_fp_ieee_invalid_op 0
		.amdhsa_exception_fp_denorm_src 0
		.amdhsa_exception_fp_ieee_div_zero 0
		.amdhsa_exception_fp_ieee_overflow 0
		.amdhsa_exception_fp_ieee_underflow 0
		.amdhsa_exception_fp_ieee_inexact 0
		.amdhsa_exception_int_div_zero 0
	.end_amdhsa_kernel
	.section	.text._ZN12_GLOBAL__N_127rocblas_gemm_batched_kernelIfLi16ELi16ELi64ELi64ELi4ELi64ELi4ELi4ELi64ELc78ELc78EKDF16_S1_DF16_EEvlllT_PT11_llS4_llS2_PT12_llPT13_lli,"axG",@progbits,_ZN12_GLOBAL__N_127rocblas_gemm_batched_kernelIfLi16ELi16ELi64ELi64ELi4ELi64ELi4ELi4ELi64ELc78ELc78EKDF16_S1_DF16_EEvlllT_PT11_llS4_llS2_PT12_llPT13_lli,comdat
.Lfunc_end363:
	.size	_ZN12_GLOBAL__N_127rocblas_gemm_batched_kernelIfLi16ELi16ELi64ELi64ELi4ELi64ELi4ELi4ELi64ELc78ELc78EKDF16_S1_DF16_EEvlllT_PT11_llS4_llS2_PT12_llPT13_lli, .Lfunc_end363-_ZN12_GLOBAL__N_127rocblas_gemm_batched_kernelIfLi16ELi16ELi64ELi64ELi4ELi64ELi4ELi4ELi64ELc78ELc78EKDF16_S1_DF16_EEvlllT_PT11_llS4_llS2_PT12_llPT13_lli
                                        ; -- End function
	.set _ZN12_GLOBAL__N_127rocblas_gemm_batched_kernelIfLi16ELi16ELi64ELi64ELi4ELi64ELi4ELi4ELi64ELc78ELc78EKDF16_S1_DF16_EEvlllT_PT11_llS4_llS2_PT12_llPT13_lli.num_vgpr, 58
	.set _ZN12_GLOBAL__N_127rocblas_gemm_batched_kernelIfLi16ELi16ELi64ELi64ELi4ELi64ELi4ELi4ELi64ELc78ELc78EKDF16_S1_DF16_EEvlllT_PT11_llS4_llS2_PT12_llPT13_lli.num_agpr, 0
	.set _ZN12_GLOBAL__N_127rocblas_gemm_batched_kernelIfLi16ELi16ELi64ELi64ELi4ELi64ELi4ELi4ELi64ELc78ELc78EKDF16_S1_DF16_EEvlllT_PT11_llS4_llS2_PT12_llPT13_lli.numbered_sgpr, 22
	.set _ZN12_GLOBAL__N_127rocblas_gemm_batched_kernelIfLi16ELi16ELi64ELi64ELi4ELi64ELi4ELi4ELi64ELc78ELc78EKDF16_S1_DF16_EEvlllT_PT11_llS4_llS2_PT12_llPT13_lli.num_named_barrier, 0
	.set _ZN12_GLOBAL__N_127rocblas_gemm_batched_kernelIfLi16ELi16ELi64ELi64ELi4ELi64ELi4ELi4ELi64ELc78ELc78EKDF16_S1_DF16_EEvlllT_PT11_llS4_llS2_PT12_llPT13_lli.private_seg_size, 0
	.set _ZN12_GLOBAL__N_127rocblas_gemm_batched_kernelIfLi16ELi16ELi64ELi64ELi4ELi64ELi4ELi4ELi64ELc78ELc78EKDF16_S1_DF16_EEvlllT_PT11_llS4_llS2_PT12_llPT13_lli.uses_vcc, 1
	.set _ZN12_GLOBAL__N_127rocblas_gemm_batched_kernelIfLi16ELi16ELi64ELi64ELi4ELi64ELi4ELi4ELi64ELc78ELc78EKDF16_S1_DF16_EEvlllT_PT11_llS4_llS2_PT12_llPT13_lli.uses_flat_scratch, 0
	.set _ZN12_GLOBAL__N_127rocblas_gemm_batched_kernelIfLi16ELi16ELi64ELi64ELi4ELi64ELi4ELi4ELi64ELc78ELc78EKDF16_S1_DF16_EEvlllT_PT11_llS4_llS2_PT12_llPT13_lli.has_dyn_sized_stack, 0
	.set _ZN12_GLOBAL__N_127rocblas_gemm_batched_kernelIfLi16ELi16ELi64ELi64ELi4ELi64ELi4ELi4ELi64ELc78ELc78EKDF16_S1_DF16_EEvlllT_PT11_llS4_llS2_PT12_llPT13_lli.has_recursion, 0
	.set _ZN12_GLOBAL__N_127rocblas_gemm_batched_kernelIfLi16ELi16ELi64ELi64ELi4ELi64ELi4ELi4ELi64ELc78ELc78EKDF16_S1_DF16_EEvlllT_PT11_llS4_llS2_PT12_llPT13_lli.has_indirect_call, 0
	.section	.AMDGPU.csdata,"",@progbits
; Kernel info:
; codeLenInByte = 2480
; TotalNumSgprs: 24
; NumVgprs: 58
; ScratchSize: 0
; MemoryBound: 0
; FloatMode: 240
; IeeeMode: 1
; LDSByteSize: 2048 bytes/workgroup (compile time only)
; SGPRBlocks: 0
; VGPRBlocks: 7
; NumSGPRsForWavesPerEU: 24
; NumVGPRsForWavesPerEU: 58
; Occupancy: 16
; WaveLimiterHint : 0
; COMPUTE_PGM_RSRC2:SCRATCH_EN: 0
; COMPUTE_PGM_RSRC2:USER_SGPR: 6
; COMPUTE_PGM_RSRC2:TRAP_HANDLER: 0
; COMPUTE_PGM_RSRC2:TGID_X_EN: 1
; COMPUTE_PGM_RSRC2:TGID_Y_EN: 1
; COMPUTE_PGM_RSRC2:TGID_Z_EN: 1
; COMPUTE_PGM_RSRC2:TIDIG_COMP_CNT: 1
	.section	.text._ZN12_GLOBAL__N_127rocblas_gemm_batched_kernelIfLi16ELi16ELi64ELi64ELi4ELi64ELi4ELi4ELi64ELc84ELc78EKDF16_S1_DF16_EEvlllT_PT11_llS4_llS2_PT12_llPT13_lli,"axG",@progbits,_ZN12_GLOBAL__N_127rocblas_gemm_batched_kernelIfLi16ELi16ELi64ELi64ELi4ELi64ELi4ELi4ELi64ELc84ELc78EKDF16_S1_DF16_EEvlllT_PT11_llS4_llS2_PT12_llPT13_lli,comdat
	.globl	_ZN12_GLOBAL__N_127rocblas_gemm_batched_kernelIfLi16ELi16ELi64ELi64ELi4ELi64ELi4ELi4ELi64ELc84ELc78EKDF16_S1_DF16_EEvlllT_PT11_llS4_llS2_PT12_llPT13_lli ; -- Begin function _ZN12_GLOBAL__N_127rocblas_gemm_batched_kernelIfLi16ELi16ELi64ELi64ELi4ELi64ELi4ELi4ELi64ELc84ELc78EKDF16_S1_DF16_EEvlllT_PT11_llS4_llS2_PT12_llPT13_lli
	.p2align	8
	.type	_ZN12_GLOBAL__N_127rocblas_gemm_batched_kernelIfLi16ELi16ELi64ELi64ELi4ELi64ELi4ELi4ELi64ELc84ELc78EKDF16_S1_DF16_EEvlllT_PT11_llS4_llS2_PT12_llPT13_lli,@function
_ZN12_GLOBAL__N_127rocblas_gemm_batched_kernelIfLi16ELi16ELi64ELi64ELi4ELi64ELi4ELi4ELi64ELc84ELc78EKDF16_S1_DF16_EEvlllT_PT11_llS4_llS2_PT12_llPT13_lli: ; @_ZN12_GLOBAL__N_127rocblas_gemm_batched_kernelIfLi16ELi16ELi64ELi64ELi4ELi64ELi4ELi4ELi64ELc84ELc78EKDF16_S1_DF16_EEvlllT_PT11_llS4_llS2_PT12_llPT13_lli
; %bb.0:
	s_load_dwordx2 s[20:21], s[4:5], 0x10
	s_mov_b32 s0, s7
	v_mov_b32_e32 v19, 0
	v_mov_b32_e32 v21, 0
	;; [unrolled: 1-line block ×16, first 2 shown]
	s_ashr_i32 s7, s6, 31
	s_ashr_i32 s1, s0, 31
	s_waitcnt lgkmcnt(0)
	v_cmp_lt_i64_e64 s2, s[20:21], 1
	s_lshl_b64 s[6:7], s[6:7], 6
	s_lshl_b64 s[10:11], s[0:1], 6
	s_and_b32 vcc_lo, exec_lo, s2
	s_cbranch_vccnz .LBB364_3
; %bb.1:
	v_lshlrev_b32_e32 v7, 4, v1
	s_clause 0x1
	s_load_dwordx4 s[0:3], s[4:5], 0x40
	s_load_dwordx8 s[12:19], s[4:5], 0x20
	v_and_b32_e32 v8, 3, v0
	v_mov_b32_e32 v6, 0
	v_add_nc_u32_e32 v2, v7, v0
	v_add_nc_u32_e32 v25, 0x400, v7
	v_lshlrev_b32_e32 v22, 2, v0
	v_lshlrev_b32_e32 v4, 2, v8
	v_mov_b32_e32 v14, 0
	v_lshrrev_b32_e32 v3, 2, v2
	v_and_b32_e32 v5, 63, v2
	v_lshrrev_b32_e32 v11, 6, v2
	v_mov_b32_e32 v15, 0
	v_mov_b32_e32 v16, 0
	v_add_co_u32 v9, s9, v3, s10
	v_add_co_ci_u32_e64 v10, null, 0, s11, s9
	v_lshl_or_b32 v4, v3, 4, v4
	v_lshlrev_b32_e32 v12, 2, v5
	s_waitcnt lgkmcnt(0)
	v_mul_lo_u32 v13, s1, v9
	v_mul_lo_u32 v10, s0, v10
	v_mad_u64_u32 v[2:3], null, s0, v9, 0
	v_add_co_u32 v5, s0, s6, v5
	v_add_co_ci_u32_e64 v9, null, s7, 0, s0
	v_lshl_or_b32 v23, v11, 8, v12
	v_add_nc_u32_e32 v24, 0x400, v4
	v_mul_lo_u32 v12, s15, v5
	v_add3_u32 v3, v3, v10, v13
	v_mul_lo_u32 v9, s14, v9
	v_mad_u64_u32 v[4:5], null, s14, v5, 0
	s_mul_i32 s0, s3, s8
	s_mul_hi_u32 s1, s2, s8
	v_lshlrev_b64 v[2:3], 1, v[2:3]
	s_add_i32 s1, s1, s0
	s_mul_i32 s0, s2, s8
	v_mov_b32_e32 v10, 0
	v_add3_u32 v5, v5, v9, v12
	s_lshl_b64 s[0:1], s[0:1], 1
	v_mov_b32_e32 v12, 0
	v_add_co_u32 v7, vcc_lo, v2, s0
	v_add_co_ci_u32_e64 v9, null, s1, v3, vcc_lo
	s_mul_i32 s0, s17, s8
	s_mul_hi_u32 s1, s16, s8
	v_lshlrev_b64 v[2:3], 1, v[4:5]
	s_add_i32 s1, s1, s0
	s_mul_i32 s0, s16, s8
	v_lshlrev_b32_e32 v4, 1, v8
	s_lshl_b64 s[0:1], s[0:1], 1
	v_lshlrev_b32_e32 v5, 1, v11
	v_add_co_u32 v2, vcc_lo, v2, s0
	v_add_co_ci_u32_e64 v3, null, s1, v3, vcc_lo
	v_add_co_u32 v4, vcc_lo, v7, v4
	v_add_co_ci_u32_e64 v7, null, 0, v9, vcc_lo
	;; [unrolled: 2-line block ×5, first 2 shown]
	v_mov_b32_e32 v7, 0
	v_mov_b32_e32 v8, 0
	;; [unrolled: 1-line block ×10, first 2 shown]
	s_mov_b64 s[0:1], 0
.LBB364_2:                              ; =>This Inner Loop Header: Depth=1
	global_load_ushort v26, v[4:5], off
	global_load_ushort v27, v[2:3], off
	s_add_u32 s0, s0, 4
	s_addc_u32 s1, s1, 0
	v_add_co_u32 v2, vcc_lo, v2, 8
	v_cmp_lt_i64_e64 s2, s[0:1], s[20:21]
	v_add_co_ci_u32_e64 v3, null, 0, v3, vcc_lo
	v_add_co_u32 v4, vcc_lo, v4, 8
	v_add_co_ci_u32_e64 v5, null, 0, v5, vcc_lo
	s_and_b32 vcc_lo, exec_lo, s2
	s_waitcnt vmcnt(1)
	v_cvt_f32_f16_e32 v26, v26
	s_waitcnt vmcnt(0)
	v_cvt_f32_f16_e32 v27, v27
	ds_write_b32 v23, v26
	ds_write_b32 v24, v27
	s_waitcnt lgkmcnt(0)
	s_barrier
	buffer_gl0_inv
	ds_read_b128 v[26:29], v25
	ds_read2_b32 v[42:43], v22 offset1:16
	ds_read2_b32 v[44:45], v22 offset0:32 offset1:48
	ds_read_b128 v[30:33], v25 offset:256
	ds_read_b128 v[34:37], v25 offset:512
	;; [unrolled: 1-line block ×3, first 2 shown]
	ds_read2_b32 v[46:47], v22 offset0:64 offset1:80
	ds_read2_b32 v[48:49], v22 offset0:96 offset1:112
	;; [unrolled: 1-line block ×6, first 2 shown]
	s_waitcnt lgkmcnt(0)
	s_barrier
	buffer_gl0_inv
	v_fmac_f32_e32 v19, v42, v26
	v_fmac_f32_e32 v21, v43, v26
	;; [unrolled: 1-line block ×64, first 2 shown]
	s_cbranch_vccnz .LBB364_2
.LBB364_3:
	s_clause 0x3
	s_load_dwordx4 s[0:3], s[4:5], 0x78
	s_load_dword s9, s[4:5], 0x50
	s_load_dwordx8 s[12:19], s[4:5], 0x58
	s_load_dword s4, s[4:5], 0x18
	v_add_co_u32 v3, s5, s6, v0
	v_add_co_ci_u32_e64 v4, null, s7, 0, s5
	v_add_co_u32 v2, s5, s10, v1
	v_add_co_ci_u32_e64 v5, null, s11, 0, s5
	v_lshlrev_b64 v[0:1], 1, v[3:4]
	s_waitcnt lgkmcnt(0)
	s_mul_i32 s3, s3, s8
	s_mul_hi_u32 s5, s2, s8
	v_mul_lo_u32 v3, v5, s0
	v_mul_lo_u32 v4, v2, s1
	s_mul_i32 s2, s2, s8
	v_cmp_neq_f32_e64 s6, s9, 0
	s_add_i32 s3, s5, s3
	s_mov_b32 s5, 0
	s_lshl_b64 s[2:3], s[2:3], 1
	s_add_u32 s2, s18, s2
	s_addc_u32 s3, s19, s3
	s_and_b32 vcc_lo, exec_lo, s6
	s_cbranch_vccnz .LBB364_7
; %bb.4:
	v_mad_u64_u32 v[22:23], null, v2, s0, 0
	s_lshl_b64 s[6:7], s[0:1], 5
	v_fma_mixlo_f16 v26, s4, v19, 0
	v_fma_mixlo_f16 v27, s4, v21, 0
	;; [unrolled: 1-line block ×5, first 2 shown]
	v_add3_u32 v23, v23, v4, v3
	v_fma_mixlo_f16 v31, s4, v16, 0
	v_fma_mixlo_f16 v32, s4, v15, 0
	;; [unrolled: 1-line block ×3, first 2 shown]
	v_lshlrev_b64 v[22:23], 1, v[22:23]
	v_add_co_u32 v22, vcc_lo, s2, v22
	v_add_co_ci_u32_e64 v23, null, s3, v23, vcc_lo
	v_add_co_u32 v34, vcc_lo, v22, s6
	v_add_co_ci_u32_e64 v35, null, s7, v23, vcc_lo
	;; [unrolled: 2-line block ×4, first 2 shown]
	global_store_short v[22:23], v26, off
	global_store_short v[22:23], v27, off offset:32
	global_store_short v[22:23], v28, off offset:64
	global_store_short v[22:23], v29, off offset:96
	global_store_short v[24:25], v30, off
	global_store_short v[24:25], v31, off offset:32
	v_add_co_u32 v26, vcc_lo, v34, s6
	v_add_co_ci_u32_e64 v27, null, s7, v35, vcc_lo
	v_fma_mixlo_f16 v28, s4, v13, 0
	v_add_co_u32 v22, vcc_lo, v26, v0
	v_add_co_ci_u32_e64 v23, null, v27, v1, vcc_lo
	v_fma_mixlo_f16 v29, s4, v12, 0
	v_fma_mixlo_f16 v30, s4, v11, 0
	global_store_short v[24:25], v32, off offset:64
	global_store_short v[24:25], v33, off offset:96
	global_store_short v[22:23], v28, off
	global_store_short v[22:23], v29, off offset:32
	global_store_short v[22:23], v30, off offset:64
	v_add_co_u32 v24, vcc_lo, v26, s6
	v_add_co_ci_u32_e64 v25, null, s7, v27, vcc_lo
	v_fma_mixlo_f16 v28, s4, v10, 0
	v_add_co_u32 v24, vcc_lo, v24, v0
	v_fma_mixlo_f16 v26, s4, v9, 0
	v_add_co_ci_u32_e64 v25, null, v25, v1, vcc_lo
	v_fma_mixlo_f16 v27, s4, v8, 0
	v_fma_mixlo_f16 v29, s4, v7, 0
	v_fma_mixlo_f16 v30, s4, v6, 0
	global_store_short v[22:23], v28, off offset:96
	global_store_short v[24:25], v26, off
	global_store_short v[24:25], v27, off offset:32
	global_store_short v[24:25], v29, off offset:64
	;; [unrolled: 1-line block ×3, first 2 shown]
	s_andn2_b32 vcc_lo, exec_lo, s5
	s_cbranch_vccnz .LBB364_6
.LBB364_5:
	v_mul_lo_u32 v5, v5, s14
	v_mul_lo_u32 v24, v2, s15
	v_mad_u64_u32 v[22:23], null, v2, s14, 0
	s_mul_i32 s5, s17, s8
	s_mul_hi_u32 s7, s16, s8
	s_mul_i32 s6, s16, s8
	s_add_i32 s7, s7, s5
	s_lshl_b64 s[6:7], s[6:7], 1
	v_add3_u32 v23, v23, v24, v5
	s_add_u32 s5, s12, s6
	s_addc_u32 s6, s13, s7
	v_mad_u64_u32 v[24:25], null, v2, s0, 0
	v_lshlrev_b64 v[22:23], 1, v[22:23]
	s_lshl_b64 s[0:1], s[0:1], 5
	v_add3_u32 v25, v25, v4, v3
	v_add_co_u32 v5, vcc_lo, s5, v22
	v_add_co_ci_u32_e64 v26, null, s6, v23, vcc_lo
	v_lshlrev_b64 v[2:3], 1, v[24:25]
	v_add_co_u32 v22, vcc_lo, v5, v0
	v_add_co_ci_u32_e64 v23, null, v26, v1, vcc_lo
	v_add_co_u32 v24, vcc_lo, s2, v2
	global_load_ushort v27, v[22:23], off
	v_add_co_ci_u32_e64 v25, null, s3, v3, vcc_lo
	v_add_co_u32 v2, vcc_lo, v24, v0
	s_lshl_b64 s[2:3], s[14:15], 5
	v_add_co_ci_u32_e64 v3, null, v25, v1, vcc_lo
	s_waitcnt vmcnt(0)
	v_cvt_f32_f16_e32 v4, v27
	v_mul_f32_e32 v4, s9, v4
	v_fma_mixlo_f16 v4, s4, v19, v4
	v_add_co_u32 v19, vcc_lo, v5, s2
	global_store_short v[2:3], v4, off
	global_load_ushort v4, v[22:23], off offset:32
	s_waitcnt vmcnt(0)
	v_cvt_f32_f16_e32 v4, v4
	v_mul_f32_e32 v4, s9, v4
	v_fma_mixlo_f16 v4, s4, v21, v4
	global_store_short v[2:3], v4, off offset:32
	global_load_ushort v4, v[22:23], off offset:64
	s_waitcnt vmcnt(0)
	v_cvt_f32_f16_e32 v4, v4
	v_mul_f32_e32 v4, s9, v4
	v_fma_mixlo_f16 v4, s4, v20, v4
	v_add_co_ci_u32_e64 v20, null, s3, v26, vcc_lo
	global_store_short v[2:3], v4, off offset:64
	global_load_ushort v4, v[22:23], off offset:96
	s_waitcnt vmcnt(0)
	v_cvt_f32_f16_e32 v4, v4
	v_mul_f32_e32 v4, s9, v4
	v_fma_mixlo_f16 v18, s4, v18, v4
	v_add_co_u32 v4, vcc_lo, v19, v0
	v_add_co_ci_u32_e64 v5, null, v20, v1, vcc_lo
	global_store_short v[2:3], v18, off offset:96
	v_add_co_u32 v18, vcc_lo, v24, s0
	global_load_ushort v2, v[4:5], off
	v_add_co_ci_u32_e64 v21, null, s1, v25, vcc_lo
	s_waitcnt vmcnt(0)
	v_cvt_f32_f16_e32 v2, v2
	v_mul_f32_e32 v22, s9, v2
	v_add_co_u32 v2, vcc_lo, v18, v0
	v_add_co_ci_u32_e64 v3, null, v21, v1, vcc_lo
	v_fma_mixlo_f16 v17, s4, v17, v22
	global_store_short v[2:3], v17, off
	global_load_ushort v17, v[4:5], off offset:32
	s_waitcnt vmcnt(0)
	v_cvt_f32_f16_e32 v17, v17
	v_mul_f32_e32 v17, s9, v17
	v_fma_mixlo_f16 v16, s4, v16, v17
	global_store_short v[2:3], v16, off offset:32
	global_load_ushort v16, v[4:5], off offset:64
	s_waitcnt vmcnt(0)
	v_cvt_f32_f16_e32 v16, v16
	v_mul_f32_e32 v16, s9, v16
	v_fma_mixlo_f16 v15, s4, v15, v16
	global_store_short v[2:3], v15, off offset:64
	global_load_ushort v4, v[4:5], off offset:96
	v_add_co_u32 v15, vcc_lo, v19, s2
	v_add_co_ci_u32_e64 v16, null, s3, v20, vcc_lo
	s_waitcnt vmcnt(0)
	v_cvt_f32_f16_e32 v4, v4
	v_mul_f32_e32 v4, s9, v4
	v_fma_mixlo_f16 v14, s4, v14, v4
	v_add_co_u32 v4, vcc_lo, v15, v0
	v_add_co_ci_u32_e64 v5, null, v16, v1, vcc_lo
	global_store_short v[2:3], v14, off offset:96
	v_add_co_u32 v14, vcc_lo, v18, s0
	global_load_ushort v2, v[4:5], off
	v_add_co_ci_u32_e64 v17, null, s1, v21, vcc_lo
	s_waitcnt vmcnt(0)
	v_cvt_f32_f16_e32 v2, v2
	v_mul_f32_e32 v18, s9, v2
	v_add_co_u32 v2, vcc_lo, v14, v0
	v_add_co_ci_u32_e64 v3, null, v17, v1, vcc_lo
	v_fma_mixlo_f16 v13, s4, v13, v18
	global_store_short v[2:3], v13, off
	global_load_ushort v13, v[4:5], off offset:32
	s_waitcnt vmcnt(0)
	v_cvt_f32_f16_e32 v13, v13
	v_mul_f32_e32 v13, s9, v13
	v_fma_mixlo_f16 v12, s4, v12, v13
	global_store_short v[2:3], v12, off offset:32
	global_load_ushort v12, v[4:5], off offset:64
	s_waitcnt vmcnt(0)
	v_cvt_f32_f16_e32 v12, v12
	v_mul_f32_e32 v12, s9, v12
	v_fma_mixlo_f16 v11, s4, v11, v12
	global_store_short v[2:3], v11, off offset:64
	global_load_ushort v4, v[4:5], off offset:96
	v_add_co_u32 v5, vcc_lo, v15, s2
	v_add_co_ci_u32_e64 v11, null, s3, v16, vcc_lo
	s_waitcnt vmcnt(0)
	v_cvt_f32_f16_e32 v4, v4
	v_mul_f32_e32 v4, s9, v4
	v_fma_mixlo_f16 v10, s4, v10, v4
	v_add_co_u32 v4, vcc_lo, v5, v0
	v_add_co_ci_u32_e64 v5, null, v11, v1, vcc_lo
	global_store_short v[2:3], v10, off offset:96
	v_add_co_u32 v3, vcc_lo, v14, s0
	global_load_ushort v2, v[4:5], off
	v_add_co_ci_u32_e64 v10, null, s1, v17, vcc_lo
	v_add_co_u32 v0, vcc_lo, v3, v0
	v_add_co_ci_u32_e64 v1, null, v10, v1, vcc_lo
	s_waitcnt vmcnt(0)
	v_cvt_f32_f16_e32 v2, v2
	v_mul_f32_e32 v2, s9, v2
	v_fma_mixlo_f16 v2, s4, v9, v2
	global_store_short v[0:1], v2, off
	global_load_ushort v2, v[4:5], off offset:32
	s_waitcnt vmcnt(0)
	v_cvt_f32_f16_e32 v2, v2
	v_mul_f32_e32 v2, s9, v2
	v_fma_mixlo_f16 v2, s4, v8, v2
	global_store_short v[0:1], v2, off offset:32
	global_load_ushort v2, v[4:5], off offset:64
	s_waitcnt vmcnt(0)
	v_cvt_f32_f16_e32 v2, v2
	v_mul_f32_e32 v2, s9, v2
	v_fma_mixlo_f16 v2, s4, v7, v2
	global_store_short v[0:1], v2, off offset:64
	;; [unrolled: 6-line block ×3, first 2 shown]
.LBB364_6:
	s_endpgm
.LBB364_7:
	s_branch .LBB364_5
	.section	.rodata,"a",@progbits
	.p2align	6, 0x0
	.amdhsa_kernel _ZN12_GLOBAL__N_127rocblas_gemm_batched_kernelIfLi16ELi16ELi64ELi64ELi4ELi64ELi4ELi4ELi64ELc84ELc78EKDF16_S1_DF16_EEvlllT_PT11_llS4_llS2_PT12_llPT13_lli
		.amdhsa_group_segment_fixed_size 2048
		.amdhsa_private_segment_fixed_size 0
		.amdhsa_kernarg_size 140
		.amdhsa_user_sgpr_count 6
		.amdhsa_user_sgpr_private_segment_buffer 1
		.amdhsa_user_sgpr_dispatch_ptr 0
		.amdhsa_user_sgpr_queue_ptr 0
		.amdhsa_user_sgpr_kernarg_segment_ptr 1
		.amdhsa_user_sgpr_dispatch_id 0
		.amdhsa_user_sgpr_flat_scratch_init 0
		.amdhsa_user_sgpr_private_segment_size 0
		.amdhsa_wavefront_size32 1
		.amdhsa_uses_dynamic_stack 0
		.amdhsa_system_sgpr_private_segment_wavefront_offset 0
		.amdhsa_system_sgpr_workgroup_id_x 1
		.amdhsa_system_sgpr_workgroup_id_y 1
		.amdhsa_system_sgpr_workgroup_id_z 1
		.amdhsa_system_sgpr_workgroup_info 0
		.amdhsa_system_vgpr_workitem_id 1
		.amdhsa_next_free_vgpr 58
		.amdhsa_next_free_sgpr 22
		.amdhsa_reserve_vcc 1
		.amdhsa_reserve_flat_scratch 0
		.amdhsa_float_round_mode_32 0
		.amdhsa_float_round_mode_16_64 0
		.amdhsa_float_denorm_mode_32 3
		.amdhsa_float_denorm_mode_16_64 3
		.amdhsa_dx10_clamp 1
		.amdhsa_ieee_mode 1
		.amdhsa_fp16_overflow 0
		.amdhsa_workgroup_processor_mode 1
		.amdhsa_memory_ordered 1
		.amdhsa_forward_progress 1
		.amdhsa_shared_vgpr_count 0
		.amdhsa_exception_fp_ieee_invalid_op 0
		.amdhsa_exception_fp_denorm_src 0
		.amdhsa_exception_fp_ieee_div_zero 0
		.amdhsa_exception_fp_ieee_overflow 0
		.amdhsa_exception_fp_ieee_underflow 0
		.amdhsa_exception_fp_ieee_inexact 0
		.amdhsa_exception_int_div_zero 0
	.end_amdhsa_kernel
	.section	.text._ZN12_GLOBAL__N_127rocblas_gemm_batched_kernelIfLi16ELi16ELi64ELi64ELi4ELi64ELi4ELi4ELi64ELc84ELc78EKDF16_S1_DF16_EEvlllT_PT11_llS4_llS2_PT12_llPT13_lli,"axG",@progbits,_ZN12_GLOBAL__N_127rocblas_gemm_batched_kernelIfLi16ELi16ELi64ELi64ELi4ELi64ELi4ELi4ELi64ELc84ELc78EKDF16_S1_DF16_EEvlllT_PT11_llS4_llS2_PT12_llPT13_lli,comdat
.Lfunc_end364:
	.size	_ZN12_GLOBAL__N_127rocblas_gemm_batched_kernelIfLi16ELi16ELi64ELi64ELi4ELi64ELi4ELi4ELi64ELc84ELc78EKDF16_S1_DF16_EEvlllT_PT11_llS4_llS2_PT12_llPT13_lli, .Lfunc_end364-_ZN12_GLOBAL__N_127rocblas_gemm_batched_kernelIfLi16ELi16ELi64ELi64ELi4ELi64ELi4ELi4ELi64ELc84ELc78EKDF16_S1_DF16_EEvlllT_PT11_llS4_llS2_PT12_llPT13_lli
                                        ; -- End function
	.set _ZN12_GLOBAL__N_127rocblas_gemm_batched_kernelIfLi16ELi16ELi64ELi64ELi4ELi64ELi4ELi4ELi64ELc84ELc78EKDF16_S1_DF16_EEvlllT_PT11_llS4_llS2_PT12_llPT13_lli.num_vgpr, 58
	.set _ZN12_GLOBAL__N_127rocblas_gemm_batched_kernelIfLi16ELi16ELi64ELi64ELi4ELi64ELi4ELi4ELi64ELc84ELc78EKDF16_S1_DF16_EEvlllT_PT11_llS4_llS2_PT12_llPT13_lli.num_agpr, 0
	.set _ZN12_GLOBAL__N_127rocblas_gemm_batched_kernelIfLi16ELi16ELi64ELi64ELi4ELi64ELi4ELi4ELi64ELc84ELc78EKDF16_S1_DF16_EEvlllT_PT11_llS4_llS2_PT12_llPT13_lli.numbered_sgpr, 22
	.set _ZN12_GLOBAL__N_127rocblas_gemm_batched_kernelIfLi16ELi16ELi64ELi64ELi4ELi64ELi4ELi4ELi64ELc84ELc78EKDF16_S1_DF16_EEvlllT_PT11_llS4_llS2_PT12_llPT13_lli.num_named_barrier, 0
	.set _ZN12_GLOBAL__N_127rocblas_gemm_batched_kernelIfLi16ELi16ELi64ELi64ELi4ELi64ELi4ELi4ELi64ELc84ELc78EKDF16_S1_DF16_EEvlllT_PT11_llS4_llS2_PT12_llPT13_lli.private_seg_size, 0
	.set _ZN12_GLOBAL__N_127rocblas_gemm_batched_kernelIfLi16ELi16ELi64ELi64ELi4ELi64ELi4ELi4ELi64ELc84ELc78EKDF16_S1_DF16_EEvlllT_PT11_llS4_llS2_PT12_llPT13_lli.uses_vcc, 1
	.set _ZN12_GLOBAL__N_127rocblas_gemm_batched_kernelIfLi16ELi16ELi64ELi64ELi4ELi64ELi4ELi4ELi64ELc84ELc78EKDF16_S1_DF16_EEvlllT_PT11_llS4_llS2_PT12_llPT13_lli.uses_flat_scratch, 0
	.set _ZN12_GLOBAL__N_127rocblas_gemm_batched_kernelIfLi16ELi16ELi64ELi64ELi4ELi64ELi4ELi4ELi64ELc84ELc78EKDF16_S1_DF16_EEvlllT_PT11_llS4_llS2_PT12_llPT13_lli.has_dyn_sized_stack, 0
	.set _ZN12_GLOBAL__N_127rocblas_gemm_batched_kernelIfLi16ELi16ELi64ELi64ELi4ELi64ELi4ELi4ELi64ELc84ELc78EKDF16_S1_DF16_EEvlllT_PT11_llS4_llS2_PT12_llPT13_lli.has_recursion, 0
	.set _ZN12_GLOBAL__N_127rocblas_gemm_batched_kernelIfLi16ELi16ELi64ELi64ELi4ELi64ELi4ELi4ELi64ELc84ELc78EKDF16_S1_DF16_EEvlllT_PT11_llS4_llS2_PT12_llPT13_lli.has_indirect_call, 0
	.section	.AMDGPU.csdata,"",@progbits
; Kernel info:
; codeLenInByte = 2520
; TotalNumSgprs: 24
; NumVgprs: 58
; ScratchSize: 0
; MemoryBound: 0
; FloatMode: 240
; IeeeMode: 1
; LDSByteSize: 2048 bytes/workgroup (compile time only)
; SGPRBlocks: 0
; VGPRBlocks: 7
; NumSGPRsForWavesPerEU: 24
; NumVGPRsForWavesPerEU: 58
; Occupancy: 16
; WaveLimiterHint : 0
; COMPUTE_PGM_RSRC2:SCRATCH_EN: 0
; COMPUTE_PGM_RSRC2:USER_SGPR: 6
; COMPUTE_PGM_RSRC2:TRAP_HANDLER: 0
; COMPUTE_PGM_RSRC2:TGID_X_EN: 1
; COMPUTE_PGM_RSRC2:TGID_Y_EN: 1
; COMPUTE_PGM_RSRC2:TGID_Z_EN: 1
; COMPUTE_PGM_RSRC2:TIDIG_COMP_CNT: 1
	.section	.text._ZN12_GLOBAL__N_127rocblas_gemm_batched_kernelIfLi16ELi16ELi64ELi64ELi4ELi64ELi4ELi4ELi64ELc78ELc84EKDF16_S1_DF16_EEvlllT_PT11_llS4_llS2_PT12_llPT13_lli,"axG",@progbits,_ZN12_GLOBAL__N_127rocblas_gemm_batched_kernelIfLi16ELi16ELi64ELi64ELi4ELi64ELi4ELi4ELi64ELc78ELc84EKDF16_S1_DF16_EEvlllT_PT11_llS4_llS2_PT12_llPT13_lli,comdat
	.globl	_ZN12_GLOBAL__N_127rocblas_gemm_batched_kernelIfLi16ELi16ELi64ELi64ELi4ELi64ELi4ELi4ELi64ELc78ELc84EKDF16_S1_DF16_EEvlllT_PT11_llS4_llS2_PT12_llPT13_lli ; -- Begin function _ZN12_GLOBAL__N_127rocblas_gemm_batched_kernelIfLi16ELi16ELi64ELi64ELi4ELi64ELi4ELi4ELi64ELc78ELc84EKDF16_S1_DF16_EEvlllT_PT11_llS4_llS2_PT12_llPT13_lli
	.p2align	8
	.type	_ZN12_GLOBAL__N_127rocblas_gemm_batched_kernelIfLi16ELi16ELi64ELi64ELi4ELi64ELi4ELi4ELi64ELc78ELc84EKDF16_S1_DF16_EEvlllT_PT11_llS4_llS2_PT12_llPT13_lli,@function
_ZN12_GLOBAL__N_127rocblas_gemm_batched_kernelIfLi16ELi16ELi64ELi64ELi4ELi64ELi4ELi4ELi64ELc78ELc84EKDF16_S1_DF16_EEvlllT_PT11_llS4_llS2_PT12_llPT13_lli: ; @_ZN12_GLOBAL__N_127rocblas_gemm_batched_kernelIfLi16ELi16ELi64ELi64ELi4ELi64ELi4ELi4ELi64ELc78ELc84EKDF16_S1_DF16_EEvlllT_PT11_llS4_llS2_PT12_llPT13_lli
; %bb.0:
	s_load_dwordx2 s[20:21], s[4:5], 0x10
	s_mov_b32 s0, s7
	v_mov_b32_e32 v19, 0
	v_mov_b32_e32 v21, 0
	;; [unrolled: 1-line block ×16, first 2 shown]
	s_ashr_i32 s7, s6, 31
	s_ashr_i32 s1, s0, 31
	s_waitcnt lgkmcnt(0)
	v_cmp_lt_i64_e64 s2, s[20:21], 1
	s_lshl_b64 s[6:7], s[6:7], 6
	s_lshl_b64 s[10:11], s[0:1], 6
	s_and_b32 vcc_lo, exec_lo, s2
	s_cbranch_vccnz .LBB365_3
; %bb.1:
	v_lshlrev_b32_e32 v4, 4, v1
	s_clause 0x1
	s_load_dwordx4 s[0:3], s[4:5], 0x40
	s_load_dwordx8 s[12:19], s[4:5], 0x20
	v_and_b32_e32 v8, 3, v0
	v_lshlrev_b32_e32 v22, 2, v0
	v_add_nc_u32_e32 v3, v4, v0
	v_add_nc_u32_e32 v23, 0x400, v4
	v_lshlrev_b32_e32 v5, 2, v8
	v_lshrrev_b32_e32 v2, 2, v3
	v_and_b32_e32 v10, 63, v3
	v_lshrrev_b32_e32 v9, 6, v3
	v_mov_b32_e32 v3, 0
	v_lshl_or_b32 v5, v2, 4, v5
	v_lshlrev_b32_e32 v6, 2, v10
	v_mov_b32_e32 v11, v3
	v_mov_b32_e32 v12, v3
	v_add_nc_u32_e32 v25, 0x400, v5
	s_waitcnt lgkmcnt(0)
	v_mad_u64_u32 v[4:5], null, s0, v8, v[2:3]
	v_lshl_or_b32 v24, v9, 8, v6
	v_mad_u64_u32 v[6:7], null, s14, v9, s[6:7]
	s_mul_i32 s3, s3, s8
	s_mul_hi_u32 s9, s2, s8
	s_mul_i32 s2, s2, s8
	v_mov_b32_e32 v2, v5
	v_add_co_u32 v4, vcc_lo, v4, s10
	v_mov_b32_e32 v5, v7
	s_add_i32 s3, s9, s3
	v_mad_u64_u32 v[7:8], null, s1, v8, v[2:3]
	s_lshl_b64 s[2:3], s[2:3], 1
	v_mad_u64_u32 v[8:9], null, s15, v9, v[5:6]
	s_mul_i32 s17, s17, s8
	s_mul_hi_u32 s22, s16, s8
	s_add_u32 s9, s18, s2
	v_add_co_ci_u32_e64 v5, null, s11, v7, vcc_lo
	v_add_co_u32 v6, vcc_lo, v6, v10
	v_add_co_ci_u32_e64 v7, null, 0, v8, vcc_lo
	v_lshlrev_b64 v[4:5], 1, v[4:5]
	s_mul_i32 s16, s16, s8
	s_addc_u32 s18, s19, s3
	s_add_i32 s17, s22, s17
	v_lshlrev_b64 v[6:7], 1, v[6:7]
	s_lshl_b64 s[2:3], s[16:17], 1
	s_lshl_b64 s[0:1], s[0:1], 3
	v_add_co_u32 v4, vcc_lo, s9, v4
	s_add_u32 s2, s12, s2
	v_add_co_ci_u32_e64 v5, null, s18, v5, vcc_lo
	s_addc_u32 s3, s13, s3
	v_add_co_u32 v6, vcc_lo, s2, v6
	v_add_co_ci_u32_e64 v7, null, s3, v7, vcc_lo
	v_mov_b32_e32 v2, v3
	v_mov_b32_e32 v8, v3
	;; [unrolled: 1-line block ×13, first 2 shown]
	s_lshl_b64 s[2:3], s[14:15], 3
	s_mov_b64 s[12:13], 0
.LBB365_2:                              ; =>This Inner Loop Header: Depth=1
	global_load_ushort v26, v[6:7], off
	global_load_ushort v27, v[4:5], off
	s_add_u32 s12, s12, 4
	s_addc_u32 s13, s13, 0
	v_add_co_u32 v4, vcc_lo, v4, s0
	v_cmp_lt_i64_e64 s9, s[12:13], s[20:21]
	v_add_co_ci_u32_e64 v5, null, s1, v5, vcc_lo
	v_add_co_u32 v6, vcc_lo, v6, s2
	v_add_co_ci_u32_e64 v7, null, s3, v7, vcc_lo
	s_and_b32 vcc_lo, exec_lo, s9
	s_waitcnt vmcnt(1)
	v_cvt_f32_f16_e32 v26, v26
	s_waitcnt vmcnt(0)
	v_cvt_f32_f16_e32 v27, v27
	ds_write_b32 v24, v26
	ds_write_b32 v25, v27
	s_waitcnt lgkmcnt(0)
	s_barrier
	buffer_gl0_inv
	ds_read_b128 v[26:29], v23
	ds_read2_b32 v[42:43], v22 offset1:16
	ds_read2_b32 v[44:45], v22 offset0:32 offset1:48
	ds_read_b128 v[30:33], v23 offset:256
	ds_read_b128 v[34:37], v23 offset:512
	;; [unrolled: 1-line block ×3, first 2 shown]
	ds_read2_b32 v[46:47], v22 offset0:64 offset1:80
	ds_read2_b32 v[48:49], v22 offset0:96 offset1:112
	;; [unrolled: 1-line block ×6, first 2 shown]
	s_waitcnt lgkmcnt(0)
	s_barrier
	buffer_gl0_inv
	v_fmac_f32_e32 v19, v42, v26
	v_fmac_f32_e32 v21, v43, v26
	;; [unrolled: 1-line block ×64, first 2 shown]
	s_cbranch_vccnz .LBB365_2
.LBB365_3:
	s_clause 0x3
	s_load_dwordx4 s[0:3], s[4:5], 0x78
	s_load_dword s9, s[4:5], 0x50
	s_load_dwordx8 s[12:19], s[4:5], 0x58
	s_load_dword s4, s[4:5], 0x18
	v_add_co_u32 v5, s5, s6, v0
	v_add_co_ci_u32_e64 v6, null, s7, 0, s5
	v_add_co_u32 v4, s5, s10, v1
	v_add_co_ci_u32_e64 v7, null, s11, 0, s5
	v_lshlrev_b64 v[0:1], 1, v[5:6]
	s_waitcnt lgkmcnt(0)
	s_mul_i32 s3, s3, s8
	s_mul_hi_u32 s5, s2, s8
	v_mul_lo_u32 v5, v7, s0
	v_mul_lo_u32 v6, v4, s1
	s_mul_i32 s2, s2, s8
	v_cmp_neq_f32_e64 s6, s9, 0
	s_add_i32 s3, s5, s3
	s_mov_b32 s5, 0
	s_lshl_b64 s[2:3], s[2:3], 1
	s_add_u32 s2, s18, s2
	s_addc_u32 s3, s19, s3
	s_and_b32 vcc_lo, exec_lo, s6
	s_cbranch_vccnz .LBB365_7
; %bb.4:
	v_mad_u64_u32 v[22:23], null, v4, s0, 0
	s_lshl_b64 s[6:7], s[0:1], 5
	v_fma_mixlo_f16 v26, s4, v19, 0
	v_fma_mixlo_f16 v27, s4, v21, 0
	;; [unrolled: 1-line block ×5, first 2 shown]
	v_add3_u32 v23, v23, v6, v5
	v_fma_mixlo_f16 v31, s4, v16, 0
	v_fma_mixlo_f16 v32, s4, v15, 0
	;; [unrolled: 1-line block ×3, first 2 shown]
	v_lshlrev_b64 v[22:23], 1, v[22:23]
	v_add_co_u32 v22, vcc_lo, s2, v22
	v_add_co_ci_u32_e64 v23, null, s3, v23, vcc_lo
	v_add_co_u32 v34, vcc_lo, v22, s6
	v_add_co_ci_u32_e64 v35, null, s7, v23, vcc_lo
	;; [unrolled: 2-line block ×4, first 2 shown]
	global_store_short v[22:23], v26, off
	global_store_short v[22:23], v27, off offset:32
	global_store_short v[22:23], v28, off offset:64
	;; [unrolled: 1-line block ×3, first 2 shown]
	global_store_short v[24:25], v30, off
	global_store_short v[24:25], v31, off offset:32
	v_add_co_u32 v26, vcc_lo, v34, s6
	v_add_co_ci_u32_e64 v27, null, s7, v35, vcc_lo
	v_fma_mixlo_f16 v28, s4, v13, 0
	v_add_co_u32 v22, vcc_lo, v26, v0
	v_add_co_ci_u32_e64 v23, null, v27, v1, vcc_lo
	v_fma_mixlo_f16 v29, s4, v12, 0
	v_fma_mixlo_f16 v30, s4, v11, 0
	global_store_short v[24:25], v32, off offset:64
	global_store_short v[24:25], v33, off offset:96
	global_store_short v[22:23], v28, off
	global_store_short v[22:23], v29, off offset:32
	global_store_short v[22:23], v30, off offset:64
	v_add_co_u32 v24, vcc_lo, v26, s6
	v_add_co_ci_u32_e64 v25, null, s7, v27, vcc_lo
	v_fma_mixlo_f16 v28, s4, v10, 0
	v_add_co_u32 v24, vcc_lo, v24, v0
	v_fma_mixlo_f16 v26, s4, v9, 0
	v_add_co_ci_u32_e64 v25, null, v25, v1, vcc_lo
	v_fma_mixlo_f16 v27, s4, v8, 0
	v_fma_mixlo_f16 v29, s4, v2, 0
	;; [unrolled: 1-line block ×3, first 2 shown]
	global_store_short v[22:23], v28, off offset:96
	global_store_short v[24:25], v26, off
	global_store_short v[24:25], v27, off offset:32
	global_store_short v[24:25], v29, off offset:64
	;; [unrolled: 1-line block ×3, first 2 shown]
	s_andn2_b32 vcc_lo, exec_lo, s5
	s_cbranch_vccnz .LBB365_6
.LBB365_5:
	v_mul_lo_u32 v7, v7, s14
	v_mul_lo_u32 v24, v4, s15
	v_mad_u64_u32 v[22:23], null, v4, s14, 0
	s_mul_i32 s5, s17, s8
	s_mul_hi_u32 s7, s16, s8
	s_mul_i32 s6, s16, s8
	s_add_i32 s7, s7, s5
	s_lshl_b64 s[6:7], s[6:7], 1
	v_add3_u32 v23, v23, v24, v7
	s_add_u32 s5, s12, s6
	s_addc_u32 s6, s13, s7
	v_mad_u64_u32 v[24:25], null, v4, s0, 0
	v_lshlrev_b64 v[22:23], 1, v[22:23]
	s_lshl_b64 s[0:1], s[0:1], 5
	v_add3_u32 v25, v25, v6, v5
	v_add_co_u32 v7, vcc_lo, s5, v22
	v_add_co_ci_u32_e64 v26, null, s6, v23, vcc_lo
	v_lshlrev_b64 v[4:5], 1, v[24:25]
	v_add_co_u32 v22, vcc_lo, v7, v0
	v_add_co_ci_u32_e64 v23, null, v26, v1, vcc_lo
	v_add_co_u32 v24, vcc_lo, s2, v4
	global_load_ushort v27, v[22:23], off
	v_add_co_ci_u32_e64 v25, null, s3, v5, vcc_lo
	v_add_co_u32 v4, vcc_lo, v24, v0
	s_lshl_b64 s[2:3], s[14:15], 5
	v_add_co_ci_u32_e64 v5, null, v25, v1, vcc_lo
	s_waitcnt vmcnt(0)
	v_cvt_f32_f16_e32 v6, v27
	v_mul_f32_e32 v6, s9, v6
	v_fma_mixlo_f16 v6, s4, v19, v6
	v_add_co_u32 v19, vcc_lo, v7, s2
	global_store_short v[4:5], v6, off
	global_load_ushort v6, v[22:23], off offset:32
	s_waitcnt vmcnt(0)
	v_cvt_f32_f16_e32 v6, v6
	v_mul_f32_e32 v6, s9, v6
	v_fma_mixlo_f16 v6, s4, v21, v6
	global_store_short v[4:5], v6, off offset:32
	global_load_ushort v6, v[22:23], off offset:64
	s_waitcnt vmcnt(0)
	v_cvt_f32_f16_e32 v6, v6
	v_mul_f32_e32 v6, s9, v6
	v_fma_mixlo_f16 v6, s4, v20, v6
	v_add_co_ci_u32_e64 v20, null, s3, v26, vcc_lo
	global_store_short v[4:5], v6, off offset:64
	global_load_ushort v6, v[22:23], off offset:96
	s_waitcnt vmcnt(0)
	v_cvt_f32_f16_e32 v6, v6
	v_mul_f32_e32 v6, s9, v6
	v_fma_mixlo_f16 v18, s4, v18, v6
	v_add_co_u32 v6, vcc_lo, v19, v0
	v_add_co_ci_u32_e64 v7, null, v20, v1, vcc_lo
	global_store_short v[4:5], v18, off offset:96
	v_add_co_u32 v18, vcc_lo, v24, s0
	global_load_ushort v4, v[6:7], off
	v_add_co_ci_u32_e64 v21, null, s1, v25, vcc_lo
	s_waitcnt vmcnt(0)
	v_cvt_f32_f16_e32 v4, v4
	v_mul_f32_e32 v22, s9, v4
	v_add_co_u32 v4, vcc_lo, v18, v0
	v_add_co_ci_u32_e64 v5, null, v21, v1, vcc_lo
	v_fma_mixlo_f16 v17, s4, v17, v22
	global_store_short v[4:5], v17, off
	global_load_ushort v17, v[6:7], off offset:32
	s_waitcnt vmcnt(0)
	v_cvt_f32_f16_e32 v17, v17
	v_mul_f32_e32 v17, s9, v17
	v_fma_mixlo_f16 v16, s4, v16, v17
	global_store_short v[4:5], v16, off offset:32
	global_load_ushort v16, v[6:7], off offset:64
	s_waitcnt vmcnt(0)
	v_cvt_f32_f16_e32 v16, v16
	v_mul_f32_e32 v16, s9, v16
	v_fma_mixlo_f16 v15, s4, v15, v16
	global_store_short v[4:5], v15, off offset:64
	global_load_ushort v6, v[6:7], off offset:96
	v_add_co_u32 v15, vcc_lo, v19, s2
	v_add_co_ci_u32_e64 v16, null, s3, v20, vcc_lo
	s_waitcnt vmcnt(0)
	v_cvt_f32_f16_e32 v6, v6
	v_mul_f32_e32 v6, s9, v6
	v_fma_mixlo_f16 v14, s4, v14, v6
	v_add_co_u32 v6, vcc_lo, v15, v0
	v_add_co_ci_u32_e64 v7, null, v16, v1, vcc_lo
	global_store_short v[4:5], v14, off offset:96
	v_add_co_u32 v14, vcc_lo, v18, s0
	global_load_ushort v4, v[6:7], off
	v_add_co_ci_u32_e64 v17, null, s1, v21, vcc_lo
	s_waitcnt vmcnt(0)
	v_cvt_f32_f16_e32 v4, v4
	v_mul_f32_e32 v18, s9, v4
	v_add_co_u32 v4, vcc_lo, v14, v0
	v_add_co_ci_u32_e64 v5, null, v17, v1, vcc_lo
	v_fma_mixlo_f16 v13, s4, v13, v18
	global_store_short v[4:5], v13, off
	global_load_ushort v13, v[6:7], off offset:32
	s_waitcnt vmcnt(0)
	v_cvt_f32_f16_e32 v13, v13
	v_mul_f32_e32 v13, s9, v13
	v_fma_mixlo_f16 v12, s4, v12, v13
	global_store_short v[4:5], v12, off offset:32
	global_load_ushort v12, v[6:7], off offset:64
	s_waitcnt vmcnt(0)
	v_cvt_f32_f16_e32 v12, v12
	v_mul_f32_e32 v12, s9, v12
	v_fma_mixlo_f16 v11, s4, v11, v12
	global_store_short v[4:5], v11, off offset:64
	global_load_ushort v6, v[6:7], off offset:96
	v_add_co_u32 v7, vcc_lo, v15, s2
	v_add_co_ci_u32_e64 v11, null, s3, v16, vcc_lo
	s_waitcnt vmcnt(0)
	v_cvt_f32_f16_e32 v6, v6
	v_mul_f32_e32 v6, s9, v6
	v_fma_mixlo_f16 v10, s4, v10, v6
	v_add_co_u32 v6, vcc_lo, v7, v0
	v_add_co_ci_u32_e64 v7, null, v11, v1, vcc_lo
	global_store_short v[4:5], v10, off offset:96
	v_add_co_u32 v5, vcc_lo, v14, s0
	global_load_ushort v4, v[6:7], off
	v_add_co_ci_u32_e64 v10, null, s1, v17, vcc_lo
	v_add_co_u32 v0, vcc_lo, v5, v0
	v_add_co_ci_u32_e64 v1, null, v10, v1, vcc_lo
	s_waitcnt vmcnt(0)
	v_cvt_f32_f16_e32 v4, v4
	v_mul_f32_e32 v4, s9, v4
	v_fma_mixlo_f16 v4, s4, v9, v4
	global_store_short v[0:1], v4, off
	global_load_ushort v4, v[6:7], off offset:32
	s_waitcnt vmcnt(0)
	v_cvt_f32_f16_e32 v4, v4
	v_mul_f32_e32 v4, s9, v4
	v_fma_mixlo_f16 v4, s4, v8, v4
	global_store_short v[0:1], v4, off offset:32
	global_load_ushort v4, v[6:7], off offset:64
	s_waitcnt vmcnt(0)
	v_cvt_f32_f16_e32 v4, v4
	v_mul_f32_e32 v4, s9, v4
	v_fma_mixlo_f16 v2, s4, v2, v4
	global_store_short v[0:1], v2, off offset:64
	;; [unrolled: 6-line block ×3, first 2 shown]
.LBB365_6:
	s_endpgm
.LBB365_7:
	s_branch .LBB365_5
	.section	.rodata,"a",@progbits
	.p2align	6, 0x0
	.amdhsa_kernel _ZN12_GLOBAL__N_127rocblas_gemm_batched_kernelIfLi16ELi16ELi64ELi64ELi4ELi64ELi4ELi4ELi64ELc78ELc84EKDF16_S1_DF16_EEvlllT_PT11_llS4_llS2_PT12_llPT13_lli
		.amdhsa_group_segment_fixed_size 2048
		.amdhsa_private_segment_fixed_size 0
		.amdhsa_kernarg_size 140
		.amdhsa_user_sgpr_count 6
		.amdhsa_user_sgpr_private_segment_buffer 1
		.amdhsa_user_sgpr_dispatch_ptr 0
		.amdhsa_user_sgpr_queue_ptr 0
		.amdhsa_user_sgpr_kernarg_segment_ptr 1
		.amdhsa_user_sgpr_dispatch_id 0
		.amdhsa_user_sgpr_flat_scratch_init 0
		.amdhsa_user_sgpr_private_segment_size 0
		.amdhsa_wavefront_size32 1
		.amdhsa_uses_dynamic_stack 0
		.amdhsa_system_sgpr_private_segment_wavefront_offset 0
		.amdhsa_system_sgpr_workgroup_id_x 1
		.amdhsa_system_sgpr_workgroup_id_y 1
		.amdhsa_system_sgpr_workgroup_id_z 1
		.amdhsa_system_sgpr_workgroup_info 0
		.amdhsa_system_vgpr_workitem_id 1
		.amdhsa_next_free_vgpr 58
		.amdhsa_next_free_sgpr 23
		.amdhsa_reserve_vcc 1
		.amdhsa_reserve_flat_scratch 0
		.amdhsa_float_round_mode_32 0
		.amdhsa_float_round_mode_16_64 0
		.amdhsa_float_denorm_mode_32 3
		.amdhsa_float_denorm_mode_16_64 3
		.amdhsa_dx10_clamp 1
		.amdhsa_ieee_mode 1
		.amdhsa_fp16_overflow 0
		.amdhsa_workgroup_processor_mode 1
		.amdhsa_memory_ordered 1
		.amdhsa_forward_progress 1
		.amdhsa_shared_vgpr_count 0
		.amdhsa_exception_fp_ieee_invalid_op 0
		.amdhsa_exception_fp_denorm_src 0
		.amdhsa_exception_fp_ieee_div_zero 0
		.amdhsa_exception_fp_ieee_overflow 0
		.amdhsa_exception_fp_ieee_underflow 0
		.amdhsa_exception_fp_ieee_inexact 0
		.amdhsa_exception_int_div_zero 0
	.end_amdhsa_kernel
	.section	.text._ZN12_GLOBAL__N_127rocblas_gemm_batched_kernelIfLi16ELi16ELi64ELi64ELi4ELi64ELi4ELi4ELi64ELc78ELc84EKDF16_S1_DF16_EEvlllT_PT11_llS4_llS2_PT12_llPT13_lli,"axG",@progbits,_ZN12_GLOBAL__N_127rocblas_gemm_batched_kernelIfLi16ELi16ELi64ELi64ELi4ELi64ELi4ELi4ELi64ELc78ELc84EKDF16_S1_DF16_EEvlllT_PT11_llS4_llS2_PT12_llPT13_lli,comdat
.Lfunc_end365:
	.size	_ZN12_GLOBAL__N_127rocblas_gemm_batched_kernelIfLi16ELi16ELi64ELi64ELi4ELi64ELi4ELi4ELi64ELc78ELc84EKDF16_S1_DF16_EEvlllT_PT11_llS4_llS2_PT12_llPT13_lli, .Lfunc_end365-_ZN12_GLOBAL__N_127rocblas_gemm_batched_kernelIfLi16ELi16ELi64ELi64ELi4ELi64ELi4ELi4ELi64ELc78ELc84EKDF16_S1_DF16_EEvlllT_PT11_llS4_llS2_PT12_llPT13_lli
                                        ; -- End function
	.set _ZN12_GLOBAL__N_127rocblas_gemm_batched_kernelIfLi16ELi16ELi64ELi64ELi4ELi64ELi4ELi4ELi64ELc78ELc84EKDF16_S1_DF16_EEvlllT_PT11_llS4_llS2_PT12_llPT13_lli.num_vgpr, 58
	.set _ZN12_GLOBAL__N_127rocblas_gemm_batched_kernelIfLi16ELi16ELi64ELi64ELi4ELi64ELi4ELi4ELi64ELc78ELc84EKDF16_S1_DF16_EEvlllT_PT11_llS4_llS2_PT12_llPT13_lli.num_agpr, 0
	.set _ZN12_GLOBAL__N_127rocblas_gemm_batched_kernelIfLi16ELi16ELi64ELi64ELi4ELi64ELi4ELi4ELi64ELc78ELc84EKDF16_S1_DF16_EEvlllT_PT11_llS4_llS2_PT12_llPT13_lli.numbered_sgpr, 23
	.set _ZN12_GLOBAL__N_127rocblas_gemm_batched_kernelIfLi16ELi16ELi64ELi64ELi4ELi64ELi4ELi4ELi64ELc78ELc84EKDF16_S1_DF16_EEvlllT_PT11_llS4_llS2_PT12_llPT13_lli.num_named_barrier, 0
	.set _ZN12_GLOBAL__N_127rocblas_gemm_batched_kernelIfLi16ELi16ELi64ELi64ELi4ELi64ELi4ELi4ELi64ELc78ELc84EKDF16_S1_DF16_EEvlllT_PT11_llS4_llS2_PT12_llPT13_lli.private_seg_size, 0
	.set _ZN12_GLOBAL__N_127rocblas_gemm_batched_kernelIfLi16ELi16ELi64ELi64ELi4ELi64ELi4ELi4ELi64ELc78ELc84EKDF16_S1_DF16_EEvlllT_PT11_llS4_llS2_PT12_llPT13_lli.uses_vcc, 1
	.set _ZN12_GLOBAL__N_127rocblas_gemm_batched_kernelIfLi16ELi16ELi64ELi64ELi4ELi64ELi4ELi4ELi64ELc78ELc84EKDF16_S1_DF16_EEvlllT_PT11_llS4_llS2_PT12_llPT13_lli.uses_flat_scratch, 0
	.set _ZN12_GLOBAL__N_127rocblas_gemm_batched_kernelIfLi16ELi16ELi64ELi64ELi4ELi64ELi4ELi4ELi64ELc78ELc84EKDF16_S1_DF16_EEvlllT_PT11_llS4_llS2_PT12_llPT13_lli.has_dyn_sized_stack, 0
	.set _ZN12_GLOBAL__N_127rocblas_gemm_batched_kernelIfLi16ELi16ELi64ELi64ELi4ELi64ELi4ELi4ELi64ELc78ELc84EKDF16_S1_DF16_EEvlllT_PT11_llS4_llS2_PT12_llPT13_lli.has_recursion, 0
	.set _ZN12_GLOBAL__N_127rocblas_gemm_batched_kernelIfLi16ELi16ELi64ELi64ELi4ELi64ELi4ELi4ELi64ELc78ELc84EKDF16_S1_DF16_EEvlllT_PT11_llS4_llS2_PT12_llPT13_lli.has_indirect_call, 0
	.section	.AMDGPU.csdata,"",@progbits
; Kernel info:
; codeLenInByte = 2448
; TotalNumSgprs: 25
; NumVgprs: 58
; ScratchSize: 0
; MemoryBound: 0
; FloatMode: 240
; IeeeMode: 1
; LDSByteSize: 2048 bytes/workgroup (compile time only)
; SGPRBlocks: 0
; VGPRBlocks: 7
; NumSGPRsForWavesPerEU: 25
; NumVGPRsForWavesPerEU: 58
; Occupancy: 16
; WaveLimiterHint : 0
; COMPUTE_PGM_RSRC2:SCRATCH_EN: 0
; COMPUTE_PGM_RSRC2:USER_SGPR: 6
; COMPUTE_PGM_RSRC2:TRAP_HANDLER: 0
; COMPUTE_PGM_RSRC2:TGID_X_EN: 1
; COMPUTE_PGM_RSRC2:TGID_Y_EN: 1
; COMPUTE_PGM_RSRC2:TGID_Z_EN: 1
; COMPUTE_PGM_RSRC2:TIDIG_COMP_CNT: 1
	.section	.text._ZN12_GLOBAL__N_127rocblas_gemm_batched_kernelIfLi16ELi16ELi64ELi64ELi4ELi64ELi4ELi4ELi64ELc84ELc84EKDF16_S1_DF16_EEvlllT_PT11_llS4_llS2_PT12_llPT13_lli,"axG",@progbits,_ZN12_GLOBAL__N_127rocblas_gemm_batched_kernelIfLi16ELi16ELi64ELi64ELi4ELi64ELi4ELi4ELi64ELc84ELc84EKDF16_S1_DF16_EEvlllT_PT11_llS4_llS2_PT12_llPT13_lli,comdat
	.globl	_ZN12_GLOBAL__N_127rocblas_gemm_batched_kernelIfLi16ELi16ELi64ELi64ELi4ELi64ELi4ELi4ELi64ELc84ELc84EKDF16_S1_DF16_EEvlllT_PT11_llS4_llS2_PT12_llPT13_lli ; -- Begin function _ZN12_GLOBAL__N_127rocblas_gemm_batched_kernelIfLi16ELi16ELi64ELi64ELi4ELi64ELi4ELi4ELi64ELc84ELc84EKDF16_S1_DF16_EEvlllT_PT11_llS4_llS2_PT12_llPT13_lli
	.p2align	8
	.type	_ZN12_GLOBAL__N_127rocblas_gemm_batched_kernelIfLi16ELi16ELi64ELi64ELi4ELi64ELi4ELi4ELi64ELc84ELc84EKDF16_S1_DF16_EEvlllT_PT11_llS4_llS2_PT12_llPT13_lli,@function
_ZN12_GLOBAL__N_127rocblas_gemm_batched_kernelIfLi16ELi16ELi64ELi64ELi4ELi64ELi4ELi4ELi64ELc84ELc84EKDF16_S1_DF16_EEvlllT_PT11_llS4_llS2_PT12_llPT13_lli: ; @_ZN12_GLOBAL__N_127rocblas_gemm_batched_kernelIfLi16ELi16ELi64ELi64ELi4ELi64ELi4ELi4ELi64ELc84ELc84EKDF16_S1_DF16_EEvlllT_PT11_llS4_llS2_PT12_llPT13_lli
; %bb.0:
	s_load_dwordx2 s[20:21], s[4:5], 0x10
	s_mov_b32 s0, s7
	v_mov_b32_e32 v19, 0
	v_mov_b32_e32 v21, 0
	v_mov_b32_e32 v20, 0
	v_mov_b32_e32 v18, 0
	v_mov_b32_e32 v17, 0
	v_mov_b32_e32 v16, 0
	v_mov_b32_e32 v15, 0
	v_mov_b32_e32 v14, 0
	v_mov_b32_e32 v13, 0
	v_mov_b32_e32 v12, 0
	v_mov_b32_e32 v11, 0
	v_mov_b32_e32 v10, 0
	v_mov_b32_e32 v9, 0
	v_mov_b32_e32 v8, 0
	v_mov_b32_e32 v2, 0
	v_mov_b32_e32 v3, 0
	s_ashr_i32 s7, s6, 31
	s_ashr_i32 s1, s0, 31
	s_waitcnt lgkmcnt(0)
	v_cmp_lt_i64_e64 s2, s[20:21], 1
	s_lshl_b64 s[6:7], s[6:7], 6
	s_lshl_b64 s[10:11], s[0:1], 6
	s_and_b32 vcc_lo, exec_lo, s2
	s_cbranch_vccnz .LBB366_3
; %bb.1:
	v_lshlrev_b32_e32 v4, 4, v1
	s_clause 0x1
	s_load_dwordx4 s[0:3], s[4:5], 0x40
	s_load_dwordx8 s[12:19], s[4:5], 0x20
	v_and_b32_e32 v8, 3, v0
	v_mov_b32_e32 v3, 0
	v_add_nc_u32_e32 v5, v4, v0
	v_add_nc_u32_e32 v23, 0x400, v4
	v_lshlrev_b32_e32 v22, 2, v0
	v_lshlrev_b32_e32 v6, 2, v8
	v_mov_b32_e32 v13, v3
	v_and_b32_e32 v7, 63, v5
	v_lshrrev_b32_e32 v2, 2, v5
	v_lshrrev_b32_e32 v10, 6, v5
	v_mov_b32_e32 v14, v3
	v_mov_b32_e32 v15, v3
	v_lshlrev_b32_e32 v4, 2, v7
	v_lshl_or_b32 v9, v2, 4, v6
	v_add_co_u32 v6, s9, s6, v7
	v_add_co_ci_u32_e64 v7, null, s7, 0, s9
	v_lshl_or_b32 v24, v10, 8, v4
	s_waitcnt lgkmcnt(0)
	v_mad_u64_u32 v[4:5], null, s0, v8, v[2:3]
	v_mul_lo_u32 v11, s15, v6
	v_mul_lo_u32 v12, s14, v7
	v_mad_u64_u32 v[6:7], null, s14, v6, 0
	s_mul_i32 s3, s3, s8
	s_mul_hi_u32 s9, s2, s8
	v_mov_b32_e32 v2, v5
	s_mul_i32 s2, s2, s8
	s_add_i32 s3, s9, s3
	v_add_nc_u32_e32 v25, 0x400, v9
	v_add3_u32 v7, v7, v12, v11
	v_mad_u64_u32 v[8:9], null, s1, v8, v[2:3]
	s_lshl_b64 s[2:3], s[2:3], 1
	v_lshlrev_b32_e32 v2, 1, v10
	s_add_u32 s9, s18, s2
	s_addc_u32 s14, s19, s3
	s_mul_i32 s2, s17, s8
	s_mul_hi_u32 s3, s16, s8
	v_lshlrev_b64 v[5:6], 1, v[6:7]
	v_add_co_u32 v7, vcc_lo, v4, s10
	s_add_i32 s3, s3, s2
	s_mul_i32 s2, s16, s8
	v_add_co_ci_u32_e64 v8, null, s11, v8, vcc_lo
	s_lshl_b64 s[2:3], s[2:3], 1
	v_mov_b32_e32 v10, v3
	v_add_co_u32 v9, vcc_lo, v5, s2
	v_add_co_ci_u32_e64 v6, null, s3, v6, vcc_lo
	v_lshlrev_b64 v[4:5], 1, v[7:8]
	v_add_co_u32 v2, vcc_lo, v9, v2
	v_add_co_ci_u32_e64 v7, null, 0, v6, vcc_lo
	v_mov_b32_e32 v8, v3
	v_add_co_u32 v4, vcc_lo, s9, v4
	v_add_co_ci_u32_e64 v5, null, s14, v5, vcc_lo
	v_add_co_u32 v6, vcc_lo, s12, v2
	v_add_co_ci_u32_e64 v7, null, s13, v7, vcc_lo
	v_mov_b32_e32 v2, v3
	v_mov_b32_e32 v9, v3
	;; [unrolled: 1-line block ×10, first 2 shown]
	s_lshl_b64 s[0:1], s[0:1], 3
	s_mov_b64 s[2:3], 0
.LBB366_2:                              ; =>This Inner Loop Header: Depth=1
	global_load_ushort v26, v[6:7], off
	global_load_ushort v27, v[4:5], off
	s_add_u32 s2, s2, 4
	s_addc_u32 s3, s3, 0
	v_add_co_u32 v4, vcc_lo, v4, s0
	v_cmp_lt_i64_e64 s9, s[2:3], s[20:21]
	v_add_co_ci_u32_e64 v5, null, s1, v5, vcc_lo
	v_add_co_u32 v6, vcc_lo, v6, 8
	v_add_co_ci_u32_e64 v7, null, 0, v7, vcc_lo
	s_and_b32 vcc_lo, exec_lo, s9
	s_waitcnt vmcnt(1)
	v_cvt_f32_f16_e32 v26, v26
	s_waitcnt vmcnt(0)
	v_cvt_f32_f16_e32 v27, v27
	ds_write_b32 v24, v26
	ds_write_b32 v25, v27
	s_waitcnt lgkmcnt(0)
	s_barrier
	buffer_gl0_inv
	ds_read_b128 v[26:29], v23
	ds_read2_b32 v[42:43], v22 offset1:16
	ds_read2_b32 v[44:45], v22 offset0:32 offset1:48
	ds_read_b128 v[30:33], v23 offset:256
	ds_read_b128 v[34:37], v23 offset:512
	ds_read_b128 v[38:41], v23 offset:768
	ds_read2_b32 v[46:47], v22 offset0:64 offset1:80
	ds_read2_b32 v[48:49], v22 offset0:96 offset1:112
	;; [unrolled: 1-line block ×6, first 2 shown]
	s_waitcnt lgkmcnt(0)
	s_barrier
	buffer_gl0_inv
	v_fmac_f32_e32 v19, v42, v26
	v_fmac_f32_e32 v21, v43, v26
	;; [unrolled: 1-line block ×64, first 2 shown]
	s_cbranch_vccnz .LBB366_2
.LBB366_3:
	s_clause 0x3
	s_load_dwordx4 s[0:3], s[4:5], 0x78
	s_load_dword s9, s[4:5], 0x50
	s_load_dwordx8 s[12:19], s[4:5], 0x58
	s_load_dword s4, s[4:5], 0x18
	v_add_co_u32 v5, s5, s6, v0
	v_add_co_ci_u32_e64 v6, null, s7, 0, s5
	v_add_co_u32 v4, s5, s10, v1
	v_add_co_ci_u32_e64 v7, null, s11, 0, s5
	v_lshlrev_b64 v[0:1], 1, v[5:6]
	s_waitcnt lgkmcnt(0)
	s_mul_i32 s3, s3, s8
	s_mul_hi_u32 s5, s2, s8
	v_mul_lo_u32 v5, v7, s0
	v_mul_lo_u32 v6, v4, s1
	s_mul_i32 s2, s2, s8
	v_cmp_neq_f32_e64 s6, s9, 0
	s_add_i32 s3, s5, s3
	s_mov_b32 s5, 0
	s_lshl_b64 s[2:3], s[2:3], 1
	s_add_u32 s2, s18, s2
	s_addc_u32 s3, s19, s3
	s_and_b32 vcc_lo, exec_lo, s6
	s_cbranch_vccnz .LBB366_7
; %bb.4:
	v_mad_u64_u32 v[22:23], null, v4, s0, 0
	s_lshl_b64 s[6:7], s[0:1], 5
	v_fma_mixlo_f16 v26, s4, v19, 0
	v_fma_mixlo_f16 v27, s4, v21, 0
	;; [unrolled: 1-line block ×5, first 2 shown]
	v_add3_u32 v23, v23, v6, v5
	v_fma_mixlo_f16 v31, s4, v16, 0
	v_fma_mixlo_f16 v32, s4, v15, 0
	;; [unrolled: 1-line block ×3, first 2 shown]
	v_lshlrev_b64 v[22:23], 1, v[22:23]
	v_add_co_u32 v22, vcc_lo, s2, v22
	v_add_co_ci_u32_e64 v23, null, s3, v23, vcc_lo
	v_add_co_u32 v34, vcc_lo, v22, s6
	v_add_co_ci_u32_e64 v35, null, s7, v23, vcc_lo
	v_add_co_u32 v22, vcc_lo, v22, v0
	v_add_co_ci_u32_e64 v23, null, v23, v1, vcc_lo
	v_add_co_u32 v24, vcc_lo, v34, v0
	v_add_co_ci_u32_e64 v25, null, v35, v1, vcc_lo
	global_store_short v[22:23], v26, off
	global_store_short v[22:23], v27, off offset:32
	global_store_short v[22:23], v28, off offset:64
	;; [unrolled: 1-line block ×3, first 2 shown]
	global_store_short v[24:25], v30, off
	global_store_short v[24:25], v31, off offset:32
	v_add_co_u32 v26, vcc_lo, v34, s6
	v_add_co_ci_u32_e64 v27, null, s7, v35, vcc_lo
	v_fma_mixlo_f16 v28, s4, v13, 0
	v_add_co_u32 v22, vcc_lo, v26, v0
	v_add_co_ci_u32_e64 v23, null, v27, v1, vcc_lo
	v_fma_mixlo_f16 v29, s4, v12, 0
	v_fma_mixlo_f16 v30, s4, v11, 0
	global_store_short v[24:25], v32, off offset:64
	global_store_short v[24:25], v33, off offset:96
	global_store_short v[22:23], v28, off
	global_store_short v[22:23], v29, off offset:32
	global_store_short v[22:23], v30, off offset:64
	v_add_co_u32 v24, vcc_lo, v26, s6
	v_add_co_ci_u32_e64 v25, null, s7, v27, vcc_lo
	v_fma_mixlo_f16 v28, s4, v10, 0
	v_add_co_u32 v24, vcc_lo, v24, v0
	v_fma_mixlo_f16 v26, s4, v9, 0
	v_add_co_ci_u32_e64 v25, null, v25, v1, vcc_lo
	v_fma_mixlo_f16 v27, s4, v8, 0
	v_fma_mixlo_f16 v29, s4, v2, 0
	;; [unrolled: 1-line block ×3, first 2 shown]
	global_store_short v[22:23], v28, off offset:96
	global_store_short v[24:25], v26, off
	global_store_short v[24:25], v27, off offset:32
	global_store_short v[24:25], v29, off offset:64
	;; [unrolled: 1-line block ×3, first 2 shown]
	s_andn2_b32 vcc_lo, exec_lo, s5
	s_cbranch_vccnz .LBB366_6
.LBB366_5:
	v_mul_lo_u32 v7, v7, s14
	v_mul_lo_u32 v24, v4, s15
	v_mad_u64_u32 v[22:23], null, v4, s14, 0
	s_mul_i32 s5, s17, s8
	s_mul_hi_u32 s7, s16, s8
	s_mul_i32 s6, s16, s8
	s_add_i32 s7, s7, s5
	s_lshl_b64 s[6:7], s[6:7], 1
	v_add3_u32 v23, v23, v24, v7
	s_add_u32 s5, s12, s6
	s_addc_u32 s6, s13, s7
	v_mad_u64_u32 v[24:25], null, v4, s0, 0
	v_lshlrev_b64 v[22:23], 1, v[22:23]
	s_lshl_b64 s[0:1], s[0:1], 5
	v_add3_u32 v25, v25, v6, v5
	v_add_co_u32 v7, vcc_lo, s5, v22
	v_add_co_ci_u32_e64 v26, null, s6, v23, vcc_lo
	v_lshlrev_b64 v[4:5], 1, v[24:25]
	v_add_co_u32 v22, vcc_lo, v7, v0
	v_add_co_ci_u32_e64 v23, null, v26, v1, vcc_lo
	v_add_co_u32 v24, vcc_lo, s2, v4
	global_load_ushort v27, v[22:23], off
	v_add_co_ci_u32_e64 v25, null, s3, v5, vcc_lo
	v_add_co_u32 v4, vcc_lo, v24, v0
	s_lshl_b64 s[2:3], s[14:15], 5
	v_add_co_ci_u32_e64 v5, null, v25, v1, vcc_lo
	s_waitcnt vmcnt(0)
	v_cvt_f32_f16_e32 v6, v27
	v_mul_f32_e32 v6, s9, v6
	v_fma_mixlo_f16 v6, s4, v19, v6
	v_add_co_u32 v19, vcc_lo, v7, s2
	global_store_short v[4:5], v6, off
	global_load_ushort v6, v[22:23], off offset:32
	s_waitcnt vmcnt(0)
	v_cvt_f32_f16_e32 v6, v6
	v_mul_f32_e32 v6, s9, v6
	v_fma_mixlo_f16 v6, s4, v21, v6
	global_store_short v[4:5], v6, off offset:32
	global_load_ushort v6, v[22:23], off offset:64
	s_waitcnt vmcnt(0)
	v_cvt_f32_f16_e32 v6, v6
	v_mul_f32_e32 v6, s9, v6
	v_fma_mixlo_f16 v6, s4, v20, v6
	v_add_co_ci_u32_e64 v20, null, s3, v26, vcc_lo
	global_store_short v[4:5], v6, off offset:64
	global_load_ushort v6, v[22:23], off offset:96
	s_waitcnt vmcnt(0)
	v_cvt_f32_f16_e32 v6, v6
	v_mul_f32_e32 v6, s9, v6
	v_fma_mixlo_f16 v18, s4, v18, v6
	v_add_co_u32 v6, vcc_lo, v19, v0
	v_add_co_ci_u32_e64 v7, null, v20, v1, vcc_lo
	global_store_short v[4:5], v18, off offset:96
	v_add_co_u32 v18, vcc_lo, v24, s0
	global_load_ushort v4, v[6:7], off
	v_add_co_ci_u32_e64 v21, null, s1, v25, vcc_lo
	s_waitcnt vmcnt(0)
	v_cvt_f32_f16_e32 v4, v4
	v_mul_f32_e32 v22, s9, v4
	v_add_co_u32 v4, vcc_lo, v18, v0
	v_add_co_ci_u32_e64 v5, null, v21, v1, vcc_lo
	v_fma_mixlo_f16 v17, s4, v17, v22
	global_store_short v[4:5], v17, off
	global_load_ushort v17, v[6:7], off offset:32
	s_waitcnt vmcnt(0)
	v_cvt_f32_f16_e32 v17, v17
	v_mul_f32_e32 v17, s9, v17
	v_fma_mixlo_f16 v16, s4, v16, v17
	global_store_short v[4:5], v16, off offset:32
	global_load_ushort v16, v[6:7], off offset:64
	s_waitcnt vmcnt(0)
	v_cvt_f32_f16_e32 v16, v16
	v_mul_f32_e32 v16, s9, v16
	v_fma_mixlo_f16 v15, s4, v15, v16
	global_store_short v[4:5], v15, off offset:64
	global_load_ushort v6, v[6:7], off offset:96
	v_add_co_u32 v15, vcc_lo, v19, s2
	v_add_co_ci_u32_e64 v16, null, s3, v20, vcc_lo
	s_waitcnt vmcnt(0)
	v_cvt_f32_f16_e32 v6, v6
	v_mul_f32_e32 v6, s9, v6
	v_fma_mixlo_f16 v14, s4, v14, v6
	v_add_co_u32 v6, vcc_lo, v15, v0
	v_add_co_ci_u32_e64 v7, null, v16, v1, vcc_lo
	global_store_short v[4:5], v14, off offset:96
	v_add_co_u32 v14, vcc_lo, v18, s0
	global_load_ushort v4, v[6:7], off
	v_add_co_ci_u32_e64 v17, null, s1, v21, vcc_lo
	s_waitcnt vmcnt(0)
	v_cvt_f32_f16_e32 v4, v4
	v_mul_f32_e32 v18, s9, v4
	v_add_co_u32 v4, vcc_lo, v14, v0
	v_add_co_ci_u32_e64 v5, null, v17, v1, vcc_lo
	v_fma_mixlo_f16 v13, s4, v13, v18
	global_store_short v[4:5], v13, off
	global_load_ushort v13, v[6:7], off offset:32
	s_waitcnt vmcnt(0)
	v_cvt_f32_f16_e32 v13, v13
	v_mul_f32_e32 v13, s9, v13
	v_fma_mixlo_f16 v12, s4, v12, v13
	global_store_short v[4:5], v12, off offset:32
	global_load_ushort v12, v[6:7], off offset:64
	s_waitcnt vmcnt(0)
	v_cvt_f32_f16_e32 v12, v12
	v_mul_f32_e32 v12, s9, v12
	v_fma_mixlo_f16 v11, s4, v11, v12
	global_store_short v[4:5], v11, off offset:64
	global_load_ushort v6, v[6:7], off offset:96
	v_add_co_u32 v7, vcc_lo, v15, s2
	v_add_co_ci_u32_e64 v11, null, s3, v16, vcc_lo
	s_waitcnt vmcnt(0)
	v_cvt_f32_f16_e32 v6, v6
	v_mul_f32_e32 v6, s9, v6
	v_fma_mixlo_f16 v10, s4, v10, v6
	v_add_co_u32 v6, vcc_lo, v7, v0
	v_add_co_ci_u32_e64 v7, null, v11, v1, vcc_lo
	global_store_short v[4:5], v10, off offset:96
	v_add_co_u32 v5, vcc_lo, v14, s0
	global_load_ushort v4, v[6:7], off
	v_add_co_ci_u32_e64 v10, null, s1, v17, vcc_lo
	v_add_co_u32 v0, vcc_lo, v5, v0
	v_add_co_ci_u32_e64 v1, null, v10, v1, vcc_lo
	s_waitcnt vmcnt(0)
	v_cvt_f32_f16_e32 v4, v4
	v_mul_f32_e32 v4, s9, v4
	v_fma_mixlo_f16 v4, s4, v9, v4
	global_store_short v[0:1], v4, off
	global_load_ushort v4, v[6:7], off offset:32
	s_waitcnt vmcnt(0)
	v_cvt_f32_f16_e32 v4, v4
	v_mul_f32_e32 v4, s9, v4
	v_fma_mixlo_f16 v4, s4, v8, v4
	global_store_short v[0:1], v4, off offset:32
	global_load_ushort v4, v[6:7], off offset:64
	s_waitcnt vmcnt(0)
	v_cvt_f32_f16_e32 v4, v4
	v_mul_f32_e32 v4, s9, v4
	v_fma_mixlo_f16 v2, s4, v2, v4
	global_store_short v[0:1], v2, off offset:64
	;; [unrolled: 6-line block ×3, first 2 shown]
.LBB366_6:
	s_endpgm
.LBB366_7:
	s_branch .LBB366_5
	.section	.rodata,"a",@progbits
	.p2align	6, 0x0
	.amdhsa_kernel _ZN12_GLOBAL__N_127rocblas_gemm_batched_kernelIfLi16ELi16ELi64ELi64ELi4ELi64ELi4ELi4ELi64ELc84ELc84EKDF16_S1_DF16_EEvlllT_PT11_llS4_llS2_PT12_llPT13_lli
		.amdhsa_group_segment_fixed_size 2048
		.amdhsa_private_segment_fixed_size 0
		.amdhsa_kernarg_size 140
		.amdhsa_user_sgpr_count 6
		.amdhsa_user_sgpr_private_segment_buffer 1
		.amdhsa_user_sgpr_dispatch_ptr 0
		.amdhsa_user_sgpr_queue_ptr 0
		.amdhsa_user_sgpr_kernarg_segment_ptr 1
		.amdhsa_user_sgpr_dispatch_id 0
		.amdhsa_user_sgpr_flat_scratch_init 0
		.amdhsa_user_sgpr_private_segment_size 0
		.amdhsa_wavefront_size32 1
		.amdhsa_uses_dynamic_stack 0
		.amdhsa_system_sgpr_private_segment_wavefront_offset 0
		.amdhsa_system_sgpr_workgroup_id_x 1
		.amdhsa_system_sgpr_workgroup_id_y 1
		.amdhsa_system_sgpr_workgroup_id_z 1
		.amdhsa_system_sgpr_workgroup_info 0
		.amdhsa_system_vgpr_workitem_id 1
		.amdhsa_next_free_vgpr 58
		.amdhsa_next_free_sgpr 22
		.amdhsa_reserve_vcc 1
		.amdhsa_reserve_flat_scratch 0
		.amdhsa_float_round_mode_32 0
		.amdhsa_float_round_mode_16_64 0
		.amdhsa_float_denorm_mode_32 3
		.amdhsa_float_denorm_mode_16_64 3
		.amdhsa_dx10_clamp 1
		.amdhsa_ieee_mode 1
		.amdhsa_fp16_overflow 0
		.amdhsa_workgroup_processor_mode 1
		.amdhsa_memory_ordered 1
		.amdhsa_forward_progress 1
		.amdhsa_shared_vgpr_count 0
		.amdhsa_exception_fp_ieee_invalid_op 0
		.amdhsa_exception_fp_denorm_src 0
		.amdhsa_exception_fp_ieee_div_zero 0
		.amdhsa_exception_fp_ieee_overflow 0
		.amdhsa_exception_fp_ieee_underflow 0
		.amdhsa_exception_fp_ieee_inexact 0
		.amdhsa_exception_int_div_zero 0
	.end_amdhsa_kernel
	.section	.text._ZN12_GLOBAL__N_127rocblas_gemm_batched_kernelIfLi16ELi16ELi64ELi64ELi4ELi64ELi4ELi4ELi64ELc84ELc84EKDF16_S1_DF16_EEvlllT_PT11_llS4_llS2_PT12_llPT13_lli,"axG",@progbits,_ZN12_GLOBAL__N_127rocblas_gemm_batched_kernelIfLi16ELi16ELi64ELi64ELi4ELi64ELi4ELi4ELi64ELc84ELc84EKDF16_S1_DF16_EEvlllT_PT11_llS4_llS2_PT12_llPT13_lli,comdat
.Lfunc_end366:
	.size	_ZN12_GLOBAL__N_127rocblas_gemm_batched_kernelIfLi16ELi16ELi64ELi64ELi4ELi64ELi4ELi4ELi64ELc84ELc84EKDF16_S1_DF16_EEvlllT_PT11_llS4_llS2_PT12_llPT13_lli, .Lfunc_end366-_ZN12_GLOBAL__N_127rocblas_gemm_batched_kernelIfLi16ELi16ELi64ELi64ELi4ELi64ELi4ELi4ELi64ELc84ELc84EKDF16_S1_DF16_EEvlllT_PT11_llS4_llS2_PT12_llPT13_lli
                                        ; -- End function
	.set _ZN12_GLOBAL__N_127rocblas_gemm_batched_kernelIfLi16ELi16ELi64ELi64ELi4ELi64ELi4ELi4ELi64ELc84ELc84EKDF16_S1_DF16_EEvlllT_PT11_llS4_llS2_PT12_llPT13_lli.num_vgpr, 58
	.set _ZN12_GLOBAL__N_127rocblas_gemm_batched_kernelIfLi16ELi16ELi64ELi64ELi4ELi64ELi4ELi4ELi64ELc84ELc84EKDF16_S1_DF16_EEvlllT_PT11_llS4_llS2_PT12_llPT13_lli.num_agpr, 0
	.set _ZN12_GLOBAL__N_127rocblas_gemm_batched_kernelIfLi16ELi16ELi64ELi64ELi4ELi64ELi4ELi4ELi64ELc84ELc84EKDF16_S1_DF16_EEvlllT_PT11_llS4_llS2_PT12_llPT13_lli.numbered_sgpr, 22
	.set _ZN12_GLOBAL__N_127rocblas_gemm_batched_kernelIfLi16ELi16ELi64ELi64ELi4ELi64ELi4ELi4ELi64ELc84ELc84EKDF16_S1_DF16_EEvlllT_PT11_llS4_llS2_PT12_llPT13_lli.num_named_barrier, 0
	.set _ZN12_GLOBAL__N_127rocblas_gemm_batched_kernelIfLi16ELi16ELi64ELi64ELi4ELi64ELi4ELi4ELi64ELc84ELc84EKDF16_S1_DF16_EEvlllT_PT11_llS4_llS2_PT12_llPT13_lli.private_seg_size, 0
	.set _ZN12_GLOBAL__N_127rocblas_gemm_batched_kernelIfLi16ELi16ELi64ELi64ELi4ELi64ELi4ELi4ELi64ELc84ELc84EKDF16_S1_DF16_EEvlllT_PT11_llS4_llS2_PT12_llPT13_lli.uses_vcc, 1
	.set _ZN12_GLOBAL__N_127rocblas_gemm_batched_kernelIfLi16ELi16ELi64ELi64ELi4ELi64ELi4ELi4ELi64ELc84ELc84EKDF16_S1_DF16_EEvlllT_PT11_llS4_llS2_PT12_llPT13_lli.uses_flat_scratch, 0
	.set _ZN12_GLOBAL__N_127rocblas_gemm_batched_kernelIfLi16ELi16ELi64ELi64ELi4ELi64ELi4ELi4ELi64ELc84ELc84EKDF16_S1_DF16_EEvlllT_PT11_llS4_llS2_PT12_llPT13_lli.has_dyn_sized_stack, 0
	.set _ZN12_GLOBAL__N_127rocblas_gemm_batched_kernelIfLi16ELi16ELi64ELi64ELi4ELi64ELi4ELi4ELi64ELc84ELc84EKDF16_S1_DF16_EEvlllT_PT11_llS4_llS2_PT12_llPT13_lli.has_recursion, 0
	.set _ZN12_GLOBAL__N_127rocblas_gemm_batched_kernelIfLi16ELi16ELi64ELi64ELi4ELi64ELi4ELi4ELi64ELc84ELc84EKDF16_S1_DF16_EEvlllT_PT11_llS4_llS2_PT12_llPT13_lli.has_indirect_call, 0
	.section	.AMDGPU.csdata,"",@progbits
; Kernel info:
; codeLenInByte = 2484
; TotalNumSgprs: 24
; NumVgprs: 58
; ScratchSize: 0
; MemoryBound: 0
; FloatMode: 240
; IeeeMode: 1
; LDSByteSize: 2048 bytes/workgroup (compile time only)
; SGPRBlocks: 0
; VGPRBlocks: 7
; NumSGPRsForWavesPerEU: 24
; NumVGPRsForWavesPerEU: 58
; Occupancy: 16
; WaveLimiterHint : 0
; COMPUTE_PGM_RSRC2:SCRATCH_EN: 0
; COMPUTE_PGM_RSRC2:USER_SGPR: 6
; COMPUTE_PGM_RSRC2:TRAP_HANDLER: 0
; COMPUTE_PGM_RSRC2:TGID_X_EN: 1
; COMPUTE_PGM_RSRC2:TGID_Y_EN: 1
; COMPUTE_PGM_RSRC2:TGID_Z_EN: 1
; COMPUTE_PGM_RSRC2:TIDIG_COMP_CNT: 1
	.section	.text._ZN12_GLOBAL__N_127rocblas_gemm_batched_kernelIfLi16ELi16ELi64ELi64ELi4ELi64ELi4ELi4ELi64ELc67ELc67EKDF16_S1_DF16_EEvlllT_PT11_llS4_llS2_PT12_llPT13_lli,"axG",@progbits,_ZN12_GLOBAL__N_127rocblas_gemm_batched_kernelIfLi16ELi16ELi64ELi64ELi4ELi64ELi4ELi4ELi64ELc67ELc67EKDF16_S1_DF16_EEvlllT_PT11_llS4_llS2_PT12_llPT13_lli,comdat
	.globl	_ZN12_GLOBAL__N_127rocblas_gemm_batched_kernelIfLi16ELi16ELi64ELi64ELi4ELi64ELi4ELi4ELi64ELc67ELc67EKDF16_S1_DF16_EEvlllT_PT11_llS4_llS2_PT12_llPT13_lli ; -- Begin function _ZN12_GLOBAL__N_127rocblas_gemm_batched_kernelIfLi16ELi16ELi64ELi64ELi4ELi64ELi4ELi4ELi64ELc67ELc67EKDF16_S1_DF16_EEvlllT_PT11_llS4_llS2_PT12_llPT13_lli
	.p2align	8
	.type	_ZN12_GLOBAL__N_127rocblas_gemm_batched_kernelIfLi16ELi16ELi64ELi64ELi4ELi64ELi4ELi4ELi64ELc67ELc67EKDF16_S1_DF16_EEvlllT_PT11_llS4_llS2_PT12_llPT13_lli,@function
_ZN12_GLOBAL__N_127rocblas_gemm_batched_kernelIfLi16ELi16ELi64ELi64ELi4ELi64ELi4ELi4ELi64ELc67ELc67EKDF16_S1_DF16_EEvlllT_PT11_llS4_llS2_PT12_llPT13_lli: ; @_ZN12_GLOBAL__N_127rocblas_gemm_batched_kernelIfLi16ELi16ELi64ELi64ELi4ELi64ELi4ELi4ELi64ELc67ELc67EKDF16_S1_DF16_EEvlllT_PT11_llS4_llS2_PT12_llPT13_lli
; %bb.0:
	s_load_dwordx2 s[20:21], s[4:5], 0x10
	s_mov_b32 s0, s7
	v_mov_b32_e32 v19, 0
	v_mov_b32_e32 v21, 0
	;; [unrolled: 1-line block ×16, first 2 shown]
	s_ashr_i32 s7, s6, 31
	s_ashr_i32 s1, s0, 31
	s_waitcnt lgkmcnt(0)
	v_cmp_lt_i64_e64 s2, s[20:21], 1
	s_lshl_b64 s[6:7], s[6:7], 6
	s_lshl_b64 s[10:11], s[0:1], 6
	s_and_b32 vcc_lo, exec_lo, s2
	s_cbranch_vccnz .LBB367_3
; %bb.1:
	v_lshlrev_b32_e32 v4, 4, v1
	s_clause 0x1
	s_load_dwordx4 s[0:3], s[4:5], 0x40
	s_load_dwordx8 s[12:19], s[4:5], 0x20
	v_and_b32_e32 v8, 3, v0
	v_mov_b32_e32 v3, 0
	v_add_nc_u32_e32 v5, v4, v0
	v_add_nc_u32_e32 v23, 0x400, v4
	v_lshlrev_b32_e32 v22, 2, v0
	v_lshlrev_b32_e32 v6, 2, v8
	v_mov_b32_e32 v13, v3
	v_and_b32_e32 v7, 63, v5
	v_lshrrev_b32_e32 v2, 2, v5
	v_lshrrev_b32_e32 v10, 6, v5
	v_mov_b32_e32 v14, v3
	v_mov_b32_e32 v15, v3
	v_lshlrev_b32_e32 v4, 2, v7
	v_lshl_or_b32 v9, v2, 4, v6
	v_add_co_u32 v6, s9, s6, v7
	v_add_co_ci_u32_e64 v7, null, s7, 0, s9
	v_lshl_or_b32 v24, v10, 8, v4
	s_waitcnt lgkmcnt(0)
	v_mad_u64_u32 v[4:5], null, s0, v8, v[2:3]
	v_mul_lo_u32 v11, s15, v6
	v_mul_lo_u32 v12, s14, v7
	v_mad_u64_u32 v[6:7], null, s14, v6, 0
	s_mul_i32 s3, s3, s8
	s_mul_hi_u32 s9, s2, s8
	v_mov_b32_e32 v2, v5
	s_mul_i32 s2, s2, s8
	s_add_i32 s3, s9, s3
	v_add_nc_u32_e32 v25, 0x400, v9
	v_add3_u32 v7, v7, v12, v11
	v_mad_u64_u32 v[8:9], null, s1, v8, v[2:3]
	s_lshl_b64 s[2:3], s[2:3], 1
	v_lshlrev_b32_e32 v2, 1, v10
	s_add_u32 s9, s18, s2
	s_addc_u32 s14, s19, s3
	s_mul_i32 s2, s17, s8
	s_mul_hi_u32 s3, s16, s8
	v_lshlrev_b64 v[5:6], 1, v[6:7]
	v_add_co_u32 v7, vcc_lo, v4, s10
	s_add_i32 s3, s3, s2
	s_mul_i32 s2, s16, s8
	v_add_co_ci_u32_e64 v8, null, s11, v8, vcc_lo
	s_lshl_b64 s[2:3], s[2:3], 1
	v_mov_b32_e32 v10, v3
	v_add_co_u32 v9, vcc_lo, v5, s2
	v_add_co_ci_u32_e64 v6, null, s3, v6, vcc_lo
	v_lshlrev_b64 v[4:5], 1, v[7:8]
	v_add_co_u32 v2, vcc_lo, v9, v2
	v_add_co_ci_u32_e64 v7, null, 0, v6, vcc_lo
	v_mov_b32_e32 v8, v3
	v_add_co_u32 v4, vcc_lo, s9, v4
	v_add_co_ci_u32_e64 v5, null, s14, v5, vcc_lo
	v_add_co_u32 v6, vcc_lo, s12, v2
	v_add_co_ci_u32_e64 v7, null, s13, v7, vcc_lo
	v_mov_b32_e32 v2, v3
	v_mov_b32_e32 v9, v3
	;; [unrolled: 1-line block ×10, first 2 shown]
	s_lshl_b64 s[0:1], s[0:1], 3
	s_mov_b64 s[2:3], 0
.LBB367_2:                              ; =>This Inner Loop Header: Depth=1
	global_load_ushort v26, v[6:7], off
	global_load_ushort v27, v[4:5], off
	s_add_u32 s2, s2, 4
	s_addc_u32 s3, s3, 0
	v_add_co_u32 v4, vcc_lo, v4, s0
	v_cmp_lt_i64_e64 s9, s[2:3], s[20:21]
	v_add_co_ci_u32_e64 v5, null, s1, v5, vcc_lo
	v_add_co_u32 v6, vcc_lo, v6, 8
	v_add_co_ci_u32_e64 v7, null, 0, v7, vcc_lo
	s_and_b32 vcc_lo, exec_lo, s9
	s_waitcnt vmcnt(1)
	v_cvt_f32_f16_e32 v26, v26
	s_waitcnt vmcnt(0)
	v_cvt_f32_f16_e32 v27, v27
	ds_write_b32 v24, v26
	ds_write_b32 v25, v27
	s_waitcnt lgkmcnt(0)
	s_barrier
	buffer_gl0_inv
	ds_read_b128 v[26:29], v23
	ds_read2_b32 v[42:43], v22 offset1:16
	ds_read2_b32 v[44:45], v22 offset0:32 offset1:48
	ds_read_b128 v[30:33], v23 offset:256
	ds_read_b128 v[34:37], v23 offset:512
	;; [unrolled: 1-line block ×3, first 2 shown]
	ds_read2_b32 v[46:47], v22 offset0:64 offset1:80
	ds_read2_b32 v[48:49], v22 offset0:96 offset1:112
	;; [unrolled: 1-line block ×6, first 2 shown]
	s_waitcnt lgkmcnt(0)
	s_barrier
	buffer_gl0_inv
	v_fmac_f32_e32 v19, v42, v26
	v_fmac_f32_e32 v21, v43, v26
	;; [unrolled: 1-line block ×64, first 2 shown]
	s_cbranch_vccnz .LBB367_2
.LBB367_3:
	s_clause 0x3
	s_load_dwordx4 s[0:3], s[4:5], 0x78
	s_load_dword s9, s[4:5], 0x50
	s_load_dwordx8 s[12:19], s[4:5], 0x58
	s_load_dword s4, s[4:5], 0x18
	v_add_co_u32 v5, s5, s6, v0
	v_add_co_ci_u32_e64 v6, null, s7, 0, s5
	v_add_co_u32 v4, s5, s10, v1
	v_add_co_ci_u32_e64 v7, null, s11, 0, s5
	v_lshlrev_b64 v[0:1], 1, v[5:6]
	s_waitcnt lgkmcnt(0)
	s_mul_i32 s3, s3, s8
	s_mul_hi_u32 s5, s2, s8
	v_mul_lo_u32 v5, v7, s0
	v_mul_lo_u32 v6, v4, s1
	s_mul_i32 s2, s2, s8
	v_cmp_neq_f32_e64 s6, s9, 0
	s_add_i32 s3, s5, s3
	s_mov_b32 s5, 0
	s_lshl_b64 s[2:3], s[2:3], 1
	s_add_u32 s2, s18, s2
	s_addc_u32 s3, s19, s3
	s_and_b32 vcc_lo, exec_lo, s6
	s_cbranch_vccnz .LBB367_7
; %bb.4:
	v_mad_u64_u32 v[22:23], null, v4, s0, 0
	s_lshl_b64 s[6:7], s[0:1], 5
	v_fma_mixlo_f16 v26, s4, v19, 0
	v_fma_mixlo_f16 v27, s4, v21, 0
	;; [unrolled: 1-line block ×5, first 2 shown]
	v_add3_u32 v23, v23, v6, v5
	v_fma_mixlo_f16 v31, s4, v16, 0
	v_fma_mixlo_f16 v32, s4, v15, 0
	;; [unrolled: 1-line block ×3, first 2 shown]
	v_lshlrev_b64 v[22:23], 1, v[22:23]
	v_add_co_u32 v22, vcc_lo, s2, v22
	v_add_co_ci_u32_e64 v23, null, s3, v23, vcc_lo
	v_add_co_u32 v34, vcc_lo, v22, s6
	v_add_co_ci_u32_e64 v35, null, s7, v23, vcc_lo
	;; [unrolled: 2-line block ×4, first 2 shown]
	global_store_short v[22:23], v26, off
	global_store_short v[22:23], v27, off offset:32
	global_store_short v[22:23], v28, off offset:64
	;; [unrolled: 1-line block ×3, first 2 shown]
	global_store_short v[24:25], v30, off
	global_store_short v[24:25], v31, off offset:32
	v_add_co_u32 v26, vcc_lo, v34, s6
	v_add_co_ci_u32_e64 v27, null, s7, v35, vcc_lo
	v_fma_mixlo_f16 v28, s4, v13, 0
	v_add_co_u32 v22, vcc_lo, v26, v0
	v_add_co_ci_u32_e64 v23, null, v27, v1, vcc_lo
	v_fma_mixlo_f16 v29, s4, v12, 0
	v_fma_mixlo_f16 v30, s4, v11, 0
	global_store_short v[24:25], v32, off offset:64
	global_store_short v[24:25], v33, off offset:96
	global_store_short v[22:23], v28, off
	global_store_short v[22:23], v29, off offset:32
	global_store_short v[22:23], v30, off offset:64
	v_add_co_u32 v24, vcc_lo, v26, s6
	v_add_co_ci_u32_e64 v25, null, s7, v27, vcc_lo
	v_fma_mixlo_f16 v28, s4, v10, 0
	v_add_co_u32 v24, vcc_lo, v24, v0
	v_fma_mixlo_f16 v26, s4, v9, 0
	v_add_co_ci_u32_e64 v25, null, v25, v1, vcc_lo
	v_fma_mixlo_f16 v27, s4, v8, 0
	v_fma_mixlo_f16 v29, s4, v2, 0
	;; [unrolled: 1-line block ×3, first 2 shown]
	global_store_short v[22:23], v28, off offset:96
	global_store_short v[24:25], v26, off
	global_store_short v[24:25], v27, off offset:32
	global_store_short v[24:25], v29, off offset:64
	;; [unrolled: 1-line block ×3, first 2 shown]
	s_andn2_b32 vcc_lo, exec_lo, s5
	s_cbranch_vccnz .LBB367_6
.LBB367_5:
	v_mul_lo_u32 v7, v7, s14
	v_mul_lo_u32 v24, v4, s15
	v_mad_u64_u32 v[22:23], null, v4, s14, 0
	s_mul_i32 s5, s17, s8
	s_mul_hi_u32 s7, s16, s8
	s_mul_i32 s6, s16, s8
	s_add_i32 s7, s7, s5
	s_lshl_b64 s[6:7], s[6:7], 1
	v_add3_u32 v23, v23, v24, v7
	s_add_u32 s5, s12, s6
	s_addc_u32 s6, s13, s7
	v_mad_u64_u32 v[24:25], null, v4, s0, 0
	v_lshlrev_b64 v[22:23], 1, v[22:23]
	s_lshl_b64 s[0:1], s[0:1], 5
	v_add3_u32 v25, v25, v6, v5
	v_add_co_u32 v7, vcc_lo, s5, v22
	v_add_co_ci_u32_e64 v26, null, s6, v23, vcc_lo
	v_lshlrev_b64 v[4:5], 1, v[24:25]
	v_add_co_u32 v22, vcc_lo, v7, v0
	v_add_co_ci_u32_e64 v23, null, v26, v1, vcc_lo
	v_add_co_u32 v24, vcc_lo, s2, v4
	global_load_ushort v27, v[22:23], off
	v_add_co_ci_u32_e64 v25, null, s3, v5, vcc_lo
	v_add_co_u32 v4, vcc_lo, v24, v0
	s_lshl_b64 s[2:3], s[14:15], 5
	v_add_co_ci_u32_e64 v5, null, v25, v1, vcc_lo
	s_waitcnt vmcnt(0)
	v_cvt_f32_f16_e32 v6, v27
	v_mul_f32_e32 v6, s9, v6
	v_fma_mixlo_f16 v6, s4, v19, v6
	v_add_co_u32 v19, vcc_lo, v7, s2
	global_store_short v[4:5], v6, off
	global_load_ushort v6, v[22:23], off offset:32
	s_waitcnt vmcnt(0)
	v_cvt_f32_f16_e32 v6, v6
	v_mul_f32_e32 v6, s9, v6
	v_fma_mixlo_f16 v6, s4, v21, v6
	global_store_short v[4:5], v6, off offset:32
	global_load_ushort v6, v[22:23], off offset:64
	s_waitcnt vmcnt(0)
	v_cvt_f32_f16_e32 v6, v6
	v_mul_f32_e32 v6, s9, v6
	v_fma_mixlo_f16 v6, s4, v20, v6
	v_add_co_ci_u32_e64 v20, null, s3, v26, vcc_lo
	global_store_short v[4:5], v6, off offset:64
	global_load_ushort v6, v[22:23], off offset:96
	s_waitcnt vmcnt(0)
	v_cvt_f32_f16_e32 v6, v6
	v_mul_f32_e32 v6, s9, v6
	v_fma_mixlo_f16 v18, s4, v18, v6
	v_add_co_u32 v6, vcc_lo, v19, v0
	v_add_co_ci_u32_e64 v7, null, v20, v1, vcc_lo
	global_store_short v[4:5], v18, off offset:96
	v_add_co_u32 v18, vcc_lo, v24, s0
	global_load_ushort v4, v[6:7], off
	v_add_co_ci_u32_e64 v21, null, s1, v25, vcc_lo
	s_waitcnt vmcnt(0)
	v_cvt_f32_f16_e32 v4, v4
	v_mul_f32_e32 v22, s9, v4
	v_add_co_u32 v4, vcc_lo, v18, v0
	v_add_co_ci_u32_e64 v5, null, v21, v1, vcc_lo
	v_fma_mixlo_f16 v17, s4, v17, v22
	global_store_short v[4:5], v17, off
	global_load_ushort v17, v[6:7], off offset:32
	s_waitcnt vmcnt(0)
	v_cvt_f32_f16_e32 v17, v17
	v_mul_f32_e32 v17, s9, v17
	v_fma_mixlo_f16 v16, s4, v16, v17
	global_store_short v[4:5], v16, off offset:32
	global_load_ushort v16, v[6:7], off offset:64
	s_waitcnt vmcnt(0)
	v_cvt_f32_f16_e32 v16, v16
	v_mul_f32_e32 v16, s9, v16
	v_fma_mixlo_f16 v15, s4, v15, v16
	global_store_short v[4:5], v15, off offset:64
	global_load_ushort v6, v[6:7], off offset:96
	v_add_co_u32 v15, vcc_lo, v19, s2
	v_add_co_ci_u32_e64 v16, null, s3, v20, vcc_lo
	s_waitcnt vmcnt(0)
	v_cvt_f32_f16_e32 v6, v6
	v_mul_f32_e32 v6, s9, v6
	v_fma_mixlo_f16 v14, s4, v14, v6
	v_add_co_u32 v6, vcc_lo, v15, v0
	v_add_co_ci_u32_e64 v7, null, v16, v1, vcc_lo
	global_store_short v[4:5], v14, off offset:96
	v_add_co_u32 v14, vcc_lo, v18, s0
	global_load_ushort v4, v[6:7], off
	v_add_co_ci_u32_e64 v17, null, s1, v21, vcc_lo
	s_waitcnt vmcnt(0)
	v_cvt_f32_f16_e32 v4, v4
	v_mul_f32_e32 v18, s9, v4
	v_add_co_u32 v4, vcc_lo, v14, v0
	v_add_co_ci_u32_e64 v5, null, v17, v1, vcc_lo
	v_fma_mixlo_f16 v13, s4, v13, v18
	global_store_short v[4:5], v13, off
	global_load_ushort v13, v[6:7], off offset:32
	s_waitcnt vmcnt(0)
	v_cvt_f32_f16_e32 v13, v13
	v_mul_f32_e32 v13, s9, v13
	v_fma_mixlo_f16 v12, s4, v12, v13
	global_store_short v[4:5], v12, off offset:32
	global_load_ushort v12, v[6:7], off offset:64
	s_waitcnt vmcnt(0)
	v_cvt_f32_f16_e32 v12, v12
	v_mul_f32_e32 v12, s9, v12
	v_fma_mixlo_f16 v11, s4, v11, v12
	global_store_short v[4:5], v11, off offset:64
	global_load_ushort v6, v[6:7], off offset:96
	v_add_co_u32 v7, vcc_lo, v15, s2
	v_add_co_ci_u32_e64 v11, null, s3, v16, vcc_lo
	s_waitcnt vmcnt(0)
	v_cvt_f32_f16_e32 v6, v6
	v_mul_f32_e32 v6, s9, v6
	v_fma_mixlo_f16 v10, s4, v10, v6
	v_add_co_u32 v6, vcc_lo, v7, v0
	v_add_co_ci_u32_e64 v7, null, v11, v1, vcc_lo
	global_store_short v[4:5], v10, off offset:96
	v_add_co_u32 v5, vcc_lo, v14, s0
	global_load_ushort v4, v[6:7], off
	v_add_co_ci_u32_e64 v10, null, s1, v17, vcc_lo
	v_add_co_u32 v0, vcc_lo, v5, v0
	v_add_co_ci_u32_e64 v1, null, v10, v1, vcc_lo
	s_waitcnt vmcnt(0)
	v_cvt_f32_f16_e32 v4, v4
	v_mul_f32_e32 v4, s9, v4
	v_fma_mixlo_f16 v4, s4, v9, v4
	global_store_short v[0:1], v4, off
	global_load_ushort v4, v[6:7], off offset:32
	s_waitcnt vmcnt(0)
	v_cvt_f32_f16_e32 v4, v4
	v_mul_f32_e32 v4, s9, v4
	v_fma_mixlo_f16 v4, s4, v8, v4
	global_store_short v[0:1], v4, off offset:32
	global_load_ushort v4, v[6:7], off offset:64
	s_waitcnt vmcnt(0)
	v_cvt_f32_f16_e32 v4, v4
	v_mul_f32_e32 v4, s9, v4
	v_fma_mixlo_f16 v2, s4, v2, v4
	global_store_short v[0:1], v2, off offset:64
	;; [unrolled: 6-line block ×3, first 2 shown]
.LBB367_6:
	s_endpgm
.LBB367_7:
	s_branch .LBB367_5
	.section	.rodata,"a",@progbits
	.p2align	6, 0x0
	.amdhsa_kernel _ZN12_GLOBAL__N_127rocblas_gemm_batched_kernelIfLi16ELi16ELi64ELi64ELi4ELi64ELi4ELi4ELi64ELc67ELc67EKDF16_S1_DF16_EEvlllT_PT11_llS4_llS2_PT12_llPT13_lli
		.amdhsa_group_segment_fixed_size 2048
		.amdhsa_private_segment_fixed_size 0
		.amdhsa_kernarg_size 140
		.amdhsa_user_sgpr_count 6
		.amdhsa_user_sgpr_private_segment_buffer 1
		.amdhsa_user_sgpr_dispatch_ptr 0
		.amdhsa_user_sgpr_queue_ptr 0
		.amdhsa_user_sgpr_kernarg_segment_ptr 1
		.amdhsa_user_sgpr_dispatch_id 0
		.amdhsa_user_sgpr_flat_scratch_init 0
		.amdhsa_user_sgpr_private_segment_size 0
		.amdhsa_wavefront_size32 1
		.amdhsa_uses_dynamic_stack 0
		.amdhsa_system_sgpr_private_segment_wavefront_offset 0
		.amdhsa_system_sgpr_workgroup_id_x 1
		.amdhsa_system_sgpr_workgroup_id_y 1
		.amdhsa_system_sgpr_workgroup_id_z 1
		.amdhsa_system_sgpr_workgroup_info 0
		.amdhsa_system_vgpr_workitem_id 1
		.amdhsa_next_free_vgpr 58
		.amdhsa_next_free_sgpr 22
		.amdhsa_reserve_vcc 1
		.amdhsa_reserve_flat_scratch 0
		.amdhsa_float_round_mode_32 0
		.amdhsa_float_round_mode_16_64 0
		.amdhsa_float_denorm_mode_32 3
		.amdhsa_float_denorm_mode_16_64 3
		.amdhsa_dx10_clamp 1
		.amdhsa_ieee_mode 1
		.amdhsa_fp16_overflow 0
		.amdhsa_workgroup_processor_mode 1
		.amdhsa_memory_ordered 1
		.amdhsa_forward_progress 1
		.amdhsa_shared_vgpr_count 0
		.amdhsa_exception_fp_ieee_invalid_op 0
		.amdhsa_exception_fp_denorm_src 0
		.amdhsa_exception_fp_ieee_div_zero 0
		.amdhsa_exception_fp_ieee_overflow 0
		.amdhsa_exception_fp_ieee_underflow 0
		.amdhsa_exception_fp_ieee_inexact 0
		.amdhsa_exception_int_div_zero 0
	.end_amdhsa_kernel
	.section	.text._ZN12_GLOBAL__N_127rocblas_gemm_batched_kernelIfLi16ELi16ELi64ELi64ELi4ELi64ELi4ELi4ELi64ELc67ELc67EKDF16_S1_DF16_EEvlllT_PT11_llS4_llS2_PT12_llPT13_lli,"axG",@progbits,_ZN12_GLOBAL__N_127rocblas_gemm_batched_kernelIfLi16ELi16ELi64ELi64ELi4ELi64ELi4ELi4ELi64ELc67ELc67EKDF16_S1_DF16_EEvlllT_PT11_llS4_llS2_PT12_llPT13_lli,comdat
.Lfunc_end367:
	.size	_ZN12_GLOBAL__N_127rocblas_gemm_batched_kernelIfLi16ELi16ELi64ELi64ELi4ELi64ELi4ELi4ELi64ELc67ELc67EKDF16_S1_DF16_EEvlllT_PT11_llS4_llS2_PT12_llPT13_lli, .Lfunc_end367-_ZN12_GLOBAL__N_127rocblas_gemm_batched_kernelIfLi16ELi16ELi64ELi64ELi4ELi64ELi4ELi4ELi64ELc67ELc67EKDF16_S1_DF16_EEvlllT_PT11_llS4_llS2_PT12_llPT13_lli
                                        ; -- End function
	.set _ZN12_GLOBAL__N_127rocblas_gemm_batched_kernelIfLi16ELi16ELi64ELi64ELi4ELi64ELi4ELi4ELi64ELc67ELc67EKDF16_S1_DF16_EEvlllT_PT11_llS4_llS2_PT12_llPT13_lli.num_vgpr, 58
	.set _ZN12_GLOBAL__N_127rocblas_gemm_batched_kernelIfLi16ELi16ELi64ELi64ELi4ELi64ELi4ELi4ELi64ELc67ELc67EKDF16_S1_DF16_EEvlllT_PT11_llS4_llS2_PT12_llPT13_lli.num_agpr, 0
	.set _ZN12_GLOBAL__N_127rocblas_gemm_batched_kernelIfLi16ELi16ELi64ELi64ELi4ELi64ELi4ELi4ELi64ELc67ELc67EKDF16_S1_DF16_EEvlllT_PT11_llS4_llS2_PT12_llPT13_lli.numbered_sgpr, 22
	.set _ZN12_GLOBAL__N_127rocblas_gemm_batched_kernelIfLi16ELi16ELi64ELi64ELi4ELi64ELi4ELi4ELi64ELc67ELc67EKDF16_S1_DF16_EEvlllT_PT11_llS4_llS2_PT12_llPT13_lli.num_named_barrier, 0
	.set _ZN12_GLOBAL__N_127rocblas_gemm_batched_kernelIfLi16ELi16ELi64ELi64ELi4ELi64ELi4ELi4ELi64ELc67ELc67EKDF16_S1_DF16_EEvlllT_PT11_llS4_llS2_PT12_llPT13_lli.private_seg_size, 0
	.set _ZN12_GLOBAL__N_127rocblas_gemm_batched_kernelIfLi16ELi16ELi64ELi64ELi4ELi64ELi4ELi4ELi64ELc67ELc67EKDF16_S1_DF16_EEvlllT_PT11_llS4_llS2_PT12_llPT13_lli.uses_vcc, 1
	.set _ZN12_GLOBAL__N_127rocblas_gemm_batched_kernelIfLi16ELi16ELi64ELi64ELi4ELi64ELi4ELi4ELi64ELc67ELc67EKDF16_S1_DF16_EEvlllT_PT11_llS4_llS2_PT12_llPT13_lli.uses_flat_scratch, 0
	.set _ZN12_GLOBAL__N_127rocblas_gemm_batched_kernelIfLi16ELi16ELi64ELi64ELi4ELi64ELi4ELi4ELi64ELc67ELc67EKDF16_S1_DF16_EEvlllT_PT11_llS4_llS2_PT12_llPT13_lli.has_dyn_sized_stack, 0
	.set _ZN12_GLOBAL__N_127rocblas_gemm_batched_kernelIfLi16ELi16ELi64ELi64ELi4ELi64ELi4ELi4ELi64ELc67ELc67EKDF16_S1_DF16_EEvlllT_PT11_llS4_llS2_PT12_llPT13_lli.has_recursion, 0
	.set _ZN12_GLOBAL__N_127rocblas_gemm_batched_kernelIfLi16ELi16ELi64ELi64ELi4ELi64ELi4ELi4ELi64ELc67ELc67EKDF16_S1_DF16_EEvlllT_PT11_llS4_llS2_PT12_llPT13_lli.has_indirect_call, 0
	.section	.AMDGPU.csdata,"",@progbits
; Kernel info:
; codeLenInByte = 2484
; TotalNumSgprs: 24
; NumVgprs: 58
; ScratchSize: 0
; MemoryBound: 0
; FloatMode: 240
; IeeeMode: 1
; LDSByteSize: 2048 bytes/workgroup (compile time only)
; SGPRBlocks: 0
; VGPRBlocks: 7
; NumSGPRsForWavesPerEU: 24
; NumVGPRsForWavesPerEU: 58
; Occupancy: 16
; WaveLimiterHint : 0
; COMPUTE_PGM_RSRC2:SCRATCH_EN: 0
; COMPUTE_PGM_RSRC2:USER_SGPR: 6
; COMPUTE_PGM_RSRC2:TRAP_HANDLER: 0
; COMPUTE_PGM_RSRC2:TGID_X_EN: 1
; COMPUTE_PGM_RSRC2:TGID_Y_EN: 1
; COMPUTE_PGM_RSRC2:TGID_Z_EN: 1
; COMPUTE_PGM_RSRC2:TIDIG_COMP_CNT: 1
	.section	.text._ZN12_GLOBAL__N_127rocblas_gemm_batched_kernelIfLi16ELi16ELi64ELi64ELi4ELi64ELi4ELi4ELi64ELc67ELc78EKDF16_S1_DF16_EEvlllT_PT11_llS4_llS2_PT12_llPT13_lli,"axG",@progbits,_ZN12_GLOBAL__N_127rocblas_gemm_batched_kernelIfLi16ELi16ELi64ELi64ELi4ELi64ELi4ELi4ELi64ELc67ELc78EKDF16_S1_DF16_EEvlllT_PT11_llS4_llS2_PT12_llPT13_lli,comdat
	.globl	_ZN12_GLOBAL__N_127rocblas_gemm_batched_kernelIfLi16ELi16ELi64ELi64ELi4ELi64ELi4ELi4ELi64ELc67ELc78EKDF16_S1_DF16_EEvlllT_PT11_llS4_llS2_PT12_llPT13_lli ; -- Begin function _ZN12_GLOBAL__N_127rocblas_gemm_batched_kernelIfLi16ELi16ELi64ELi64ELi4ELi64ELi4ELi4ELi64ELc67ELc78EKDF16_S1_DF16_EEvlllT_PT11_llS4_llS2_PT12_llPT13_lli
	.p2align	8
	.type	_ZN12_GLOBAL__N_127rocblas_gemm_batched_kernelIfLi16ELi16ELi64ELi64ELi4ELi64ELi4ELi4ELi64ELc67ELc78EKDF16_S1_DF16_EEvlllT_PT11_llS4_llS2_PT12_llPT13_lli,@function
_ZN12_GLOBAL__N_127rocblas_gemm_batched_kernelIfLi16ELi16ELi64ELi64ELi4ELi64ELi4ELi4ELi64ELc67ELc78EKDF16_S1_DF16_EEvlllT_PT11_llS4_llS2_PT12_llPT13_lli: ; @_ZN12_GLOBAL__N_127rocblas_gemm_batched_kernelIfLi16ELi16ELi64ELi64ELi4ELi64ELi4ELi4ELi64ELc67ELc78EKDF16_S1_DF16_EEvlllT_PT11_llS4_llS2_PT12_llPT13_lli
; %bb.0:
	s_load_dwordx2 s[20:21], s[4:5], 0x10
	s_mov_b32 s0, s7
	v_mov_b32_e32 v19, 0
	v_mov_b32_e32 v21, 0
	;; [unrolled: 1-line block ×16, first 2 shown]
	s_ashr_i32 s7, s6, 31
	s_ashr_i32 s1, s0, 31
	s_waitcnt lgkmcnt(0)
	v_cmp_lt_i64_e64 s2, s[20:21], 1
	s_lshl_b64 s[6:7], s[6:7], 6
	s_lshl_b64 s[10:11], s[0:1], 6
	s_and_b32 vcc_lo, exec_lo, s2
	s_cbranch_vccnz .LBB368_3
; %bb.1:
	v_lshlrev_b32_e32 v7, 4, v1
	s_clause 0x1
	s_load_dwordx4 s[0:3], s[4:5], 0x40
	s_load_dwordx8 s[12:19], s[4:5], 0x20
	v_and_b32_e32 v8, 3, v0
	v_mov_b32_e32 v6, 0
	v_add_nc_u32_e32 v2, v7, v0
	v_add_nc_u32_e32 v25, 0x400, v7
	v_lshlrev_b32_e32 v22, 2, v0
	v_lshlrev_b32_e32 v4, 2, v8
	v_mov_b32_e32 v14, 0
	v_lshrrev_b32_e32 v3, 2, v2
	v_and_b32_e32 v5, 63, v2
	v_lshrrev_b32_e32 v11, 6, v2
	v_mov_b32_e32 v15, 0
	v_mov_b32_e32 v16, 0
	v_add_co_u32 v9, s9, v3, s10
	v_add_co_ci_u32_e64 v10, null, 0, s11, s9
	v_lshl_or_b32 v4, v3, 4, v4
	v_lshlrev_b32_e32 v12, 2, v5
	s_waitcnt lgkmcnt(0)
	v_mul_lo_u32 v13, s1, v9
	v_mul_lo_u32 v10, s0, v10
	v_mad_u64_u32 v[2:3], null, s0, v9, 0
	v_add_co_u32 v5, s0, s6, v5
	v_add_co_ci_u32_e64 v9, null, s7, 0, s0
	v_lshl_or_b32 v23, v11, 8, v12
	v_add_nc_u32_e32 v24, 0x400, v4
	v_mul_lo_u32 v12, s15, v5
	v_add3_u32 v3, v3, v10, v13
	v_mul_lo_u32 v9, s14, v9
	v_mad_u64_u32 v[4:5], null, s14, v5, 0
	s_mul_i32 s0, s3, s8
	s_mul_hi_u32 s1, s2, s8
	v_lshlrev_b64 v[2:3], 1, v[2:3]
	s_add_i32 s1, s1, s0
	s_mul_i32 s0, s2, s8
	v_mov_b32_e32 v10, 0
	v_add3_u32 v5, v5, v9, v12
	s_lshl_b64 s[0:1], s[0:1], 1
	v_mov_b32_e32 v12, 0
	v_add_co_u32 v7, vcc_lo, v2, s0
	v_add_co_ci_u32_e64 v9, null, s1, v3, vcc_lo
	s_mul_i32 s0, s17, s8
	s_mul_hi_u32 s1, s16, s8
	v_lshlrev_b64 v[2:3], 1, v[4:5]
	s_add_i32 s1, s1, s0
	s_mul_i32 s0, s16, s8
	v_lshlrev_b32_e32 v4, 1, v8
	s_lshl_b64 s[0:1], s[0:1], 1
	v_lshlrev_b32_e32 v5, 1, v11
	v_add_co_u32 v2, vcc_lo, v2, s0
	v_add_co_ci_u32_e64 v3, null, s1, v3, vcc_lo
	v_add_co_u32 v4, vcc_lo, v7, v4
	v_add_co_ci_u32_e64 v7, null, 0, v9, vcc_lo
	;; [unrolled: 2-line block ×5, first 2 shown]
	v_mov_b32_e32 v7, 0
	v_mov_b32_e32 v8, 0
	;; [unrolled: 1-line block ×10, first 2 shown]
	s_mov_b64 s[0:1], 0
.LBB368_2:                              ; =>This Inner Loop Header: Depth=1
	global_load_ushort v26, v[4:5], off
	global_load_ushort v27, v[2:3], off
	s_add_u32 s0, s0, 4
	s_addc_u32 s1, s1, 0
	v_add_co_u32 v2, vcc_lo, v2, 8
	v_cmp_lt_i64_e64 s2, s[0:1], s[20:21]
	v_add_co_ci_u32_e64 v3, null, 0, v3, vcc_lo
	v_add_co_u32 v4, vcc_lo, v4, 8
	v_add_co_ci_u32_e64 v5, null, 0, v5, vcc_lo
	s_and_b32 vcc_lo, exec_lo, s2
	s_waitcnt vmcnt(1)
	v_cvt_f32_f16_e32 v26, v26
	s_waitcnt vmcnt(0)
	v_cvt_f32_f16_e32 v27, v27
	ds_write_b32 v23, v26
	ds_write_b32 v24, v27
	s_waitcnt lgkmcnt(0)
	s_barrier
	buffer_gl0_inv
	ds_read_b128 v[26:29], v25
	ds_read2_b32 v[42:43], v22 offset1:16
	ds_read2_b32 v[44:45], v22 offset0:32 offset1:48
	ds_read_b128 v[30:33], v25 offset:256
	ds_read_b128 v[34:37], v25 offset:512
	;; [unrolled: 1-line block ×3, first 2 shown]
	ds_read2_b32 v[46:47], v22 offset0:64 offset1:80
	ds_read2_b32 v[48:49], v22 offset0:96 offset1:112
	;; [unrolled: 1-line block ×6, first 2 shown]
	s_waitcnt lgkmcnt(0)
	s_barrier
	buffer_gl0_inv
	v_fmac_f32_e32 v19, v42, v26
	v_fmac_f32_e32 v21, v43, v26
	;; [unrolled: 1-line block ×64, first 2 shown]
	s_cbranch_vccnz .LBB368_2
.LBB368_3:
	s_clause 0x3
	s_load_dwordx4 s[0:3], s[4:5], 0x78
	s_load_dword s9, s[4:5], 0x50
	s_load_dwordx8 s[12:19], s[4:5], 0x58
	s_load_dword s4, s[4:5], 0x18
	v_add_co_u32 v3, s5, s6, v0
	v_add_co_ci_u32_e64 v4, null, s7, 0, s5
	v_add_co_u32 v2, s5, s10, v1
	v_add_co_ci_u32_e64 v5, null, s11, 0, s5
	v_lshlrev_b64 v[0:1], 1, v[3:4]
	s_waitcnt lgkmcnt(0)
	s_mul_i32 s3, s3, s8
	s_mul_hi_u32 s5, s2, s8
	v_mul_lo_u32 v3, v5, s0
	v_mul_lo_u32 v4, v2, s1
	s_mul_i32 s2, s2, s8
	v_cmp_neq_f32_e64 s6, s9, 0
	s_add_i32 s3, s5, s3
	s_mov_b32 s5, 0
	s_lshl_b64 s[2:3], s[2:3], 1
	s_add_u32 s2, s18, s2
	s_addc_u32 s3, s19, s3
	s_and_b32 vcc_lo, exec_lo, s6
	s_cbranch_vccnz .LBB368_7
; %bb.4:
	v_mad_u64_u32 v[22:23], null, v2, s0, 0
	s_lshl_b64 s[6:7], s[0:1], 5
	v_fma_mixlo_f16 v26, s4, v19, 0
	v_fma_mixlo_f16 v27, s4, v21, 0
	;; [unrolled: 1-line block ×5, first 2 shown]
	v_add3_u32 v23, v23, v4, v3
	v_fma_mixlo_f16 v31, s4, v16, 0
	v_fma_mixlo_f16 v32, s4, v15, 0
	;; [unrolled: 1-line block ×3, first 2 shown]
	v_lshlrev_b64 v[22:23], 1, v[22:23]
	v_add_co_u32 v22, vcc_lo, s2, v22
	v_add_co_ci_u32_e64 v23, null, s3, v23, vcc_lo
	v_add_co_u32 v34, vcc_lo, v22, s6
	v_add_co_ci_u32_e64 v35, null, s7, v23, vcc_lo
	;; [unrolled: 2-line block ×4, first 2 shown]
	global_store_short v[22:23], v26, off
	global_store_short v[22:23], v27, off offset:32
	global_store_short v[22:23], v28, off offset:64
	;; [unrolled: 1-line block ×3, first 2 shown]
	global_store_short v[24:25], v30, off
	global_store_short v[24:25], v31, off offset:32
	v_add_co_u32 v26, vcc_lo, v34, s6
	v_add_co_ci_u32_e64 v27, null, s7, v35, vcc_lo
	v_fma_mixlo_f16 v28, s4, v13, 0
	v_add_co_u32 v22, vcc_lo, v26, v0
	v_add_co_ci_u32_e64 v23, null, v27, v1, vcc_lo
	v_fma_mixlo_f16 v29, s4, v12, 0
	v_fma_mixlo_f16 v30, s4, v11, 0
	global_store_short v[24:25], v32, off offset:64
	global_store_short v[24:25], v33, off offset:96
	global_store_short v[22:23], v28, off
	global_store_short v[22:23], v29, off offset:32
	global_store_short v[22:23], v30, off offset:64
	v_add_co_u32 v24, vcc_lo, v26, s6
	v_add_co_ci_u32_e64 v25, null, s7, v27, vcc_lo
	v_fma_mixlo_f16 v28, s4, v10, 0
	v_add_co_u32 v24, vcc_lo, v24, v0
	v_fma_mixlo_f16 v26, s4, v9, 0
	v_add_co_ci_u32_e64 v25, null, v25, v1, vcc_lo
	v_fma_mixlo_f16 v27, s4, v8, 0
	v_fma_mixlo_f16 v29, s4, v7, 0
	;; [unrolled: 1-line block ×3, first 2 shown]
	global_store_short v[22:23], v28, off offset:96
	global_store_short v[24:25], v26, off
	global_store_short v[24:25], v27, off offset:32
	global_store_short v[24:25], v29, off offset:64
	;; [unrolled: 1-line block ×3, first 2 shown]
	s_andn2_b32 vcc_lo, exec_lo, s5
	s_cbranch_vccnz .LBB368_6
.LBB368_5:
	v_mul_lo_u32 v5, v5, s14
	v_mul_lo_u32 v24, v2, s15
	v_mad_u64_u32 v[22:23], null, v2, s14, 0
	s_mul_i32 s5, s17, s8
	s_mul_hi_u32 s7, s16, s8
	s_mul_i32 s6, s16, s8
	s_add_i32 s7, s7, s5
	s_lshl_b64 s[6:7], s[6:7], 1
	v_add3_u32 v23, v23, v24, v5
	s_add_u32 s5, s12, s6
	s_addc_u32 s6, s13, s7
	v_mad_u64_u32 v[24:25], null, v2, s0, 0
	v_lshlrev_b64 v[22:23], 1, v[22:23]
	s_lshl_b64 s[0:1], s[0:1], 5
	v_add3_u32 v25, v25, v4, v3
	v_add_co_u32 v5, vcc_lo, s5, v22
	v_add_co_ci_u32_e64 v26, null, s6, v23, vcc_lo
	v_lshlrev_b64 v[2:3], 1, v[24:25]
	v_add_co_u32 v22, vcc_lo, v5, v0
	v_add_co_ci_u32_e64 v23, null, v26, v1, vcc_lo
	v_add_co_u32 v24, vcc_lo, s2, v2
	global_load_ushort v27, v[22:23], off
	v_add_co_ci_u32_e64 v25, null, s3, v3, vcc_lo
	v_add_co_u32 v2, vcc_lo, v24, v0
	s_lshl_b64 s[2:3], s[14:15], 5
	v_add_co_ci_u32_e64 v3, null, v25, v1, vcc_lo
	s_waitcnt vmcnt(0)
	v_cvt_f32_f16_e32 v4, v27
	v_mul_f32_e32 v4, s9, v4
	v_fma_mixlo_f16 v4, s4, v19, v4
	v_add_co_u32 v19, vcc_lo, v5, s2
	global_store_short v[2:3], v4, off
	global_load_ushort v4, v[22:23], off offset:32
	s_waitcnt vmcnt(0)
	v_cvt_f32_f16_e32 v4, v4
	v_mul_f32_e32 v4, s9, v4
	v_fma_mixlo_f16 v4, s4, v21, v4
	global_store_short v[2:3], v4, off offset:32
	global_load_ushort v4, v[22:23], off offset:64
	s_waitcnt vmcnt(0)
	v_cvt_f32_f16_e32 v4, v4
	v_mul_f32_e32 v4, s9, v4
	v_fma_mixlo_f16 v4, s4, v20, v4
	v_add_co_ci_u32_e64 v20, null, s3, v26, vcc_lo
	global_store_short v[2:3], v4, off offset:64
	global_load_ushort v4, v[22:23], off offset:96
	s_waitcnt vmcnt(0)
	v_cvt_f32_f16_e32 v4, v4
	v_mul_f32_e32 v4, s9, v4
	v_fma_mixlo_f16 v18, s4, v18, v4
	v_add_co_u32 v4, vcc_lo, v19, v0
	v_add_co_ci_u32_e64 v5, null, v20, v1, vcc_lo
	global_store_short v[2:3], v18, off offset:96
	v_add_co_u32 v18, vcc_lo, v24, s0
	global_load_ushort v2, v[4:5], off
	v_add_co_ci_u32_e64 v21, null, s1, v25, vcc_lo
	s_waitcnt vmcnt(0)
	v_cvt_f32_f16_e32 v2, v2
	v_mul_f32_e32 v22, s9, v2
	v_add_co_u32 v2, vcc_lo, v18, v0
	v_add_co_ci_u32_e64 v3, null, v21, v1, vcc_lo
	v_fma_mixlo_f16 v17, s4, v17, v22
	global_store_short v[2:3], v17, off
	global_load_ushort v17, v[4:5], off offset:32
	s_waitcnt vmcnt(0)
	v_cvt_f32_f16_e32 v17, v17
	v_mul_f32_e32 v17, s9, v17
	v_fma_mixlo_f16 v16, s4, v16, v17
	global_store_short v[2:3], v16, off offset:32
	global_load_ushort v16, v[4:5], off offset:64
	s_waitcnt vmcnt(0)
	v_cvt_f32_f16_e32 v16, v16
	v_mul_f32_e32 v16, s9, v16
	v_fma_mixlo_f16 v15, s4, v15, v16
	global_store_short v[2:3], v15, off offset:64
	global_load_ushort v4, v[4:5], off offset:96
	v_add_co_u32 v15, vcc_lo, v19, s2
	v_add_co_ci_u32_e64 v16, null, s3, v20, vcc_lo
	s_waitcnt vmcnt(0)
	v_cvt_f32_f16_e32 v4, v4
	v_mul_f32_e32 v4, s9, v4
	v_fma_mixlo_f16 v14, s4, v14, v4
	v_add_co_u32 v4, vcc_lo, v15, v0
	v_add_co_ci_u32_e64 v5, null, v16, v1, vcc_lo
	global_store_short v[2:3], v14, off offset:96
	v_add_co_u32 v14, vcc_lo, v18, s0
	global_load_ushort v2, v[4:5], off
	v_add_co_ci_u32_e64 v17, null, s1, v21, vcc_lo
	s_waitcnt vmcnt(0)
	v_cvt_f32_f16_e32 v2, v2
	v_mul_f32_e32 v18, s9, v2
	v_add_co_u32 v2, vcc_lo, v14, v0
	v_add_co_ci_u32_e64 v3, null, v17, v1, vcc_lo
	v_fma_mixlo_f16 v13, s4, v13, v18
	global_store_short v[2:3], v13, off
	global_load_ushort v13, v[4:5], off offset:32
	s_waitcnt vmcnt(0)
	v_cvt_f32_f16_e32 v13, v13
	v_mul_f32_e32 v13, s9, v13
	v_fma_mixlo_f16 v12, s4, v12, v13
	global_store_short v[2:3], v12, off offset:32
	global_load_ushort v12, v[4:5], off offset:64
	s_waitcnt vmcnt(0)
	v_cvt_f32_f16_e32 v12, v12
	v_mul_f32_e32 v12, s9, v12
	v_fma_mixlo_f16 v11, s4, v11, v12
	global_store_short v[2:3], v11, off offset:64
	global_load_ushort v4, v[4:5], off offset:96
	v_add_co_u32 v5, vcc_lo, v15, s2
	v_add_co_ci_u32_e64 v11, null, s3, v16, vcc_lo
	s_waitcnt vmcnt(0)
	v_cvt_f32_f16_e32 v4, v4
	v_mul_f32_e32 v4, s9, v4
	v_fma_mixlo_f16 v10, s4, v10, v4
	v_add_co_u32 v4, vcc_lo, v5, v0
	v_add_co_ci_u32_e64 v5, null, v11, v1, vcc_lo
	global_store_short v[2:3], v10, off offset:96
	v_add_co_u32 v3, vcc_lo, v14, s0
	global_load_ushort v2, v[4:5], off
	v_add_co_ci_u32_e64 v10, null, s1, v17, vcc_lo
	v_add_co_u32 v0, vcc_lo, v3, v0
	v_add_co_ci_u32_e64 v1, null, v10, v1, vcc_lo
	s_waitcnt vmcnt(0)
	v_cvt_f32_f16_e32 v2, v2
	v_mul_f32_e32 v2, s9, v2
	v_fma_mixlo_f16 v2, s4, v9, v2
	global_store_short v[0:1], v2, off
	global_load_ushort v2, v[4:5], off offset:32
	s_waitcnt vmcnt(0)
	v_cvt_f32_f16_e32 v2, v2
	v_mul_f32_e32 v2, s9, v2
	v_fma_mixlo_f16 v2, s4, v8, v2
	global_store_short v[0:1], v2, off offset:32
	global_load_ushort v2, v[4:5], off offset:64
	s_waitcnt vmcnt(0)
	v_cvt_f32_f16_e32 v2, v2
	v_mul_f32_e32 v2, s9, v2
	v_fma_mixlo_f16 v2, s4, v7, v2
	global_store_short v[0:1], v2, off offset:64
	;; [unrolled: 6-line block ×3, first 2 shown]
.LBB368_6:
	s_endpgm
.LBB368_7:
	s_branch .LBB368_5
	.section	.rodata,"a",@progbits
	.p2align	6, 0x0
	.amdhsa_kernel _ZN12_GLOBAL__N_127rocblas_gemm_batched_kernelIfLi16ELi16ELi64ELi64ELi4ELi64ELi4ELi4ELi64ELc67ELc78EKDF16_S1_DF16_EEvlllT_PT11_llS4_llS2_PT12_llPT13_lli
		.amdhsa_group_segment_fixed_size 2048
		.amdhsa_private_segment_fixed_size 0
		.amdhsa_kernarg_size 140
		.amdhsa_user_sgpr_count 6
		.amdhsa_user_sgpr_private_segment_buffer 1
		.amdhsa_user_sgpr_dispatch_ptr 0
		.amdhsa_user_sgpr_queue_ptr 0
		.amdhsa_user_sgpr_kernarg_segment_ptr 1
		.amdhsa_user_sgpr_dispatch_id 0
		.amdhsa_user_sgpr_flat_scratch_init 0
		.amdhsa_user_sgpr_private_segment_size 0
		.amdhsa_wavefront_size32 1
		.amdhsa_uses_dynamic_stack 0
		.amdhsa_system_sgpr_private_segment_wavefront_offset 0
		.amdhsa_system_sgpr_workgroup_id_x 1
		.amdhsa_system_sgpr_workgroup_id_y 1
		.amdhsa_system_sgpr_workgroup_id_z 1
		.amdhsa_system_sgpr_workgroup_info 0
		.amdhsa_system_vgpr_workitem_id 1
		.amdhsa_next_free_vgpr 58
		.amdhsa_next_free_sgpr 22
		.amdhsa_reserve_vcc 1
		.amdhsa_reserve_flat_scratch 0
		.amdhsa_float_round_mode_32 0
		.amdhsa_float_round_mode_16_64 0
		.amdhsa_float_denorm_mode_32 3
		.amdhsa_float_denorm_mode_16_64 3
		.amdhsa_dx10_clamp 1
		.amdhsa_ieee_mode 1
		.amdhsa_fp16_overflow 0
		.amdhsa_workgroup_processor_mode 1
		.amdhsa_memory_ordered 1
		.amdhsa_forward_progress 1
		.amdhsa_shared_vgpr_count 0
		.amdhsa_exception_fp_ieee_invalid_op 0
		.amdhsa_exception_fp_denorm_src 0
		.amdhsa_exception_fp_ieee_div_zero 0
		.amdhsa_exception_fp_ieee_overflow 0
		.amdhsa_exception_fp_ieee_underflow 0
		.amdhsa_exception_fp_ieee_inexact 0
		.amdhsa_exception_int_div_zero 0
	.end_amdhsa_kernel
	.section	.text._ZN12_GLOBAL__N_127rocblas_gemm_batched_kernelIfLi16ELi16ELi64ELi64ELi4ELi64ELi4ELi4ELi64ELc67ELc78EKDF16_S1_DF16_EEvlllT_PT11_llS4_llS2_PT12_llPT13_lli,"axG",@progbits,_ZN12_GLOBAL__N_127rocblas_gemm_batched_kernelIfLi16ELi16ELi64ELi64ELi4ELi64ELi4ELi4ELi64ELc67ELc78EKDF16_S1_DF16_EEvlllT_PT11_llS4_llS2_PT12_llPT13_lli,comdat
.Lfunc_end368:
	.size	_ZN12_GLOBAL__N_127rocblas_gemm_batched_kernelIfLi16ELi16ELi64ELi64ELi4ELi64ELi4ELi4ELi64ELc67ELc78EKDF16_S1_DF16_EEvlllT_PT11_llS4_llS2_PT12_llPT13_lli, .Lfunc_end368-_ZN12_GLOBAL__N_127rocblas_gemm_batched_kernelIfLi16ELi16ELi64ELi64ELi4ELi64ELi4ELi4ELi64ELc67ELc78EKDF16_S1_DF16_EEvlllT_PT11_llS4_llS2_PT12_llPT13_lli
                                        ; -- End function
	.set _ZN12_GLOBAL__N_127rocblas_gemm_batched_kernelIfLi16ELi16ELi64ELi64ELi4ELi64ELi4ELi4ELi64ELc67ELc78EKDF16_S1_DF16_EEvlllT_PT11_llS4_llS2_PT12_llPT13_lli.num_vgpr, 58
	.set _ZN12_GLOBAL__N_127rocblas_gemm_batched_kernelIfLi16ELi16ELi64ELi64ELi4ELi64ELi4ELi4ELi64ELc67ELc78EKDF16_S1_DF16_EEvlllT_PT11_llS4_llS2_PT12_llPT13_lli.num_agpr, 0
	.set _ZN12_GLOBAL__N_127rocblas_gemm_batched_kernelIfLi16ELi16ELi64ELi64ELi4ELi64ELi4ELi4ELi64ELc67ELc78EKDF16_S1_DF16_EEvlllT_PT11_llS4_llS2_PT12_llPT13_lli.numbered_sgpr, 22
	.set _ZN12_GLOBAL__N_127rocblas_gemm_batched_kernelIfLi16ELi16ELi64ELi64ELi4ELi64ELi4ELi4ELi64ELc67ELc78EKDF16_S1_DF16_EEvlllT_PT11_llS4_llS2_PT12_llPT13_lli.num_named_barrier, 0
	.set _ZN12_GLOBAL__N_127rocblas_gemm_batched_kernelIfLi16ELi16ELi64ELi64ELi4ELi64ELi4ELi4ELi64ELc67ELc78EKDF16_S1_DF16_EEvlllT_PT11_llS4_llS2_PT12_llPT13_lli.private_seg_size, 0
	.set _ZN12_GLOBAL__N_127rocblas_gemm_batched_kernelIfLi16ELi16ELi64ELi64ELi4ELi64ELi4ELi4ELi64ELc67ELc78EKDF16_S1_DF16_EEvlllT_PT11_llS4_llS2_PT12_llPT13_lli.uses_vcc, 1
	.set _ZN12_GLOBAL__N_127rocblas_gemm_batched_kernelIfLi16ELi16ELi64ELi64ELi4ELi64ELi4ELi4ELi64ELc67ELc78EKDF16_S1_DF16_EEvlllT_PT11_llS4_llS2_PT12_llPT13_lli.uses_flat_scratch, 0
	.set _ZN12_GLOBAL__N_127rocblas_gemm_batched_kernelIfLi16ELi16ELi64ELi64ELi4ELi64ELi4ELi4ELi64ELc67ELc78EKDF16_S1_DF16_EEvlllT_PT11_llS4_llS2_PT12_llPT13_lli.has_dyn_sized_stack, 0
	.set _ZN12_GLOBAL__N_127rocblas_gemm_batched_kernelIfLi16ELi16ELi64ELi64ELi4ELi64ELi4ELi4ELi64ELc67ELc78EKDF16_S1_DF16_EEvlllT_PT11_llS4_llS2_PT12_llPT13_lli.has_recursion, 0
	.set _ZN12_GLOBAL__N_127rocblas_gemm_batched_kernelIfLi16ELi16ELi64ELi64ELi4ELi64ELi4ELi4ELi64ELc67ELc78EKDF16_S1_DF16_EEvlllT_PT11_llS4_llS2_PT12_llPT13_lli.has_indirect_call, 0
	.section	.AMDGPU.csdata,"",@progbits
; Kernel info:
; codeLenInByte = 2520
; TotalNumSgprs: 24
; NumVgprs: 58
; ScratchSize: 0
; MemoryBound: 0
; FloatMode: 240
; IeeeMode: 1
; LDSByteSize: 2048 bytes/workgroup (compile time only)
; SGPRBlocks: 0
; VGPRBlocks: 7
; NumSGPRsForWavesPerEU: 24
; NumVGPRsForWavesPerEU: 58
; Occupancy: 16
; WaveLimiterHint : 0
; COMPUTE_PGM_RSRC2:SCRATCH_EN: 0
; COMPUTE_PGM_RSRC2:USER_SGPR: 6
; COMPUTE_PGM_RSRC2:TRAP_HANDLER: 0
; COMPUTE_PGM_RSRC2:TGID_X_EN: 1
; COMPUTE_PGM_RSRC2:TGID_Y_EN: 1
; COMPUTE_PGM_RSRC2:TGID_Z_EN: 1
; COMPUTE_PGM_RSRC2:TIDIG_COMP_CNT: 1
	.section	.text._ZN12_GLOBAL__N_127rocblas_gemm_batched_kernelIfLi16ELi16ELi64ELi64ELi4ELi64ELi4ELi4ELi64ELc67ELc84EKDF16_S1_DF16_EEvlllT_PT11_llS4_llS2_PT12_llPT13_lli,"axG",@progbits,_ZN12_GLOBAL__N_127rocblas_gemm_batched_kernelIfLi16ELi16ELi64ELi64ELi4ELi64ELi4ELi4ELi64ELc67ELc84EKDF16_S1_DF16_EEvlllT_PT11_llS4_llS2_PT12_llPT13_lli,comdat
	.globl	_ZN12_GLOBAL__N_127rocblas_gemm_batched_kernelIfLi16ELi16ELi64ELi64ELi4ELi64ELi4ELi4ELi64ELc67ELc84EKDF16_S1_DF16_EEvlllT_PT11_llS4_llS2_PT12_llPT13_lli ; -- Begin function _ZN12_GLOBAL__N_127rocblas_gemm_batched_kernelIfLi16ELi16ELi64ELi64ELi4ELi64ELi4ELi4ELi64ELc67ELc84EKDF16_S1_DF16_EEvlllT_PT11_llS4_llS2_PT12_llPT13_lli
	.p2align	8
	.type	_ZN12_GLOBAL__N_127rocblas_gemm_batched_kernelIfLi16ELi16ELi64ELi64ELi4ELi64ELi4ELi4ELi64ELc67ELc84EKDF16_S1_DF16_EEvlllT_PT11_llS4_llS2_PT12_llPT13_lli,@function
_ZN12_GLOBAL__N_127rocblas_gemm_batched_kernelIfLi16ELi16ELi64ELi64ELi4ELi64ELi4ELi4ELi64ELc67ELc84EKDF16_S1_DF16_EEvlllT_PT11_llS4_llS2_PT12_llPT13_lli: ; @_ZN12_GLOBAL__N_127rocblas_gemm_batched_kernelIfLi16ELi16ELi64ELi64ELi4ELi64ELi4ELi4ELi64ELc67ELc84EKDF16_S1_DF16_EEvlllT_PT11_llS4_llS2_PT12_llPT13_lli
; %bb.0:
	s_load_dwordx2 s[20:21], s[4:5], 0x10
	s_mov_b32 s0, s7
	v_mov_b32_e32 v19, 0
	v_mov_b32_e32 v21, 0
	;; [unrolled: 1-line block ×16, first 2 shown]
	s_ashr_i32 s7, s6, 31
	s_ashr_i32 s1, s0, 31
	s_waitcnt lgkmcnt(0)
	v_cmp_lt_i64_e64 s2, s[20:21], 1
	s_lshl_b64 s[6:7], s[6:7], 6
	s_lshl_b64 s[10:11], s[0:1], 6
	s_and_b32 vcc_lo, exec_lo, s2
	s_cbranch_vccnz .LBB369_3
; %bb.1:
	v_lshlrev_b32_e32 v4, 4, v1
	s_clause 0x1
	s_load_dwordx4 s[0:3], s[4:5], 0x40
	s_load_dwordx8 s[12:19], s[4:5], 0x20
	v_and_b32_e32 v8, 3, v0
	v_mov_b32_e32 v3, 0
	v_add_nc_u32_e32 v5, v4, v0
	v_add_nc_u32_e32 v23, 0x400, v4
	v_lshlrev_b32_e32 v22, 2, v0
	v_lshlrev_b32_e32 v6, 2, v8
	v_mov_b32_e32 v13, v3
	v_and_b32_e32 v7, 63, v5
	v_lshrrev_b32_e32 v2, 2, v5
	v_lshrrev_b32_e32 v10, 6, v5
	v_mov_b32_e32 v14, v3
	v_mov_b32_e32 v15, v3
	v_lshlrev_b32_e32 v4, 2, v7
	v_lshl_or_b32 v9, v2, 4, v6
	v_add_co_u32 v6, s9, s6, v7
	v_add_co_ci_u32_e64 v7, null, s7, 0, s9
	v_lshl_or_b32 v24, v10, 8, v4
	s_waitcnt lgkmcnt(0)
	v_mad_u64_u32 v[4:5], null, s0, v8, v[2:3]
	v_mul_lo_u32 v11, s15, v6
	v_mul_lo_u32 v12, s14, v7
	v_mad_u64_u32 v[6:7], null, s14, v6, 0
	s_mul_i32 s3, s3, s8
	s_mul_hi_u32 s9, s2, s8
	v_mov_b32_e32 v2, v5
	s_mul_i32 s2, s2, s8
	s_add_i32 s3, s9, s3
	v_add_nc_u32_e32 v25, 0x400, v9
	v_add3_u32 v7, v7, v12, v11
	v_mad_u64_u32 v[8:9], null, s1, v8, v[2:3]
	s_lshl_b64 s[2:3], s[2:3], 1
	v_lshlrev_b32_e32 v2, 1, v10
	s_add_u32 s9, s18, s2
	s_addc_u32 s14, s19, s3
	s_mul_i32 s2, s17, s8
	s_mul_hi_u32 s3, s16, s8
	v_lshlrev_b64 v[5:6], 1, v[6:7]
	v_add_co_u32 v7, vcc_lo, v4, s10
	s_add_i32 s3, s3, s2
	s_mul_i32 s2, s16, s8
	v_add_co_ci_u32_e64 v8, null, s11, v8, vcc_lo
	s_lshl_b64 s[2:3], s[2:3], 1
	v_mov_b32_e32 v10, v3
	v_add_co_u32 v9, vcc_lo, v5, s2
	v_add_co_ci_u32_e64 v6, null, s3, v6, vcc_lo
	v_lshlrev_b64 v[4:5], 1, v[7:8]
	v_add_co_u32 v2, vcc_lo, v9, v2
	v_add_co_ci_u32_e64 v7, null, 0, v6, vcc_lo
	v_mov_b32_e32 v8, v3
	v_add_co_u32 v4, vcc_lo, s9, v4
	v_add_co_ci_u32_e64 v5, null, s14, v5, vcc_lo
	v_add_co_u32 v6, vcc_lo, s12, v2
	v_add_co_ci_u32_e64 v7, null, s13, v7, vcc_lo
	v_mov_b32_e32 v2, v3
	v_mov_b32_e32 v9, v3
	;; [unrolled: 1-line block ×10, first 2 shown]
	s_lshl_b64 s[0:1], s[0:1], 3
	s_mov_b64 s[2:3], 0
.LBB369_2:                              ; =>This Inner Loop Header: Depth=1
	global_load_ushort v26, v[6:7], off
	global_load_ushort v27, v[4:5], off
	s_add_u32 s2, s2, 4
	s_addc_u32 s3, s3, 0
	v_add_co_u32 v4, vcc_lo, v4, s0
	v_cmp_lt_i64_e64 s9, s[2:3], s[20:21]
	v_add_co_ci_u32_e64 v5, null, s1, v5, vcc_lo
	v_add_co_u32 v6, vcc_lo, v6, 8
	v_add_co_ci_u32_e64 v7, null, 0, v7, vcc_lo
	s_and_b32 vcc_lo, exec_lo, s9
	s_waitcnt vmcnt(1)
	v_cvt_f32_f16_e32 v26, v26
	s_waitcnt vmcnt(0)
	v_cvt_f32_f16_e32 v27, v27
	ds_write_b32 v24, v26
	ds_write_b32 v25, v27
	s_waitcnt lgkmcnt(0)
	s_barrier
	buffer_gl0_inv
	ds_read_b128 v[26:29], v23
	ds_read2_b32 v[42:43], v22 offset1:16
	ds_read2_b32 v[44:45], v22 offset0:32 offset1:48
	ds_read_b128 v[30:33], v23 offset:256
	ds_read_b128 v[34:37], v23 offset:512
	;; [unrolled: 1-line block ×3, first 2 shown]
	ds_read2_b32 v[46:47], v22 offset0:64 offset1:80
	ds_read2_b32 v[48:49], v22 offset0:96 offset1:112
	;; [unrolled: 1-line block ×6, first 2 shown]
	s_waitcnt lgkmcnt(0)
	s_barrier
	buffer_gl0_inv
	v_fmac_f32_e32 v19, v42, v26
	v_fmac_f32_e32 v21, v43, v26
	;; [unrolled: 1-line block ×64, first 2 shown]
	s_cbranch_vccnz .LBB369_2
.LBB369_3:
	s_clause 0x3
	s_load_dwordx4 s[0:3], s[4:5], 0x78
	s_load_dword s9, s[4:5], 0x50
	s_load_dwordx8 s[12:19], s[4:5], 0x58
	s_load_dword s4, s[4:5], 0x18
	v_add_co_u32 v5, s5, s6, v0
	v_add_co_ci_u32_e64 v6, null, s7, 0, s5
	v_add_co_u32 v4, s5, s10, v1
	v_add_co_ci_u32_e64 v7, null, s11, 0, s5
	v_lshlrev_b64 v[0:1], 1, v[5:6]
	s_waitcnt lgkmcnt(0)
	s_mul_i32 s3, s3, s8
	s_mul_hi_u32 s5, s2, s8
	v_mul_lo_u32 v5, v7, s0
	v_mul_lo_u32 v6, v4, s1
	s_mul_i32 s2, s2, s8
	v_cmp_neq_f32_e64 s6, s9, 0
	s_add_i32 s3, s5, s3
	s_mov_b32 s5, 0
	s_lshl_b64 s[2:3], s[2:3], 1
	s_add_u32 s2, s18, s2
	s_addc_u32 s3, s19, s3
	s_and_b32 vcc_lo, exec_lo, s6
	s_cbranch_vccnz .LBB369_7
; %bb.4:
	v_mad_u64_u32 v[22:23], null, v4, s0, 0
	s_lshl_b64 s[6:7], s[0:1], 5
	v_fma_mixlo_f16 v26, s4, v19, 0
	v_fma_mixlo_f16 v27, s4, v21, 0
	;; [unrolled: 1-line block ×5, first 2 shown]
	v_add3_u32 v23, v23, v6, v5
	v_fma_mixlo_f16 v31, s4, v16, 0
	v_fma_mixlo_f16 v32, s4, v15, 0
	;; [unrolled: 1-line block ×3, first 2 shown]
	v_lshlrev_b64 v[22:23], 1, v[22:23]
	v_add_co_u32 v22, vcc_lo, s2, v22
	v_add_co_ci_u32_e64 v23, null, s3, v23, vcc_lo
	v_add_co_u32 v34, vcc_lo, v22, s6
	v_add_co_ci_u32_e64 v35, null, s7, v23, vcc_lo
	;; [unrolled: 2-line block ×4, first 2 shown]
	global_store_short v[22:23], v26, off
	global_store_short v[22:23], v27, off offset:32
	global_store_short v[22:23], v28, off offset:64
	global_store_short v[22:23], v29, off offset:96
	global_store_short v[24:25], v30, off
	global_store_short v[24:25], v31, off offset:32
	v_add_co_u32 v26, vcc_lo, v34, s6
	v_add_co_ci_u32_e64 v27, null, s7, v35, vcc_lo
	v_fma_mixlo_f16 v28, s4, v13, 0
	v_add_co_u32 v22, vcc_lo, v26, v0
	v_add_co_ci_u32_e64 v23, null, v27, v1, vcc_lo
	v_fma_mixlo_f16 v29, s4, v12, 0
	v_fma_mixlo_f16 v30, s4, v11, 0
	global_store_short v[24:25], v32, off offset:64
	global_store_short v[24:25], v33, off offset:96
	global_store_short v[22:23], v28, off
	global_store_short v[22:23], v29, off offset:32
	global_store_short v[22:23], v30, off offset:64
	v_add_co_u32 v24, vcc_lo, v26, s6
	v_add_co_ci_u32_e64 v25, null, s7, v27, vcc_lo
	v_fma_mixlo_f16 v28, s4, v10, 0
	v_add_co_u32 v24, vcc_lo, v24, v0
	v_fma_mixlo_f16 v26, s4, v9, 0
	v_add_co_ci_u32_e64 v25, null, v25, v1, vcc_lo
	v_fma_mixlo_f16 v27, s4, v8, 0
	v_fma_mixlo_f16 v29, s4, v2, 0
	;; [unrolled: 1-line block ×3, first 2 shown]
	global_store_short v[22:23], v28, off offset:96
	global_store_short v[24:25], v26, off
	global_store_short v[24:25], v27, off offset:32
	global_store_short v[24:25], v29, off offset:64
	;; [unrolled: 1-line block ×3, first 2 shown]
	s_andn2_b32 vcc_lo, exec_lo, s5
	s_cbranch_vccnz .LBB369_6
.LBB369_5:
	v_mul_lo_u32 v7, v7, s14
	v_mul_lo_u32 v24, v4, s15
	v_mad_u64_u32 v[22:23], null, v4, s14, 0
	s_mul_i32 s5, s17, s8
	s_mul_hi_u32 s7, s16, s8
	s_mul_i32 s6, s16, s8
	s_add_i32 s7, s7, s5
	s_lshl_b64 s[6:7], s[6:7], 1
	v_add3_u32 v23, v23, v24, v7
	s_add_u32 s5, s12, s6
	s_addc_u32 s6, s13, s7
	v_mad_u64_u32 v[24:25], null, v4, s0, 0
	v_lshlrev_b64 v[22:23], 1, v[22:23]
	s_lshl_b64 s[0:1], s[0:1], 5
	v_add3_u32 v25, v25, v6, v5
	v_add_co_u32 v7, vcc_lo, s5, v22
	v_add_co_ci_u32_e64 v26, null, s6, v23, vcc_lo
	v_lshlrev_b64 v[4:5], 1, v[24:25]
	v_add_co_u32 v22, vcc_lo, v7, v0
	v_add_co_ci_u32_e64 v23, null, v26, v1, vcc_lo
	v_add_co_u32 v24, vcc_lo, s2, v4
	global_load_ushort v27, v[22:23], off
	v_add_co_ci_u32_e64 v25, null, s3, v5, vcc_lo
	v_add_co_u32 v4, vcc_lo, v24, v0
	s_lshl_b64 s[2:3], s[14:15], 5
	v_add_co_ci_u32_e64 v5, null, v25, v1, vcc_lo
	s_waitcnt vmcnt(0)
	v_cvt_f32_f16_e32 v6, v27
	v_mul_f32_e32 v6, s9, v6
	v_fma_mixlo_f16 v6, s4, v19, v6
	v_add_co_u32 v19, vcc_lo, v7, s2
	global_store_short v[4:5], v6, off
	global_load_ushort v6, v[22:23], off offset:32
	s_waitcnt vmcnt(0)
	v_cvt_f32_f16_e32 v6, v6
	v_mul_f32_e32 v6, s9, v6
	v_fma_mixlo_f16 v6, s4, v21, v6
	global_store_short v[4:5], v6, off offset:32
	global_load_ushort v6, v[22:23], off offset:64
	s_waitcnt vmcnt(0)
	v_cvt_f32_f16_e32 v6, v6
	v_mul_f32_e32 v6, s9, v6
	v_fma_mixlo_f16 v6, s4, v20, v6
	v_add_co_ci_u32_e64 v20, null, s3, v26, vcc_lo
	global_store_short v[4:5], v6, off offset:64
	global_load_ushort v6, v[22:23], off offset:96
	s_waitcnt vmcnt(0)
	v_cvt_f32_f16_e32 v6, v6
	v_mul_f32_e32 v6, s9, v6
	v_fma_mixlo_f16 v18, s4, v18, v6
	v_add_co_u32 v6, vcc_lo, v19, v0
	v_add_co_ci_u32_e64 v7, null, v20, v1, vcc_lo
	global_store_short v[4:5], v18, off offset:96
	v_add_co_u32 v18, vcc_lo, v24, s0
	global_load_ushort v4, v[6:7], off
	v_add_co_ci_u32_e64 v21, null, s1, v25, vcc_lo
	s_waitcnt vmcnt(0)
	v_cvt_f32_f16_e32 v4, v4
	v_mul_f32_e32 v22, s9, v4
	v_add_co_u32 v4, vcc_lo, v18, v0
	v_add_co_ci_u32_e64 v5, null, v21, v1, vcc_lo
	v_fma_mixlo_f16 v17, s4, v17, v22
	global_store_short v[4:5], v17, off
	global_load_ushort v17, v[6:7], off offset:32
	s_waitcnt vmcnt(0)
	v_cvt_f32_f16_e32 v17, v17
	v_mul_f32_e32 v17, s9, v17
	v_fma_mixlo_f16 v16, s4, v16, v17
	global_store_short v[4:5], v16, off offset:32
	global_load_ushort v16, v[6:7], off offset:64
	s_waitcnt vmcnt(0)
	v_cvt_f32_f16_e32 v16, v16
	v_mul_f32_e32 v16, s9, v16
	v_fma_mixlo_f16 v15, s4, v15, v16
	global_store_short v[4:5], v15, off offset:64
	global_load_ushort v6, v[6:7], off offset:96
	v_add_co_u32 v15, vcc_lo, v19, s2
	v_add_co_ci_u32_e64 v16, null, s3, v20, vcc_lo
	s_waitcnt vmcnt(0)
	v_cvt_f32_f16_e32 v6, v6
	v_mul_f32_e32 v6, s9, v6
	v_fma_mixlo_f16 v14, s4, v14, v6
	v_add_co_u32 v6, vcc_lo, v15, v0
	v_add_co_ci_u32_e64 v7, null, v16, v1, vcc_lo
	global_store_short v[4:5], v14, off offset:96
	v_add_co_u32 v14, vcc_lo, v18, s0
	global_load_ushort v4, v[6:7], off
	v_add_co_ci_u32_e64 v17, null, s1, v21, vcc_lo
	s_waitcnt vmcnt(0)
	v_cvt_f32_f16_e32 v4, v4
	v_mul_f32_e32 v18, s9, v4
	v_add_co_u32 v4, vcc_lo, v14, v0
	v_add_co_ci_u32_e64 v5, null, v17, v1, vcc_lo
	v_fma_mixlo_f16 v13, s4, v13, v18
	global_store_short v[4:5], v13, off
	global_load_ushort v13, v[6:7], off offset:32
	s_waitcnt vmcnt(0)
	v_cvt_f32_f16_e32 v13, v13
	v_mul_f32_e32 v13, s9, v13
	v_fma_mixlo_f16 v12, s4, v12, v13
	global_store_short v[4:5], v12, off offset:32
	global_load_ushort v12, v[6:7], off offset:64
	s_waitcnt vmcnt(0)
	v_cvt_f32_f16_e32 v12, v12
	v_mul_f32_e32 v12, s9, v12
	v_fma_mixlo_f16 v11, s4, v11, v12
	global_store_short v[4:5], v11, off offset:64
	global_load_ushort v6, v[6:7], off offset:96
	v_add_co_u32 v7, vcc_lo, v15, s2
	v_add_co_ci_u32_e64 v11, null, s3, v16, vcc_lo
	s_waitcnt vmcnt(0)
	v_cvt_f32_f16_e32 v6, v6
	v_mul_f32_e32 v6, s9, v6
	v_fma_mixlo_f16 v10, s4, v10, v6
	v_add_co_u32 v6, vcc_lo, v7, v0
	v_add_co_ci_u32_e64 v7, null, v11, v1, vcc_lo
	global_store_short v[4:5], v10, off offset:96
	v_add_co_u32 v5, vcc_lo, v14, s0
	global_load_ushort v4, v[6:7], off
	v_add_co_ci_u32_e64 v10, null, s1, v17, vcc_lo
	v_add_co_u32 v0, vcc_lo, v5, v0
	v_add_co_ci_u32_e64 v1, null, v10, v1, vcc_lo
	s_waitcnt vmcnt(0)
	v_cvt_f32_f16_e32 v4, v4
	v_mul_f32_e32 v4, s9, v4
	v_fma_mixlo_f16 v4, s4, v9, v4
	global_store_short v[0:1], v4, off
	global_load_ushort v4, v[6:7], off offset:32
	s_waitcnt vmcnt(0)
	v_cvt_f32_f16_e32 v4, v4
	v_mul_f32_e32 v4, s9, v4
	v_fma_mixlo_f16 v4, s4, v8, v4
	global_store_short v[0:1], v4, off offset:32
	global_load_ushort v4, v[6:7], off offset:64
	s_waitcnt vmcnt(0)
	v_cvt_f32_f16_e32 v4, v4
	v_mul_f32_e32 v4, s9, v4
	v_fma_mixlo_f16 v2, s4, v2, v4
	global_store_short v[0:1], v2, off offset:64
	;; [unrolled: 6-line block ×3, first 2 shown]
.LBB369_6:
	s_endpgm
.LBB369_7:
	s_branch .LBB369_5
	.section	.rodata,"a",@progbits
	.p2align	6, 0x0
	.amdhsa_kernel _ZN12_GLOBAL__N_127rocblas_gemm_batched_kernelIfLi16ELi16ELi64ELi64ELi4ELi64ELi4ELi4ELi64ELc67ELc84EKDF16_S1_DF16_EEvlllT_PT11_llS4_llS2_PT12_llPT13_lli
		.amdhsa_group_segment_fixed_size 2048
		.amdhsa_private_segment_fixed_size 0
		.amdhsa_kernarg_size 140
		.amdhsa_user_sgpr_count 6
		.amdhsa_user_sgpr_private_segment_buffer 1
		.amdhsa_user_sgpr_dispatch_ptr 0
		.amdhsa_user_sgpr_queue_ptr 0
		.amdhsa_user_sgpr_kernarg_segment_ptr 1
		.amdhsa_user_sgpr_dispatch_id 0
		.amdhsa_user_sgpr_flat_scratch_init 0
		.amdhsa_user_sgpr_private_segment_size 0
		.amdhsa_wavefront_size32 1
		.amdhsa_uses_dynamic_stack 0
		.amdhsa_system_sgpr_private_segment_wavefront_offset 0
		.amdhsa_system_sgpr_workgroup_id_x 1
		.amdhsa_system_sgpr_workgroup_id_y 1
		.amdhsa_system_sgpr_workgroup_id_z 1
		.amdhsa_system_sgpr_workgroup_info 0
		.amdhsa_system_vgpr_workitem_id 1
		.amdhsa_next_free_vgpr 58
		.amdhsa_next_free_sgpr 22
		.amdhsa_reserve_vcc 1
		.amdhsa_reserve_flat_scratch 0
		.amdhsa_float_round_mode_32 0
		.amdhsa_float_round_mode_16_64 0
		.amdhsa_float_denorm_mode_32 3
		.amdhsa_float_denorm_mode_16_64 3
		.amdhsa_dx10_clamp 1
		.amdhsa_ieee_mode 1
		.amdhsa_fp16_overflow 0
		.amdhsa_workgroup_processor_mode 1
		.amdhsa_memory_ordered 1
		.amdhsa_forward_progress 1
		.amdhsa_shared_vgpr_count 0
		.amdhsa_exception_fp_ieee_invalid_op 0
		.amdhsa_exception_fp_denorm_src 0
		.amdhsa_exception_fp_ieee_div_zero 0
		.amdhsa_exception_fp_ieee_overflow 0
		.amdhsa_exception_fp_ieee_underflow 0
		.amdhsa_exception_fp_ieee_inexact 0
		.amdhsa_exception_int_div_zero 0
	.end_amdhsa_kernel
	.section	.text._ZN12_GLOBAL__N_127rocblas_gemm_batched_kernelIfLi16ELi16ELi64ELi64ELi4ELi64ELi4ELi4ELi64ELc67ELc84EKDF16_S1_DF16_EEvlllT_PT11_llS4_llS2_PT12_llPT13_lli,"axG",@progbits,_ZN12_GLOBAL__N_127rocblas_gemm_batched_kernelIfLi16ELi16ELi64ELi64ELi4ELi64ELi4ELi4ELi64ELc67ELc84EKDF16_S1_DF16_EEvlllT_PT11_llS4_llS2_PT12_llPT13_lli,comdat
.Lfunc_end369:
	.size	_ZN12_GLOBAL__N_127rocblas_gemm_batched_kernelIfLi16ELi16ELi64ELi64ELi4ELi64ELi4ELi4ELi64ELc67ELc84EKDF16_S1_DF16_EEvlllT_PT11_llS4_llS2_PT12_llPT13_lli, .Lfunc_end369-_ZN12_GLOBAL__N_127rocblas_gemm_batched_kernelIfLi16ELi16ELi64ELi64ELi4ELi64ELi4ELi4ELi64ELc67ELc84EKDF16_S1_DF16_EEvlllT_PT11_llS4_llS2_PT12_llPT13_lli
                                        ; -- End function
	.set _ZN12_GLOBAL__N_127rocblas_gemm_batched_kernelIfLi16ELi16ELi64ELi64ELi4ELi64ELi4ELi4ELi64ELc67ELc84EKDF16_S1_DF16_EEvlllT_PT11_llS4_llS2_PT12_llPT13_lli.num_vgpr, 58
	.set _ZN12_GLOBAL__N_127rocblas_gemm_batched_kernelIfLi16ELi16ELi64ELi64ELi4ELi64ELi4ELi4ELi64ELc67ELc84EKDF16_S1_DF16_EEvlllT_PT11_llS4_llS2_PT12_llPT13_lli.num_agpr, 0
	.set _ZN12_GLOBAL__N_127rocblas_gemm_batched_kernelIfLi16ELi16ELi64ELi64ELi4ELi64ELi4ELi4ELi64ELc67ELc84EKDF16_S1_DF16_EEvlllT_PT11_llS4_llS2_PT12_llPT13_lli.numbered_sgpr, 22
	.set _ZN12_GLOBAL__N_127rocblas_gemm_batched_kernelIfLi16ELi16ELi64ELi64ELi4ELi64ELi4ELi4ELi64ELc67ELc84EKDF16_S1_DF16_EEvlllT_PT11_llS4_llS2_PT12_llPT13_lli.num_named_barrier, 0
	.set _ZN12_GLOBAL__N_127rocblas_gemm_batched_kernelIfLi16ELi16ELi64ELi64ELi4ELi64ELi4ELi4ELi64ELc67ELc84EKDF16_S1_DF16_EEvlllT_PT11_llS4_llS2_PT12_llPT13_lli.private_seg_size, 0
	.set _ZN12_GLOBAL__N_127rocblas_gemm_batched_kernelIfLi16ELi16ELi64ELi64ELi4ELi64ELi4ELi4ELi64ELc67ELc84EKDF16_S1_DF16_EEvlllT_PT11_llS4_llS2_PT12_llPT13_lli.uses_vcc, 1
	.set _ZN12_GLOBAL__N_127rocblas_gemm_batched_kernelIfLi16ELi16ELi64ELi64ELi4ELi64ELi4ELi4ELi64ELc67ELc84EKDF16_S1_DF16_EEvlllT_PT11_llS4_llS2_PT12_llPT13_lli.uses_flat_scratch, 0
	.set _ZN12_GLOBAL__N_127rocblas_gemm_batched_kernelIfLi16ELi16ELi64ELi64ELi4ELi64ELi4ELi4ELi64ELc67ELc84EKDF16_S1_DF16_EEvlllT_PT11_llS4_llS2_PT12_llPT13_lli.has_dyn_sized_stack, 0
	.set _ZN12_GLOBAL__N_127rocblas_gemm_batched_kernelIfLi16ELi16ELi64ELi64ELi4ELi64ELi4ELi4ELi64ELc67ELc84EKDF16_S1_DF16_EEvlllT_PT11_llS4_llS2_PT12_llPT13_lli.has_recursion, 0
	.set _ZN12_GLOBAL__N_127rocblas_gemm_batched_kernelIfLi16ELi16ELi64ELi64ELi4ELi64ELi4ELi4ELi64ELc67ELc84EKDF16_S1_DF16_EEvlllT_PT11_llS4_llS2_PT12_llPT13_lli.has_indirect_call, 0
	.section	.AMDGPU.csdata,"",@progbits
; Kernel info:
; codeLenInByte = 2484
; TotalNumSgprs: 24
; NumVgprs: 58
; ScratchSize: 0
; MemoryBound: 0
; FloatMode: 240
; IeeeMode: 1
; LDSByteSize: 2048 bytes/workgroup (compile time only)
; SGPRBlocks: 0
; VGPRBlocks: 7
; NumSGPRsForWavesPerEU: 24
; NumVGPRsForWavesPerEU: 58
; Occupancy: 16
; WaveLimiterHint : 0
; COMPUTE_PGM_RSRC2:SCRATCH_EN: 0
; COMPUTE_PGM_RSRC2:USER_SGPR: 6
; COMPUTE_PGM_RSRC2:TRAP_HANDLER: 0
; COMPUTE_PGM_RSRC2:TGID_X_EN: 1
; COMPUTE_PGM_RSRC2:TGID_Y_EN: 1
; COMPUTE_PGM_RSRC2:TGID_Z_EN: 1
; COMPUTE_PGM_RSRC2:TIDIG_COMP_CNT: 1
	.section	.text._ZN12_GLOBAL__N_127rocblas_gemm_batched_kernelIfLi16ELi16ELi64ELi64ELi4ELi64ELi4ELi4ELi64ELc78ELc67EKDF16_S1_DF16_EEvlllT_PT11_llS4_llS2_PT12_llPT13_lli,"axG",@progbits,_ZN12_GLOBAL__N_127rocblas_gemm_batched_kernelIfLi16ELi16ELi64ELi64ELi4ELi64ELi4ELi4ELi64ELc78ELc67EKDF16_S1_DF16_EEvlllT_PT11_llS4_llS2_PT12_llPT13_lli,comdat
	.globl	_ZN12_GLOBAL__N_127rocblas_gemm_batched_kernelIfLi16ELi16ELi64ELi64ELi4ELi64ELi4ELi4ELi64ELc78ELc67EKDF16_S1_DF16_EEvlllT_PT11_llS4_llS2_PT12_llPT13_lli ; -- Begin function _ZN12_GLOBAL__N_127rocblas_gemm_batched_kernelIfLi16ELi16ELi64ELi64ELi4ELi64ELi4ELi4ELi64ELc78ELc67EKDF16_S1_DF16_EEvlllT_PT11_llS4_llS2_PT12_llPT13_lli
	.p2align	8
	.type	_ZN12_GLOBAL__N_127rocblas_gemm_batched_kernelIfLi16ELi16ELi64ELi64ELi4ELi64ELi4ELi4ELi64ELc78ELc67EKDF16_S1_DF16_EEvlllT_PT11_llS4_llS2_PT12_llPT13_lli,@function
_ZN12_GLOBAL__N_127rocblas_gemm_batched_kernelIfLi16ELi16ELi64ELi64ELi4ELi64ELi4ELi4ELi64ELc78ELc67EKDF16_S1_DF16_EEvlllT_PT11_llS4_llS2_PT12_llPT13_lli: ; @_ZN12_GLOBAL__N_127rocblas_gemm_batched_kernelIfLi16ELi16ELi64ELi64ELi4ELi64ELi4ELi4ELi64ELc78ELc67EKDF16_S1_DF16_EEvlllT_PT11_llS4_llS2_PT12_llPT13_lli
; %bb.0:
	s_load_dwordx2 s[20:21], s[4:5], 0x10
	s_mov_b32 s0, s7
	v_mov_b32_e32 v19, 0
	v_mov_b32_e32 v21, 0
	v_mov_b32_e32 v20, 0
	v_mov_b32_e32 v18, 0
	v_mov_b32_e32 v17, 0
	v_mov_b32_e32 v16, 0
	v_mov_b32_e32 v15, 0
	v_mov_b32_e32 v14, 0
	v_mov_b32_e32 v13, 0
	v_mov_b32_e32 v12, 0
	v_mov_b32_e32 v11, 0
	v_mov_b32_e32 v10, 0
	v_mov_b32_e32 v9, 0
	v_mov_b32_e32 v8, 0
	v_mov_b32_e32 v2, 0
	v_mov_b32_e32 v3, 0
	s_ashr_i32 s7, s6, 31
	s_ashr_i32 s1, s0, 31
	s_waitcnt lgkmcnt(0)
	v_cmp_lt_i64_e64 s2, s[20:21], 1
	s_lshl_b64 s[6:7], s[6:7], 6
	s_lshl_b64 s[10:11], s[0:1], 6
	s_and_b32 vcc_lo, exec_lo, s2
	s_cbranch_vccnz .LBB370_3
; %bb.1:
	v_lshlrev_b32_e32 v4, 4, v1
	s_clause 0x1
	s_load_dwordx4 s[0:3], s[4:5], 0x40
	s_load_dwordx8 s[12:19], s[4:5], 0x20
	v_and_b32_e32 v8, 3, v0
	v_lshlrev_b32_e32 v22, 2, v0
	v_add_nc_u32_e32 v3, v4, v0
	v_add_nc_u32_e32 v23, 0x400, v4
	v_lshlrev_b32_e32 v5, 2, v8
	v_lshrrev_b32_e32 v2, 2, v3
	v_and_b32_e32 v10, 63, v3
	v_lshrrev_b32_e32 v9, 6, v3
	v_mov_b32_e32 v3, 0
	v_lshl_or_b32 v5, v2, 4, v5
	v_lshlrev_b32_e32 v6, 2, v10
	v_mov_b32_e32 v11, v3
	v_mov_b32_e32 v12, v3
	v_add_nc_u32_e32 v25, 0x400, v5
	s_waitcnt lgkmcnt(0)
	v_mad_u64_u32 v[4:5], null, s0, v8, v[2:3]
	v_lshl_or_b32 v24, v9, 8, v6
	v_mad_u64_u32 v[6:7], null, s14, v9, s[6:7]
	s_mul_i32 s3, s3, s8
	s_mul_hi_u32 s9, s2, s8
	s_mul_i32 s2, s2, s8
	v_mov_b32_e32 v2, v5
	v_add_co_u32 v4, vcc_lo, v4, s10
	v_mov_b32_e32 v5, v7
	s_add_i32 s3, s9, s3
	v_mad_u64_u32 v[7:8], null, s1, v8, v[2:3]
	s_lshl_b64 s[2:3], s[2:3], 1
	v_mad_u64_u32 v[8:9], null, s15, v9, v[5:6]
	s_mul_i32 s17, s17, s8
	s_mul_hi_u32 s22, s16, s8
	s_add_u32 s9, s18, s2
	v_add_co_ci_u32_e64 v5, null, s11, v7, vcc_lo
	v_add_co_u32 v6, vcc_lo, v6, v10
	v_add_co_ci_u32_e64 v7, null, 0, v8, vcc_lo
	v_lshlrev_b64 v[4:5], 1, v[4:5]
	s_mul_i32 s16, s16, s8
	s_addc_u32 s18, s19, s3
	s_add_i32 s17, s22, s17
	v_lshlrev_b64 v[6:7], 1, v[6:7]
	s_lshl_b64 s[2:3], s[16:17], 1
	s_lshl_b64 s[0:1], s[0:1], 3
	v_add_co_u32 v4, vcc_lo, s9, v4
	s_add_u32 s2, s12, s2
	v_add_co_ci_u32_e64 v5, null, s18, v5, vcc_lo
	s_addc_u32 s3, s13, s3
	v_add_co_u32 v6, vcc_lo, s2, v6
	v_add_co_ci_u32_e64 v7, null, s3, v7, vcc_lo
	v_mov_b32_e32 v2, v3
	v_mov_b32_e32 v8, v3
	;; [unrolled: 1-line block ×13, first 2 shown]
	s_lshl_b64 s[2:3], s[14:15], 3
	s_mov_b64 s[12:13], 0
.LBB370_2:                              ; =>This Inner Loop Header: Depth=1
	global_load_ushort v26, v[6:7], off
	global_load_ushort v27, v[4:5], off
	s_add_u32 s12, s12, 4
	s_addc_u32 s13, s13, 0
	v_add_co_u32 v4, vcc_lo, v4, s0
	v_cmp_lt_i64_e64 s9, s[12:13], s[20:21]
	v_add_co_ci_u32_e64 v5, null, s1, v5, vcc_lo
	v_add_co_u32 v6, vcc_lo, v6, s2
	v_add_co_ci_u32_e64 v7, null, s3, v7, vcc_lo
	s_and_b32 vcc_lo, exec_lo, s9
	s_waitcnt vmcnt(1)
	v_cvt_f32_f16_e32 v26, v26
	s_waitcnt vmcnt(0)
	v_cvt_f32_f16_e32 v27, v27
	ds_write_b32 v24, v26
	ds_write_b32 v25, v27
	s_waitcnt lgkmcnt(0)
	s_barrier
	buffer_gl0_inv
	ds_read_b128 v[26:29], v23
	ds_read2_b32 v[42:43], v22 offset1:16
	ds_read2_b32 v[44:45], v22 offset0:32 offset1:48
	ds_read_b128 v[30:33], v23 offset:256
	ds_read_b128 v[34:37], v23 offset:512
	;; [unrolled: 1-line block ×3, first 2 shown]
	ds_read2_b32 v[46:47], v22 offset0:64 offset1:80
	ds_read2_b32 v[48:49], v22 offset0:96 offset1:112
	;; [unrolled: 1-line block ×6, first 2 shown]
	s_waitcnt lgkmcnt(0)
	s_barrier
	buffer_gl0_inv
	v_fmac_f32_e32 v19, v42, v26
	v_fmac_f32_e32 v21, v43, v26
	;; [unrolled: 1-line block ×64, first 2 shown]
	s_cbranch_vccnz .LBB370_2
.LBB370_3:
	s_clause 0x3
	s_load_dwordx4 s[0:3], s[4:5], 0x78
	s_load_dword s9, s[4:5], 0x50
	s_load_dwordx8 s[12:19], s[4:5], 0x58
	s_load_dword s4, s[4:5], 0x18
	v_add_co_u32 v5, s5, s6, v0
	v_add_co_ci_u32_e64 v6, null, s7, 0, s5
	v_add_co_u32 v4, s5, s10, v1
	v_add_co_ci_u32_e64 v7, null, s11, 0, s5
	v_lshlrev_b64 v[0:1], 1, v[5:6]
	s_waitcnt lgkmcnt(0)
	s_mul_i32 s3, s3, s8
	s_mul_hi_u32 s5, s2, s8
	v_mul_lo_u32 v5, v7, s0
	v_mul_lo_u32 v6, v4, s1
	s_mul_i32 s2, s2, s8
	v_cmp_neq_f32_e64 s6, s9, 0
	s_add_i32 s3, s5, s3
	s_mov_b32 s5, 0
	s_lshl_b64 s[2:3], s[2:3], 1
	s_add_u32 s2, s18, s2
	s_addc_u32 s3, s19, s3
	s_and_b32 vcc_lo, exec_lo, s6
	s_cbranch_vccnz .LBB370_7
; %bb.4:
	v_mad_u64_u32 v[22:23], null, v4, s0, 0
	s_lshl_b64 s[6:7], s[0:1], 5
	v_fma_mixlo_f16 v26, s4, v19, 0
	v_fma_mixlo_f16 v27, s4, v21, 0
	;; [unrolled: 1-line block ×5, first 2 shown]
	v_add3_u32 v23, v23, v6, v5
	v_fma_mixlo_f16 v31, s4, v16, 0
	v_fma_mixlo_f16 v32, s4, v15, 0
	;; [unrolled: 1-line block ×3, first 2 shown]
	v_lshlrev_b64 v[22:23], 1, v[22:23]
	v_add_co_u32 v22, vcc_lo, s2, v22
	v_add_co_ci_u32_e64 v23, null, s3, v23, vcc_lo
	v_add_co_u32 v34, vcc_lo, v22, s6
	v_add_co_ci_u32_e64 v35, null, s7, v23, vcc_lo
	;; [unrolled: 2-line block ×4, first 2 shown]
	global_store_short v[22:23], v26, off
	global_store_short v[22:23], v27, off offset:32
	global_store_short v[22:23], v28, off offset:64
	;; [unrolled: 1-line block ×3, first 2 shown]
	global_store_short v[24:25], v30, off
	global_store_short v[24:25], v31, off offset:32
	v_add_co_u32 v26, vcc_lo, v34, s6
	v_add_co_ci_u32_e64 v27, null, s7, v35, vcc_lo
	v_fma_mixlo_f16 v28, s4, v13, 0
	v_add_co_u32 v22, vcc_lo, v26, v0
	v_add_co_ci_u32_e64 v23, null, v27, v1, vcc_lo
	v_fma_mixlo_f16 v29, s4, v12, 0
	v_fma_mixlo_f16 v30, s4, v11, 0
	global_store_short v[24:25], v32, off offset:64
	global_store_short v[24:25], v33, off offset:96
	global_store_short v[22:23], v28, off
	global_store_short v[22:23], v29, off offset:32
	global_store_short v[22:23], v30, off offset:64
	v_add_co_u32 v24, vcc_lo, v26, s6
	v_add_co_ci_u32_e64 v25, null, s7, v27, vcc_lo
	v_fma_mixlo_f16 v28, s4, v10, 0
	v_add_co_u32 v24, vcc_lo, v24, v0
	v_fma_mixlo_f16 v26, s4, v9, 0
	v_add_co_ci_u32_e64 v25, null, v25, v1, vcc_lo
	v_fma_mixlo_f16 v27, s4, v8, 0
	v_fma_mixlo_f16 v29, s4, v2, 0
	;; [unrolled: 1-line block ×3, first 2 shown]
	global_store_short v[22:23], v28, off offset:96
	global_store_short v[24:25], v26, off
	global_store_short v[24:25], v27, off offset:32
	global_store_short v[24:25], v29, off offset:64
	;; [unrolled: 1-line block ×3, first 2 shown]
	s_andn2_b32 vcc_lo, exec_lo, s5
	s_cbranch_vccnz .LBB370_6
.LBB370_5:
	v_mul_lo_u32 v7, v7, s14
	v_mul_lo_u32 v24, v4, s15
	v_mad_u64_u32 v[22:23], null, v4, s14, 0
	s_mul_i32 s5, s17, s8
	s_mul_hi_u32 s7, s16, s8
	s_mul_i32 s6, s16, s8
	s_add_i32 s7, s7, s5
	s_lshl_b64 s[6:7], s[6:7], 1
	v_add3_u32 v23, v23, v24, v7
	s_add_u32 s5, s12, s6
	s_addc_u32 s6, s13, s7
	v_mad_u64_u32 v[24:25], null, v4, s0, 0
	v_lshlrev_b64 v[22:23], 1, v[22:23]
	s_lshl_b64 s[0:1], s[0:1], 5
	v_add3_u32 v25, v25, v6, v5
	v_add_co_u32 v7, vcc_lo, s5, v22
	v_add_co_ci_u32_e64 v26, null, s6, v23, vcc_lo
	v_lshlrev_b64 v[4:5], 1, v[24:25]
	v_add_co_u32 v22, vcc_lo, v7, v0
	v_add_co_ci_u32_e64 v23, null, v26, v1, vcc_lo
	v_add_co_u32 v24, vcc_lo, s2, v4
	global_load_ushort v27, v[22:23], off
	v_add_co_ci_u32_e64 v25, null, s3, v5, vcc_lo
	v_add_co_u32 v4, vcc_lo, v24, v0
	s_lshl_b64 s[2:3], s[14:15], 5
	v_add_co_ci_u32_e64 v5, null, v25, v1, vcc_lo
	s_waitcnt vmcnt(0)
	v_cvt_f32_f16_e32 v6, v27
	v_mul_f32_e32 v6, s9, v6
	v_fma_mixlo_f16 v6, s4, v19, v6
	v_add_co_u32 v19, vcc_lo, v7, s2
	global_store_short v[4:5], v6, off
	global_load_ushort v6, v[22:23], off offset:32
	s_waitcnt vmcnt(0)
	v_cvt_f32_f16_e32 v6, v6
	v_mul_f32_e32 v6, s9, v6
	v_fma_mixlo_f16 v6, s4, v21, v6
	global_store_short v[4:5], v6, off offset:32
	global_load_ushort v6, v[22:23], off offset:64
	s_waitcnt vmcnt(0)
	v_cvt_f32_f16_e32 v6, v6
	v_mul_f32_e32 v6, s9, v6
	v_fma_mixlo_f16 v6, s4, v20, v6
	v_add_co_ci_u32_e64 v20, null, s3, v26, vcc_lo
	global_store_short v[4:5], v6, off offset:64
	global_load_ushort v6, v[22:23], off offset:96
	s_waitcnt vmcnt(0)
	v_cvt_f32_f16_e32 v6, v6
	v_mul_f32_e32 v6, s9, v6
	v_fma_mixlo_f16 v18, s4, v18, v6
	v_add_co_u32 v6, vcc_lo, v19, v0
	v_add_co_ci_u32_e64 v7, null, v20, v1, vcc_lo
	global_store_short v[4:5], v18, off offset:96
	v_add_co_u32 v18, vcc_lo, v24, s0
	global_load_ushort v4, v[6:7], off
	v_add_co_ci_u32_e64 v21, null, s1, v25, vcc_lo
	s_waitcnt vmcnt(0)
	v_cvt_f32_f16_e32 v4, v4
	v_mul_f32_e32 v22, s9, v4
	v_add_co_u32 v4, vcc_lo, v18, v0
	v_add_co_ci_u32_e64 v5, null, v21, v1, vcc_lo
	v_fma_mixlo_f16 v17, s4, v17, v22
	global_store_short v[4:5], v17, off
	global_load_ushort v17, v[6:7], off offset:32
	s_waitcnt vmcnt(0)
	v_cvt_f32_f16_e32 v17, v17
	v_mul_f32_e32 v17, s9, v17
	v_fma_mixlo_f16 v16, s4, v16, v17
	global_store_short v[4:5], v16, off offset:32
	global_load_ushort v16, v[6:7], off offset:64
	s_waitcnt vmcnt(0)
	v_cvt_f32_f16_e32 v16, v16
	v_mul_f32_e32 v16, s9, v16
	v_fma_mixlo_f16 v15, s4, v15, v16
	global_store_short v[4:5], v15, off offset:64
	global_load_ushort v6, v[6:7], off offset:96
	v_add_co_u32 v15, vcc_lo, v19, s2
	v_add_co_ci_u32_e64 v16, null, s3, v20, vcc_lo
	s_waitcnt vmcnt(0)
	v_cvt_f32_f16_e32 v6, v6
	v_mul_f32_e32 v6, s9, v6
	v_fma_mixlo_f16 v14, s4, v14, v6
	v_add_co_u32 v6, vcc_lo, v15, v0
	v_add_co_ci_u32_e64 v7, null, v16, v1, vcc_lo
	global_store_short v[4:5], v14, off offset:96
	v_add_co_u32 v14, vcc_lo, v18, s0
	global_load_ushort v4, v[6:7], off
	v_add_co_ci_u32_e64 v17, null, s1, v21, vcc_lo
	s_waitcnt vmcnt(0)
	v_cvt_f32_f16_e32 v4, v4
	v_mul_f32_e32 v18, s9, v4
	v_add_co_u32 v4, vcc_lo, v14, v0
	v_add_co_ci_u32_e64 v5, null, v17, v1, vcc_lo
	v_fma_mixlo_f16 v13, s4, v13, v18
	global_store_short v[4:5], v13, off
	global_load_ushort v13, v[6:7], off offset:32
	s_waitcnt vmcnt(0)
	v_cvt_f32_f16_e32 v13, v13
	v_mul_f32_e32 v13, s9, v13
	v_fma_mixlo_f16 v12, s4, v12, v13
	global_store_short v[4:5], v12, off offset:32
	global_load_ushort v12, v[6:7], off offset:64
	s_waitcnt vmcnt(0)
	v_cvt_f32_f16_e32 v12, v12
	v_mul_f32_e32 v12, s9, v12
	v_fma_mixlo_f16 v11, s4, v11, v12
	global_store_short v[4:5], v11, off offset:64
	global_load_ushort v6, v[6:7], off offset:96
	v_add_co_u32 v7, vcc_lo, v15, s2
	v_add_co_ci_u32_e64 v11, null, s3, v16, vcc_lo
	s_waitcnt vmcnt(0)
	v_cvt_f32_f16_e32 v6, v6
	v_mul_f32_e32 v6, s9, v6
	v_fma_mixlo_f16 v10, s4, v10, v6
	v_add_co_u32 v6, vcc_lo, v7, v0
	v_add_co_ci_u32_e64 v7, null, v11, v1, vcc_lo
	global_store_short v[4:5], v10, off offset:96
	v_add_co_u32 v5, vcc_lo, v14, s0
	global_load_ushort v4, v[6:7], off
	v_add_co_ci_u32_e64 v10, null, s1, v17, vcc_lo
	v_add_co_u32 v0, vcc_lo, v5, v0
	v_add_co_ci_u32_e64 v1, null, v10, v1, vcc_lo
	s_waitcnt vmcnt(0)
	v_cvt_f32_f16_e32 v4, v4
	v_mul_f32_e32 v4, s9, v4
	v_fma_mixlo_f16 v4, s4, v9, v4
	global_store_short v[0:1], v4, off
	global_load_ushort v4, v[6:7], off offset:32
	s_waitcnt vmcnt(0)
	v_cvt_f32_f16_e32 v4, v4
	v_mul_f32_e32 v4, s9, v4
	v_fma_mixlo_f16 v4, s4, v8, v4
	global_store_short v[0:1], v4, off offset:32
	global_load_ushort v4, v[6:7], off offset:64
	s_waitcnt vmcnt(0)
	v_cvt_f32_f16_e32 v4, v4
	v_mul_f32_e32 v4, s9, v4
	v_fma_mixlo_f16 v2, s4, v2, v4
	global_store_short v[0:1], v2, off offset:64
	global_load_ushort v2, v[6:7], off offset:96
	s_waitcnt vmcnt(0)
	v_cvt_f32_f16_e32 v2, v2
	v_mul_f32_e32 v2, s9, v2
	v_fma_mixlo_f16 v2, s4, v3, v2
	global_store_short v[0:1], v2, off offset:96
.LBB370_6:
	s_endpgm
.LBB370_7:
	s_branch .LBB370_5
	.section	.rodata,"a",@progbits
	.p2align	6, 0x0
	.amdhsa_kernel _ZN12_GLOBAL__N_127rocblas_gemm_batched_kernelIfLi16ELi16ELi64ELi64ELi4ELi64ELi4ELi4ELi64ELc78ELc67EKDF16_S1_DF16_EEvlllT_PT11_llS4_llS2_PT12_llPT13_lli
		.amdhsa_group_segment_fixed_size 2048
		.amdhsa_private_segment_fixed_size 0
		.amdhsa_kernarg_size 140
		.amdhsa_user_sgpr_count 6
		.amdhsa_user_sgpr_private_segment_buffer 1
		.amdhsa_user_sgpr_dispatch_ptr 0
		.amdhsa_user_sgpr_queue_ptr 0
		.amdhsa_user_sgpr_kernarg_segment_ptr 1
		.amdhsa_user_sgpr_dispatch_id 0
		.amdhsa_user_sgpr_flat_scratch_init 0
		.amdhsa_user_sgpr_private_segment_size 0
		.amdhsa_wavefront_size32 1
		.amdhsa_uses_dynamic_stack 0
		.amdhsa_system_sgpr_private_segment_wavefront_offset 0
		.amdhsa_system_sgpr_workgroup_id_x 1
		.amdhsa_system_sgpr_workgroup_id_y 1
		.amdhsa_system_sgpr_workgroup_id_z 1
		.amdhsa_system_sgpr_workgroup_info 0
		.amdhsa_system_vgpr_workitem_id 1
		.amdhsa_next_free_vgpr 58
		.amdhsa_next_free_sgpr 23
		.amdhsa_reserve_vcc 1
		.amdhsa_reserve_flat_scratch 0
		.amdhsa_float_round_mode_32 0
		.amdhsa_float_round_mode_16_64 0
		.amdhsa_float_denorm_mode_32 3
		.amdhsa_float_denorm_mode_16_64 3
		.amdhsa_dx10_clamp 1
		.amdhsa_ieee_mode 1
		.amdhsa_fp16_overflow 0
		.amdhsa_workgroup_processor_mode 1
		.amdhsa_memory_ordered 1
		.amdhsa_forward_progress 1
		.amdhsa_shared_vgpr_count 0
		.amdhsa_exception_fp_ieee_invalid_op 0
		.amdhsa_exception_fp_denorm_src 0
		.amdhsa_exception_fp_ieee_div_zero 0
		.amdhsa_exception_fp_ieee_overflow 0
		.amdhsa_exception_fp_ieee_underflow 0
		.amdhsa_exception_fp_ieee_inexact 0
		.amdhsa_exception_int_div_zero 0
	.end_amdhsa_kernel
	.section	.text._ZN12_GLOBAL__N_127rocblas_gemm_batched_kernelIfLi16ELi16ELi64ELi64ELi4ELi64ELi4ELi4ELi64ELc78ELc67EKDF16_S1_DF16_EEvlllT_PT11_llS4_llS2_PT12_llPT13_lli,"axG",@progbits,_ZN12_GLOBAL__N_127rocblas_gemm_batched_kernelIfLi16ELi16ELi64ELi64ELi4ELi64ELi4ELi4ELi64ELc78ELc67EKDF16_S1_DF16_EEvlllT_PT11_llS4_llS2_PT12_llPT13_lli,comdat
.Lfunc_end370:
	.size	_ZN12_GLOBAL__N_127rocblas_gemm_batched_kernelIfLi16ELi16ELi64ELi64ELi4ELi64ELi4ELi4ELi64ELc78ELc67EKDF16_S1_DF16_EEvlllT_PT11_llS4_llS2_PT12_llPT13_lli, .Lfunc_end370-_ZN12_GLOBAL__N_127rocblas_gemm_batched_kernelIfLi16ELi16ELi64ELi64ELi4ELi64ELi4ELi4ELi64ELc78ELc67EKDF16_S1_DF16_EEvlllT_PT11_llS4_llS2_PT12_llPT13_lli
                                        ; -- End function
	.set _ZN12_GLOBAL__N_127rocblas_gemm_batched_kernelIfLi16ELi16ELi64ELi64ELi4ELi64ELi4ELi4ELi64ELc78ELc67EKDF16_S1_DF16_EEvlllT_PT11_llS4_llS2_PT12_llPT13_lli.num_vgpr, 58
	.set _ZN12_GLOBAL__N_127rocblas_gemm_batched_kernelIfLi16ELi16ELi64ELi64ELi4ELi64ELi4ELi4ELi64ELc78ELc67EKDF16_S1_DF16_EEvlllT_PT11_llS4_llS2_PT12_llPT13_lli.num_agpr, 0
	.set _ZN12_GLOBAL__N_127rocblas_gemm_batched_kernelIfLi16ELi16ELi64ELi64ELi4ELi64ELi4ELi4ELi64ELc78ELc67EKDF16_S1_DF16_EEvlllT_PT11_llS4_llS2_PT12_llPT13_lli.numbered_sgpr, 23
	.set _ZN12_GLOBAL__N_127rocblas_gemm_batched_kernelIfLi16ELi16ELi64ELi64ELi4ELi64ELi4ELi4ELi64ELc78ELc67EKDF16_S1_DF16_EEvlllT_PT11_llS4_llS2_PT12_llPT13_lli.num_named_barrier, 0
	.set _ZN12_GLOBAL__N_127rocblas_gemm_batched_kernelIfLi16ELi16ELi64ELi64ELi4ELi64ELi4ELi4ELi64ELc78ELc67EKDF16_S1_DF16_EEvlllT_PT11_llS4_llS2_PT12_llPT13_lli.private_seg_size, 0
	.set _ZN12_GLOBAL__N_127rocblas_gemm_batched_kernelIfLi16ELi16ELi64ELi64ELi4ELi64ELi4ELi4ELi64ELc78ELc67EKDF16_S1_DF16_EEvlllT_PT11_llS4_llS2_PT12_llPT13_lli.uses_vcc, 1
	.set _ZN12_GLOBAL__N_127rocblas_gemm_batched_kernelIfLi16ELi16ELi64ELi64ELi4ELi64ELi4ELi4ELi64ELc78ELc67EKDF16_S1_DF16_EEvlllT_PT11_llS4_llS2_PT12_llPT13_lli.uses_flat_scratch, 0
	.set _ZN12_GLOBAL__N_127rocblas_gemm_batched_kernelIfLi16ELi16ELi64ELi64ELi4ELi64ELi4ELi4ELi64ELc78ELc67EKDF16_S1_DF16_EEvlllT_PT11_llS4_llS2_PT12_llPT13_lli.has_dyn_sized_stack, 0
	.set _ZN12_GLOBAL__N_127rocblas_gemm_batched_kernelIfLi16ELi16ELi64ELi64ELi4ELi64ELi4ELi4ELi64ELc78ELc67EKDF16_S1_DF16_EEvlllT_PT11_llS4_llS2_PT12_llPT13_lli.has_recursion, 0
	.set _ZN12_GLOBAL__N_127rocblas_gemm_batched_kernelIfLi16ELi16ELi64ELi64ELi4ELi64ELi4ELi4ELi64ELc78ELc67EKDF16_S1_DF16_EEvlllT_PT11_llS4_llS2_PT12_llPT13_lli.has_indirect_call, 0
	.section	.AMDGPU.csdata,"",@progbits
; Kernel info:
; codeLenInByte = 2448
; TotalNumSgprs: 25
; NumVgprs: 58
; ScratchSize: 0
; MemoryBound: 0
; FloatMode: 240
; IeeeMode: 1
; LDSByteSize: 2048 bytes/workgroup (compile time only)
; SGPRBlocks: 0
; VGPRBlocks: 7
; NumSGPRsForWavesPerEU: 25
; NumVGPRsForWavesPerEU: 58
; Occupancy: 16
; WaveLimiterHint : 0
; COMPUTE_PGM_RSRC2:SCRATCH_EN: 0
; COMPUTE_PGM_RSRC2:USER_SGPR: 6
; COMPUTE_PGM_RSRC2:TRAP_HANDLER: 0
; COMPUTE_PGM_RSRC2:TGID_X_EN: 1
; COMPUTE_PGM_RSRC2:TGID_Y_EN: 1
; COMPUTE_PGM_RSRC2:TGID_Z_EN: 1
; COMPUTE_PGM_RSRC2:TIDIG_COMP_CNT: 1
	.section	.text._ZN12_GLOBAL__N_127rocblas_gemm_batched_kernelIfLi16ELi16ELi64ELi64ELi4ELi64ELi4ELi4ELi64ELc84ELc67EKDF16_S1_DF16_EEvlllT_PT11_llS4_llS2_PT12_llPT13_lli,"axG",@progbits,_ZN12_GLOBAL__N_127rocblas_gemm_batched_kernelIfLi16ELi16ELi64ELi64ELi4ELi64ELi4ELi4ELi64ELc84ELc67EKDF16_S1_DF16_EEvlllT_PT11_llS4_llS2_PT12_llPT13_lli,comdat
	.globl	_ZN12_GLOBAL__N_127rocblas_gemm_batched_kernelIfLi16ELi16ELi64ELi64ELi4ELi64ELi4ELi4ELi64ELc84ELc67EKDF16_S1_DF16_EEvlllT_PT11_llS4_llS2_PT12_llPT13_lli ; -- Begin function _ZN12_GLOBAL__N_127rocblas_gemm_batched_kernelIfLi16ELi16ELi64ELi64ELi4ELi64ELi4ELi4ELi64ELc84ELc67EKDF16_S1_DF16_EEvlllT_PT11_llS4_llS2_PT12_llPT13_lli
	.p2align	8
	.type	_ZN12_GLOBAL__N_127rocblas_gemm_batched_kernelIfLi16ELi16ELi64ELi64ELi4ELi64ELi4ELi4ELi64ELc84ELc67EKDF16_S1_DF16_EEvlllT_PT11_llS4_llS2_PT12_llPT13_lli,@function
_ZN12_GLOBAL__N_127rocblas_gemm_batched_kernelIfLi16ELi16ELi64ELi64ELi4ELi64ELi4ELi4ELi64ELc84ELc67EKDF16_S1_DF16_EEvlllT_PT11_llS4_llS2_PT12_llPT13_lli: ; @_ZN12_GLOBAL__N_127rocblas_gemm_batched_kernelIfLi16ELi16ELi64ELi64ELi4ELi64ELi4ELi4ELi64ELc84ELc67EKDF16_S1_DF16_EEvlllT_PT11_llS4_llS2_PT12_llPT13_lli
; %bb.0:
	s_load_dwordx2 s[20:21], s[4:5], 0x10
	s_mov_b32 s0, s7
	v_mov_b32_e32 v19, 0
	v_mov_b32_e32 v21, 0
	;; [unrolled: 1-line block ×16, first 2 shown]
	s_ashr_i32 s7, s6, 31
	s_ashr_i32 s1, s0, 31
	s_waitcnt lgkmcnt(0)
	v_cmp_lt_i64_e64 s2, s[20:21], 1
	s_lshl_b64 s[6:7], s[6:7], 6
	s_lshl_b64 s[10:11], s[0:1], 6
	s_and_b32 vcc_lo, exec_lo, s2
	s_cbranch_vccnz .LBB371_3
; %bb.1:
	v_lshlrev_b32_e32 v4, 4, v1
	s_clause 0x1
	s_load_dwordx4 s[0:3], s[4:5], 0x40
	s_load_dwordx8 s[12:19], s[4:5], 0x20
	v_and_b32_e32 v8, 3, v0
	v_mov_b32_e32 v3, 0
	v_add_nc_u32_e32 v5, v4, v0
	v_add_nc_u32_e32 v23, 0x400, v4
	v_lshlrev_b32_e32 v22, 2, v0
	v_lshlrev_b32_e32 v6, 2, v8
	v_mov_b32_e32 v13, v3
	v_and_b32_e32 v7, 63, v5
	v_lshrrev_b32_e32 v2, 2, v5
	v_lshrrev_b32_e32 v10, 6, v5
	v_mov_b32_e32 v14, v3
	v_mov_b32_e32 v15, v3
	v_lshlrev_b32_e32 v4, 2, v7
	v_lshl_or_b32 v9, v2, 4, v6
	v_add_co_u32 v6, s9, s6, v7
	v_add_co_ci_u32_e64 v7, null, s7, 0, s9
	v_lshl_or_b32 v24, v10, 8, v4
	s_waitcnt lgkmcnt(0)
	v_mad_u64_u32 v[4:5], null, s0, v8, v[2:3]
	v_mul_lo_u32 v11, s15, v6
	v_mul_lo_u32 v12, s14, v7
	v_mad_u64_u32 v[6:7], null, s14, v6, 0
	s_mul_i32 s3, s3, s8
	s_mul_hi_u32 s9, s2, s8
	v_mov_b32_e32 v2, v5
	s_mul_i32 s2, s2, s8
	s_add_i32 s3, s9, s3
	v_add_nc_u32_e32 v25, 0x400, v9
	v_add3_u32 v7, v7, v12, v11
	v_mad_u64_u32 v[8:9], null, s1, v8, v[2:3]
	s_lshl_b64 s[2:3], s[2:3], 1
	v_lshlrev_b32_e32 v2, 1, v10
	s_add_u32 s9, s18, s2
	s_addc_u32 s14, s19, s3
	s_mul_i32 s2, s17, s8
	s_mul_hi_u32 s3, s16, s8
	v_lshlrev_b64 v[5:6], 1, v[6:7]
	v_add_co_u32 v7, vcc_lo, v4, s10
	s_add_i32 s3, s3, s2
	s_mul_i32 s2, s16, s8
	v_add_co_ci_u32_e64 v8, null, s11, v8, vcc_lo
	s_lshl_b64 s[2:3], s[2:3], 1
	v_mov_b32_e32 v10, v3
	v_add_co_u32 v9, vcc_lo, v5, s2
	v_add_co_ci_u32_e64 v6, null, s3, v6, vcc_lo
	v_lshlrev_b64 v[4:5], 1, v[7:8]
	v_add_co_u32 v2, vcc_lo, v9, v2
	v_add_co_ci_u32_e64 v7, null, 0, v6, vcc_lo
	v_mov_b32_e32 v8, v3
	v_add_co_u32 v4, vcc_lo, s9, v4
	v_add_co_ci_u32_e64 v5, null, s14, v5, vcc_lo
	v_add_co_u32 v6, vcc_lo, s12, v2
	v_add_co_ci_u32_e64 v7, null, s13, v7, vcc_lo
	v_mov_b32_e32 v2, v3
	v_mov_b32_e32 v9, v3
	;; [unrolled: 1-line block ×10, first 2 shown]
	s_lshl_b64 s[0:1], s[0:1], 3
	s_mov_b64 s[2:3], 0
.LBB371_2:                              ; =>This Inner Loop Header: Depth=1
	global_load_ushort v26, v[6:7], off
	global_load_ushort v27, v[4:5], off
	s_add_u32 s2, s2, 4
	s_addc_u32 s3, s3, 0
	v_add_co_u32 v4, vcc_lo, v4, s0
	v_cmp_lt_i64_e64 s9, s[2:3], s[20:21]
	v_add_co_ci_u32_e64 v5, null, s1, v5, vcc_lo
	v_add_co_u32 v6, vcc_lo, v6, 8
	v_add_co_ci_u32_e64 v7, null, 0, v7, vcc_lo
	s_and_b32 vcc_lo, exec_lo, s9
	s_waitcnt vmcnt(1)
	v_cvt_f32_f16_e32 v26, v26
	s_waitcnt vmcnt(0)
	v_cvt_f32_f16_e32 v27, v27
	ds_write_b32 v24, v26
	ds_write_b32 v25, v27
	s_waitcnt lgkmcnt(0)
	s_barrier
	buffer_gl0_inv
	ds_read_b128 v[26:29], v23
	ds_read2_b32 v[42:43], v22 offset1:16
	ds_read2_b32 v[44:45], v22 offset0:32 offset1:48
	ds_read_b128 v[30:33], v23 offset:256
	ds_read_b128 v[34:37], v23 offset:512
	ds_read_b128 v[38:41], v23 offset:768
	ds_read2_b32 v[46:47], v22 offset0:64 offset1:80
	ds_read2_b32 v[48:49], v22 offset0:96 offset1:112
	;; [unrolled: 1-line block ×6, first 2 shown]
	s_waitcnt lgkmcnt(0)
	s_barrier
	buffer_gl0_inv
	v_fmac_f32_e32 v19, v42, v26
	v_fmac_f32_e32 v21, v43, v26
	;; [unrolled: 1-line block ×64, first 2 shown]
	s_cbranch_vccnz .LBB371_2
.LBB371_3:
	s_clause 0x3
	s_load_dwordx4 s[0:3], s[4:5], 0x78
	s_load_dword s9, s[4:5], 0x50
	s_load_dwordx8 s[12:19], s[4:5], 0x58
	s_load_dword s4, s[4:5], 0x18
	v_add_co_u32 v5, s5, s6, v0
	v_add_co_ci_u32_e64 v6, null, s7, 0, s5
	v_add_co_u32 v4, s5, s10, v1
	v_add_co_ci_u32_e64 v7, null, s11, 0, s5
	v_lshlrev_b64 v[0:1], 1, v[5:6]
	s_waitcnt lgkmcnt(0)
	s_mul_i32 s3, s3, s8
	s_mul_hi_u32 s5, s2, s8
	v_mul_lo_u32 v5, v7, s0
	v_mul_lo_u32 v6, v4, s1
	s_mul_i32 s2, s2, s8
	v_cmp_neq_f32_e64 s6, s9, 0
	s_add_i32 s3, s5, s3
	s_mov_b32 s5, 0
	s_lshl_b64 s[2:3], s[2:3], 1
	s_add_u32 s2, s18, s2
	s_addc_u32 s3, s19, s3
	s_and_b32 vcc_lo, exec_lo, s6
	s_cbranch_vccnz .LBB371_7
; %bb.4:
	v_mad_u64_u32 v[22:23], null, v4, s0, 0
	s_lshl_b64 s[6:7], s[0:1], 5
	v_fma_mixlo_f16 v26, s4, v19, 0
	v_fma_mixlo_f16 v27, s4, v21, 0
	;; [unrolled: 1-line block ×5, first 2 shown]
	v_add3_u32 v23, v23, v6, v5
	v_fma_mixlo_f16 v31, s4, v16, 0
	v_fma_mixlo_f16 v32, s4, v15, 0
	;; [unrolled: 1-line block ×3, first 2 shown]
	v_lshlrev_b64 v[22:23], 1, v[22:23]
	v_add_co_u32 v22, vcc_lo, s2, v22
	v_add_co_ci_u32_e64 v23, null, s3, v23, vcc_lo
	v_add_co_u32 v34, vcc_lo, v22, s6
	v_add_co_ci_u32_e64 v35, null, s7, v23, vcc_lo
	;; [unrolled: 2-line block ×4, first 2 shown]
	global_store_short v[22:23], v26, off
	global_store_short v[22:23], v27, off offset:32
	global_store_short v[22:23], v28, off offset:64
	;; [unrolled: 1-line block ×3, first 2 shown]
	global_store_short v[24:25], v30, off
	global_store_short v[24:25], v31, off offset:32
	v_add_co_u32 v26, vcc_lo, v34, s6
	v_add_co_ci_u32_e64 v27, null, s7, v35, vcc_lo
	v_fma_mixlo_f16 v28, s4, v13, 0
	v_add_co_u32 v22, vcc_lo, v26, v0
	v_add_co_ci_u32_e64 v23, null, v27, v1, vcc_lo
	v_fma_mixlo_f16 v29, s4, v12, 0
	v_fma_mixlo_f16 v30, s4, v11, 0
	global_store_short v[24:25], v32, off offset:64
	global_store_short v[24:25], v33, off offset:96
	global_store_short v[22:23], v28, off
	global_store_short v[22:23], v29, off offset:32
	global_store_short v[22:23], v30, off offset:64
	v_add_co_u32 v24, vcc_lo, v26, s6
	v_add_co_ci_u32_e64 v25, null, s7, v27, vcc_lo
	v_fma_mixlo_f16 v28, s4, v10, 0
	v_add_co_u32 v24, vcc_lo, v24, v0
	v_fma_mixlo_f16 v26, s4, v9, 0
	v_add_co_ci_u32_e64 v25, null, v25, v1, vcc_lo
	v_fma_mixlo_f16 v27, s4, v8, 0
	v_fma_mixlo_f16 v29, s4, v2, 0
	;; [unrolled: 1-line block ×3, first 2 shown]
	global_store_short v[22:23], v28, off offset:96
	global_store_short v[24:25], v26, off
	global_store_short v[24:25], v27, off offset:32
	global_store_short v[24:25], v29, off offset:64
	;; [unrolled: 1-line block ×3, first 2 shown]
	s_andn2_b32 vcc_lo, exec_lo, s5
	s_cbranch_vccnz .LBB371_6
.LBB371_5:
	v_mul_lo_u32 v7, v7, s14
	v_mul_lo_u32 v24, v4, s15
	v_mad_u64_u32 v[22:23], null, v4, s14, 0
	s_mul_i32 s5, s17, s8
	s_mul_hi_u32 s7, s16, s8
	s_mul_i32 s6, s16, s8
	s_add_i32 s7, s7, s5
	s_lshl_b64 s[6:7], s[6:7], 1
	v_add3_u32 v23, v23, v24, v7
	s_add_u32 s5, s12, s6
	s_addc_u32 s6, s13, s7
	v_mad_u64_u32 v[24:25], null, v4, s0, 0
	v_lshlrev_b64 v[22:23], 1, v[22:23]
	s_lshl_b64 s[0:1], s[0:1], 5
	v_add3_u32 v25, v25, v6, v5
	v_add_co_u32 v7, vcc_lo, s5, v22
	v_add_co_ci_u32_e64 v26, null, s6, v23, vcc_lo
	v_lshlrev_b64 v[4:5], 1, v[24:25]
	v_add_co_u32 v22, vcc_lo, v7, v0
	v_add_co_ci_u32_e64 v23, null, v26, v1, vcc_lo
	v_add_co_u32 v24, vcc_lo, s2, v4
	global_load_ushort v27, v[22:23], off
	v_add_co_ci_u32_e64 v25, null, s3, v5, vcc_lo
	v_add_co_u32 v4, vcc_lo, v24, v0
	s_lshl_b64 s[2:3], s[14:15], 5
	v_add_co_ci_u32_e64 v5, null, v25, v1, vcc_lo
	s_waitcnt vmcnt(0)
	v_cvt_f32_f16_e32 v6, v27
	v_mul_f32_e32 v6, s9, v6
	v_fma_mixlo_f16 v6, s4, v19, v6
	v_add_co_u32 v19, vcc_lo, v7, s2
	global_store_short v[4:5], v6, off
	global_load_ushort v6, v[22:23], off offset:32
	s_waitcnt vmcnt(0)
	v_cvt_f32_f16_e32 v6, v6
	v_mul_f32_e32 v6, s9, v6
	v_fma_mixlo_f16 v6, s4, v21, v6
	global_store_short v[4:5], v6, off offset:32
	global_load_ushort v6, v[22:23], off offset:64
	s_waitcnt vmcnt(0)
	v_cvt_f32_f16_e32 v6, v6
	v_mul_f32_e32 v6, s9, v6
	v_fma_mixlo_f16 v6, s4, v20, v6
	v_add_co_ci_u32_e64 v20, null, s3, v26, vcc_lo
	global_store_short v[4:5], v6, off offset:64
	global_load_ushort v6, v[22:23], off offset:96
	s_waitcnt vmcnt(0)
	v_cvt_f32_f16_e32 v6, v6
	v_mul_f32_e32 v6, s9, v6
	v_fma_mixlo_f16 v18, s4, v18, v6
	v_add_co_u32 v6, vcc_lo, v19, v0
	v_add_co_ci_u32_e64 v7, null, v20, v1, vcc_lo
	global_store_short v[4:5], v18, off offset:96
	v_add_co_u32 v18, vcc_lo, v24, s0
	global_load_ushort v4, v[6:7], off
	v_add_co_ci_u32_e64 v21, null, s1, v25, vcc_lo
	s_waitcnt vmcnt(0)
	v_cvt_f32_f16_e32 v4, v4
	v_mul_f32_e32 v22, s9, v4
	v_add_co_u32 v4, vcc_lo, v18, v0
	v_add_co_ci_u32_e64 v5, null, v21, v1, vcc_lo
	v_fma_mixlo_f16 v17, s4, v17, v22
	global_store_short v[4:5], v17, off
	global_load_ushort v17, v[6:7], off offset:32
	s_waitcnt vmcnt(0)
	v_cvt_f32_f16_e32 v17, v17
	v_mul_f32_e32 v17, s9, v17
	v_fma_mixlo_f16 v16, s4, v16, v17
	global_store_short v[4:5], v16, off offset:32
	global_load_ushort v16, v[6:7], off offset:64
	s_waitcnt vmcnt(0)
	v_cvt_f32_f16_e32 v16, v16
	v_mul_f32_e32 v16, s9, v16
	v_fma_mixlo_f16 v15, s4, v15, v16
	global_store_short v[4:5], v15, off offset:64
	global_load_ushort v6, v[6:7], off offset:96
	v_add_co_u32 v15, vcc_lo, v19, s2
	v_add_co_ci_u32_e64 v16, null, s3, v20, vcc_lo
	s_waitcnt vmcnt(0)
	v_cvt_f32_f16_e32 v6, v6
	v_mul_f32_e32 v6, s9, v6
	v_fma_mixlo_f16 v14, s4, v14, v6
	v_add_co_u32 v6, vcc_lo, v15, v0
	v_add_co_ci_u32_e64 v7, null, v16, v1, vcc_lo
	global_store_short v[4:5], v14, off offset:96
	v_add_co_u32 v14, vcc_lo, v18, s0
	global_load_ushort v4, v[6:7], off
	v_add_co_ci_u32_e64 v17, null, s1, v21, vcc_lo
	s_waitcnt vmcnt(0)
	v_cvt_f32_f16_e32 v4, v4
	v_mul_f32_e32 v18, s9, v4
	v_add_co_u32 v4, vcc_lo, v14, v0
	v_add_co_ci_u32_e64 v5, null, v17, v1, vcc_lo
	v_fma_mixlo_f16 v13, s4, v13, v18
	global_store_short v[4:5], v13, off
	global_load_ushort v13, v[6:7], off offset:32
	s_waitcnt vmcnt(0)
	v_cvt_f32_f16_e32 v13, v13
	v_mul_f32_e32 v13, s9, v13
	v_fma_mixlo_f16 v12, s4, v12, v13
	global_store_short v[4:5], v12, off offset:32
	global_load_ushort v12, v[6:7], off offset:64
	s_waitcnt vmcnt(0)
	v_cvt_f32_f16_e32 v12, v12
	v_mul_f32_e32 v12, s9, v12
	v_fma_mixlo_f16 v11, s4, v11, v12
	global_store_short v[4:5], v11, off offset:64
	global_load_ushort v6, v[6:7], off offset:96
	v_add_co_u32 v7, vcc_lo, v15, s2
	v_add_co_ci_u32_e64 v11, null, s3, v16, vcc_lo
	s_waitcnt vmcnt(0)
	v_cvt_f32_f16_e32 v6, v6
	v_mul_f32_e32 v6, s9, v6
	v_fma_mixlo_f16 v10, s4, v10, v6
	v_add_co_u32 v6, vcc_lo, v7, v0
	v_add_co_ci_u32_e64 v7, null, v11, v1, vcc_lo
	global_store_short v[4:5], v10, off offset:96
	v_add_co_u32 v5, vcc_lo, v14, s0
	global_load_ushort v4, v[6:7], off
	v_add_co_ci_u32_e64 v10, null, s1, v17, vcc_lo
	v_add_co_u32 v0, vcc_lo, v5, v0
	v_add_co_ci_u32_e64 v1, null, v10, v1, vcc_lo
	s_waitcnt vmcnt(0)
	v_cvt_f32_f16_e32 v4, v4
	v_mul_f32_e32 v4, s9, v4
	v_fma_mixlo_f16 v4, s4, v9, v4
	global_store_short v[0:1], v4, off
	global_load_ushort v4, v[6:7], off offset:32
	s_waitcnt vmcnt(0)
	v_cvt_f32_f16_e32 v4, v4
	v_mul_f32_e32 v4, s9, v4
	v_fma_mixlo_f16 v4, s4, v8, v4
	global_store_short v[0:1], v4, off offset:32
	global_load_ushort v4, v[6:7], off offset:64
	s_waitcnt vmcnt(0)
	v_cvt_f32_f16_e32 v4, v4
	v_mul_f32_e32 v4, s9, v4
	v_fma_mixlo_f16 v2, s4, v2, v4
	global_store_short v[0:1], v2, off offset:64
	;; [unrolled: 6-line block ×3, first 2 shown]
.LBB371_6:
	s_endpgm
.LBB371_7:
	s_branch .LBB371_5
	.section	.rodata,"a",@progbits
	.p2align	6, 0x0
	.amdhsa_kernel _ZN12_GLOBAL__N_127rocblas_gemm_batched_kernelIfLi16ELi16ELi64ELi64ELi4ELi64ELi4ELi4ELi64ELc84ELc67EKDF16_S1_DF16_EEvlllT_PT11_llS4_llS2_PT12_llPT13_lli
		.amdhsa_group_segment_fixed_size 2048
		.amdhsa_private_segment_fixed_size 0
		.amdhsa_kernarg_size 140
		.amdhsa_user_sgpr_count 6
		.amdhsa_user_sgpr_private_segment_buffer 1
		.amdhsa_user_sgpr_dispatch_ptr 0
		.amdhsa_user_sgpr_queue_ptr 0
		.amdhsa_user_sgpr_kernarg_segment_ptr 1
		.amdhsa_user_sgpr_dispatch_id 0
		.amdhsa_user_sgpr_flat_scratch_init 0
		.amdhsa_user_sgpr_private_segment_size 0
		.amdhsa_wavefront_size32 1
		.amdhsa_uses_dynamic_stack 0
		.amdhsa_system_sgpr_private_segment_wavefront_offset 0
		.amdhsa_system_sgpr_workgroup_id_x 1
		.amdhsa_system_sgpr_workgroup_id_y 1
		.amdhsa_system_sgpr_workgroup_id_z 1
		.amdhsa_system_sgpr_workgroup_info 0
		.amdhsa_system_vgpr_workitem_id 1
		.amdhsa_next_free_vgpr 58
		.amdhsa_next_free_sgpr 22
		.amdhsa_reserve_vcc 1
		.amdhsa_reserve_flat_scratch 0
		.amdhsa_float_round_mode_32 0
		.amdhsa_float_round_mode_16_64 0
		.amdhsa_float_denorm_mode_32 3
		.amdhsa_float_denorm_mode_16_64 3
		.amdhsa_dx10_clamp 1
		.amdhsa_ieee_mode 1
		.amdhsa_fp16_overflow 0
		.amdhsa_workgroup_processor_mode 1
		.amdhsa_memory_ordered 1
		.amdhsa_forward_progress 1
		.amdhsa_shared_vgpr_count 0
		.amdhsa_exception_fp_ieee_invalid_op 0
		.amdhsa_exception_fp_denorm_src 0
		.amdhsa_exception_fp_ieee_div_zero 0
		.amdhsa_exception_fp_ieee_overflow 0
		.amdhsa_exception_fp_ieee_underflow 0
		.amdhsa_exception_fp_ieee_inexact 0
		.amdhsa_exception_int_div_zero 0
	.end_amdhsa_kernel
	.section	.text._ZN12_GLOBAL__N_127rocblas_gemm_batched_kernelIfLi16ELi16ELi64ELi64ELi4ELi64ELi4ELi4ELi64ELc84ELc67EKDF16_S1_DF16_EEvlllT_PT11_llS4_llS2_PT12_llPT13_lli,"axG",@progbits,_ZN12_GLOBAL__N_127rocblas_gemm_batched_kernelIfLi16ELi16ELi64ELi64ELi4ELi64ELi4ELi4ELi64ELc84ELc67EKDF16_S1_DF16_EEvlllT_PT11_llS4_llS2_PT12_llPT13_lli,comdat
.Lfunc_end371:
	.size	_ZN12_GLOBAL__N_127rocblas_gemm_batched_kernelIfLi16ELi16ELi64ELi64ELi4ELi64ELi4ELi4ELi64ELc84ELc67EKDF16_S1_DF16_EEvlllT_PT11_llS4_llS2_PT12_llPT13_lli, .Lfunc_end371-_ZN12_GLOBAL__N_127rocblas_gemm_batched_kernelIfLi16ELi16ELi64ELi64ELi4ELi64ELi4ELi4ELi64ELc84ELc67EKDF16_S1_DF16_EEvlllT_PT11_llS4_llS2_PT12_llPT13_lli
                                        ; -- End function
	.set _ZN12_GLOBAL__N_127rocblas_gemm_batched_kernelIfLi16ELi16ELi64ELi64ELi4ELi64ELi4ELi4ELi64ELc84ELc67EKDF16_S1_DF16_EEvlllT_PT11_llS4_llS2_PT12_llPT13_lli.num_vgpr, 58
	.set _ZN12_GLOBAL__N_127rocblas_gemm_batched_kernelIfLi16ELi16ELi64ELi64ELi4ELi64ELi4ELi4ELi64ELc84ELc67EKDF16_S1_DF16_EEvlllT_PT11_llS4_llS2_PT12_llPT13_lli.num_agpr, 0
	.set _ZN12_GLOBAL__N_127rocblas_gemm_batched_kernelIfLi16ELi16ELi64ELi64ELi4ELi64ELi4ELi4ELi64ELc84ELc67EKDF16_S1_DF16_EEvlllT_PT11_llS4_llS2_PT12_llPT13_lli.numbered_sgpr, 22
	.set _ZN12_GLOBAL__N_127rocblas_gemm_batched_kernelIfLi16ELi16ELi64ELi64ELi4ELi64ELi4ELi4ELi64ELc84ELc67EKDF16_S1_DF16_EEvlllT_PT11_llS4_llS2_PT12_llPT13_lli.num_named_barrier, 0
	.set _ZN12_GLOBAL__N_127rocblas_gemm_batched_kernelIfLi16ELi16ELi64ELi64ELi4ELi64ELi4ELi4ELi64ELc84ELc67EKDF16_S1_DF16_EEvlllT_PT11_llS4_llS2_PT12_llPT13_lli.private_seg_size, 0
	.set _ZN12_GLOBAL__N_127rocblas_gemm_batched_kernelIfLi16ELi16ELi64ELi64ELi4ELi64ELi4ELi4ELi64ELc84ELc67EKDF16_S1_DF16_EEvlllT_PT11_llS4_llS2_PT12_llPT13_lli.uses_vcc, 1
	.set _ZN12_GLOBAL__N_127rocblas_gemm_batched_kernelIfLi16ELi16ELi64ELi64ELi4ELi64ELi4ELi4ELi64ELc84ELc67EKDF16_S1_DF16_EEvlllT_PT11_llS4_llS2_PT12_llPT13_lli.uses_flat_scratch, 0
	.set _ZN12_GLOBAL__N_127rocblas_gemm_batched_kernelIfLi16ELi16ELi64ELi64ELi4ELi64ELi4ELi4ELi64ELc84ELc67EKDF16_S1_DF16_EEvlllT_PT11_llS4_llS2_PT12_llPT13_lli.has_dyn_sized_stack, 0
	.set _ZN12_GLOBAL__N_127rocblas_gemm_batched_kernelIfLi16ELi16ELi64ELi64ELi4ELi64ELi4ELi4ELi64ELc84ELc67EKDF16_S1_DF16_EEvlllT_PT11_llS4_llS2_PT12_llPT13_lli.has_recursion, 0
	.set _ZN12_GLOBAL__N_127rocblas_gemm_batched_kernelIfLi16ELi16ELi64ELi64ELi4ELi64ELi4ELi4ELi64ELc84ELc67EKDF16_S1_DF16_EEvlllT_PT11_llS4_llS2_PT12_llPT13_lli.has_indirect_call, 0
	.section	.AMDGPU.csdata,"",@progbits
; Kernel info:
; codeLenInByte = 2484
; TotalNumSgprs: 24
; NumVgprs: 58
; ScratchSize: 0
; MemoryBound: 0
; FloatMode: 240
; IeeeMode: 1
; LDSByteSize: 2048 bytes/workgroup (compile time only)
; SGPRBlocks: 0
; VGPRBlocks: 7
; NumSGPRsForWavesPerEU: 24
; NumVGPRsForWavesPerEU: 58
; Occupancy: 16
; WaveLimiterHint : 0
; COMPUTE_PGM_RSRC2:SCRATCH_EN: 0
; COMPUTE_PGM_RSRC2:USER_SGPR: 6
; COMPUTE_PGM_RSRC2:TRAP_HANDLER: 0
; COMPUTE_PGM_RSRC2:TGID_X_EN: 1
; COMPUTE_PGM_RSRC2:TGID_Y_EN: 1
; COMPUTE_PGM_RSRC2:TGID_Z_EN: 1
; COMPUTE_PGM_RSRC2:TIDIG_COMP_CNT: 1
	.section	.text._ZN12_GLOBAL__N_127rocblas_gemm_batched_kernelIfLi16ELi16ELi32ELi32ELi8ELi32ELi8ELi8ELi32ELc78ELc78EKDF16_S1_DF16_EEvlllT_PT11_llS4_llS2_PT12_llPT13_lli,"axG",@progbits,_ZN12_GLOBAL__N_127rocblas_gemm_batched_kernelIfLi16ELi16ELi32ELi32ELi8ELi32ELi8ELi8ELi32ELc78ELc78EKDF16_S1_DF16_EEvlllT_PT11_llS4_llS2_PT12_llPT13_lli,comdat
	.globl	_ZN12_GLOBAL__N_127rocblas_gemm_batched_kernelIfLi16ELi16ELi32ELi32ELi8ELi32ELi8ELi8ELi32ELc78ELc78EKDF16_S1_DF16_EEvlllT_PT11_llS4_llS2_PT12_llPT13_lli ; -- Begin function _ZN12_GLOBAL__N_127rocblas_gemm_batched_kernelIfLi16ELi16ELi32ELi32ELi8ELi32ELi8ELi8ELi32ELc78ELc78EKDF16_S1_DF16_EEvlllT_PT11_llS4_llS2_PT12_llPT13_lli
	.p2align	8
	.type	_ZN12_GLOBAL__N_127rocblas_gemm_batched_kernelIfLi16ELi16ELi32ELi32ELi8ELi32ELi8ELi8ELi32ELc78ELc78EKDF16_S1_DF16_EEvlllT_PT11_llS4_llS2_PT12_llPT13_lli,@function
_ZN12_GLOBAL__N_127rocblas_gemm_batched_kernelIfLi16ELi16ELi32ELi32ELi8ELi32ELi8ELi8ELi32ELc78ELc78EKDF16_S1_DF16_EEvlllT_PT11_llS4_llS2_PT12_llPT13_lli: ; @_ZN12_GLOBAL__N_127rocblas_gemm_batched_kernelIfLi16ELi16ELi32ELi32ELi8ELi32ELi8ELi8ELi32ELc78ELc78EKDF16_S1_DF16_EEvlllT_PT11_llS4_llS2_PT12_llPT13_lli
; %bb.0:
	s_load_dwordx2 s[20:21], s[4:5], 0x10
	s_mov_b32 s0, s7
	v_mov_b32_e32 v9, 0
	v_mov_b32_e32 v8, 0
	;; [unrolled: 1-line block ×4, first 2 shown]
	s_ashr_i32 s7, s6, 31
	s_ashr_i32 s1, s0, 31
	s_lshl_b64 s[6:7], s[6:7], 5
	s_lshl_b64 s[10:11], s[0:1], 5
	s_waitcnt lgkmcnt(0)
	v_cmp_lt_i64_e64 s2, s[20:21], 1
	s_and_b32 vcc_lo, exec_lo, s2
	s_cbranch_vccnz .LBB372_3
; %bb.1:
	s_load_dwordx4 s[0:3], s[4:5], 0x40
	v_lshl_add_u32 v2, v1, 4, v0
	s_load_dwordx8 s[12:19], s[4:5], 0x20
	v_and_b32_e32 v9, 7, v0
	v_mov_b32_e32 v6, 0
	v_lshlrev_b32_e32 v10, 2, v0
	v_lshrrev_b32_e32 v4, 3, v2
	v_and_b32_e32 v14, 31, v2
	v_lshrrev_b32_e32 v7, 5, v2
	v_lshlrev_b32_e32 v8, 2, v9
	v_lshlrev_b32_e32 v9, 1, v9
	v_add_co_u32 v3, s9, v4, s10
	v_add_co_ci_u32_e64 v5, null, 0, s11, s9
	v_lshl_or_b32 v8, v4, 5, v8
	v_lshlrev_b32_e32 v12, 2, v14
	v_lshl_add_u32 v11, v1, 5, 0x400
	v_add_nc_u32_e32 v13, 0x400, v8
	s_waitcnt lgkmcnt(0)
	v_mul_lo_u32 v15, s1, v3
	v_mul_lo_u32 v16, s0, v5
	v_mad_u64_u32 v[2:3], null, s0, v3, 0
	v_mad_u64_u32 v[4:5], null, s14, v7, s[6:7]
	s_mul_i32 s1, s3, s8
	s_mul_hi_u32 s3, s2, s8
	v_lshl_or_b32 v12, v7, 7, v12
	s_mul_i32 s0, s2, s8
	v_add3_u32 v3, v3, v16, v15
	s_add_i32 s1, s3, s1
	v_mad_u64_u32 v[7:8], null, s15, v7, v[5:6]
	s_lshl_b64 s[0:1], s[0:1], 1
	v_lshlrev_b64 v[2:3], 1, v[2:3]
	s_mul_i32 s2, s17, s8
	v_add_co_u32 v5, vcc_lo, v2, s0
	v_add_co_ci_u32_e64 v8, null, s1, v3, vcc_lo
	v_add_co_u32 v2, vcc_lo, v4, v14
	v_add_co_ci_u32_e64 v3, null, 0, v7, vcc_lo
	s_mul_hi_u32 s0, s16, s8
	v_add_co_u32 v7, vcc_lo, v5, v9
	s_add_i32 s1, s0, s2
	s_mul_i32 s0, s16, s8
	v_lshlrev_b64 v[4:5], 1, v[2:3]
	v_add_co_ci_u32_e64 v8, null, 0, v8, vcc_lo
	s_lshl_b64 s[0:1], s[0:1], 1
	v_add_co_u32 v2, vcc_lo, s18, v7
	s_add_u32 s0, s12, s0
	v_add_co_ci_u32_e64 v3, null, s19, v8, vcc_lo
	s_addc_u32 s1, s13, s1
	v_add_co_u32 v4, vcc_lo, s0, v4
	v_add_co_ci_u32_e64 v5, null, s1, v5, vcc_lo
	v_mov_b32_e32 v7, 0
	v_mov_b32_e32 v8, 0
	;; [unrolled: 1-line block ×3, first 2 shown]
	s_lshl_b64 s[0:1], s[14:15], 4
	s_mov_b64 s[2:3], 0
.LBB372_2:                              ; =>This Inner Loop Header: Depth=1
	global_load_ushort v14, v[4:5], off
	global_load_ushort v15, v[2:3], off
	s_add_u32 s2, s2, 8
	s_addc_u32 s3, s3, 0
	v_add_co_u32 v2, vcc_lo, v2, 16
	v_cmp_lt_i64_e64 s9, s[2:3], s[20:21]
	v_add_co_ci_u32_e64 v3, null, 0, v3, vcc_lo
	v_add_co_u32 v4, vcc_lo, v4, s0
	v_add_co_ci_u32_e64 v5, null, s1, v5, vcc_lo
	s_and_b32 vcc_lo, exec_lo, s9
	s_waitcnt vmcnt(1)
	v_cvt_f32_f16_e32 v14, v14
	s_waitcnt vmcnt(0)
	v_cvt_f32_f16_e32 v15, v15
	ds_write_b32 v12, v14
	ds_write_b32 v13, v15
	s_waitcnt lgkmcnt(0)
	s_barrier
	buffer_gl0_inv
	ds_read_b128 v[14:17], v11
	ds_read2_b32 v[30:31], v10 offset1:16
	ds_read_b128 v[18:21], v11 offset:512
	ds_read2_b32 v[32:33], v10 offset0:32 offset1:48
	ds_read2_b32 v[34:35], v10 offset0:64 offset1:80
	ds_read_b128 v[22:25], v11 offset:16
	ds_read2_b32 v[36:37], v10 offset0:96 offset1:112
	ds_read2_b32 v[38:39], v10 offset0:128 offset1:144
	;; [unrolled: 3-line block ×3, first 2 shown]
	ds_read2_b32 v[44:45], v10 offset0:224 offset1:240
	s_waitcnt lgkmcnt(0)
	s_barrier
	buffer_gl0_inv
	v_fmac_f32_e32 v9, v30, v14
	v_fmac_f32_e32 v8, v31, v14
	;; [unrolled: 1-line block ×32, first 2 shown]
	s_cbranch_vccnz .LBB372_2
.LBB372_3:
	s_clause 0x3
	s_load_dwordx4 s[0:3], s[4:5], 0x78
	s_load_dword s9, s[4:5], 0x50
	s_load_dwordx8 s[12:19], s[4:5], 0x58
	s_load_dword s4, s[4:5], 0x18
	v_add_co_u32 v3, s5, s6, v0
	v_add_co_ci_u32_e64 v4, null, s7, 0, s5
	v_add_co_u32 v2, s5, s10, v1
	v_add_co_ci_u32_e64 v5, null, s11, 0, s5
	v_lshlrev_b64 v[0:1], 1, v[3:4]
	s_waitcnt lgkmcnt(0)
	s_mul_i32 s3, s3, s8
	s_mul_hi_u32 s5, s2, s8
	v_mul_lo_u32 v3, v5, s0
	v_mul_lo_u32 v4, v2, s1
	s_mul_i32 s2, s2, s8
	v_cmp_neq_f32_e64 s6, s9, 0
	s_add_i32 s3, s5, s3
	s_mov_b32 s5, 0
	s_lshl_b64 s[2:3], s[2:3], 1
	s_add_u32 s2, s18, s2
	s_addc_u32 s3, s19, s3
	s_and_b32 vcc_lo, exec_lo, s6
	s_cbranch_vccnz .LBB372_7
; %bb.4:
	v_mad_u64_u32 v[10:11], null, v2, s0, 0
	s_lshl_b64 s[6:7], s[0:1], 5
	v_fma_mixlo_f16 v14, s4, v9, 0
	v_fma_mixlo_f16 v15, s4, v8, 0
	;; [unrolled: 1-line block ×4, first 2 shown]
	v_add3_u32 v11, v11, v4, v3
	v_lshlrev_b64 v[10:11], 1, v[10:11]
	v_add_co_u32 v10, vcc_lo, s2, v10
	v_add_co_ci_u32_e64 v11, null, s3, v11, vcc_lo
	v_add_co_u32 v12, vcc_lo, v10, s6
	v_add_co_ci_u32_e64 v13, null, s7, v11, vcc_lo
	;; [unrolled: 2-line block ×4, first 2 shown]
	global_store_short v[10:11], v14, off
	global_store_short v[10:11], v15, off offset:32
	global_store_short v[12:13], v16, off
	global_store_short v[12:13], v17, off offset:32
	s_andn2_b32 vcc_lo, exec_lo, s5
	s_cbranch_vccnz .LBB372_6
.LBB372_5:
	v_mul_lo_u32 v5, v5, s14
	v_mul_lo_u32 v12, v2, s15
	v_mad_u64_u32 v[10:11], null, v2, s14, 0
	s_mul_i32 s5, s17, s8
	s_mul_hi_u32 s7, s16, s8
	s_mul_i32 s6, s16, s8
	s_add_i32 s7, s7, s5
	s_lshl_b64 s[6:7], s[6:7], 1
	v_add3_u32 v11, v11, v12, v5
	s_add_u32 s5, s12, s6
	s_addc_u32 s6, s13, s7
	v_mad_u64_u32 v[12:13], null, v2, s0, 0
	v_lshlrev_b64 v[10:11], 1, v[10:11]
	s_lshl_b64 s[0:1], s[0:1], 5
	v_add3_u32 v13, v13, v4, v3
	v_add_co_u32 v5, vcc_lo, s5, v10
	v_add_co_ci_u32_e64 v14, null, s6, v11, vcc_lo
	v_lshlrev_b64 v[2:3], 1, v[12:13]
	v_add_co_u32 v10, vcc_lo, v5, v0
	v_add_co_ci_u32_e64 v11, null, v14, v1, vcc_lo
	v_add_co_u32 v12, vcc_lo, s2, v2
	global_load_ushort v15, v[10:11], off
	v_add_co_ci_u32_e64 v13, null, s3, v3, vcc_lo
	v_add_co_u32 v2, vcc_lo, v12, v0
	s_lshl_b64 s[2:3], s[14:15], 5
	v_add_co_ci_u32_e64 v3, null, v13, v1, vcc_lo
	v_add_co_u32 v5, vcc_lo, v5, s2
	s_waitcnt vmcnt(0)
	v_cvt_f32_f16_e32 v4, v15
	v_mul_f32_e32 v4, s9, v4
	v_fma_mixlo_f16 v4, s4, v9, v4
	v_add_co_ci_u32_e64 v9, null, s3, v14, vcc_lo
	global_store_short v[2:3], v4, off
	global_load_ushort v4, v[10:11], off offset:32
	s_waitcnt vmcnt(0)
	v_cvt_f32_f16_e32 v4, v4
	v_mul_f32_e32 v4, s9, v4
	v_fma_mixlo_f16 v8, s4, v8, v4
	v_add_co_u32 v4, vcc_lo, v5, v0
	v_add_co_ci_u32_e64 v5, null, v9, v1, vcc_lo
	global_store_short v[2:3], v8, off offset:32
	v_add_co_u32 v3, vcc_lo, v12, s0
	global_load_ushort v2, v[4:5], off
	v_add_co_ci_u32_e64 v8, null, s1, v13, vcc_lo
	v_add_co_u32 v0, vcc_lo, v3, v0
	v_add_co_ci_u32_e64 v1, null, v8, v1, vcc_lo
	s_waitcnt vmcnt(0)
	v_cvt_f32_f16_e32 v2, v2
	v_mul_f32_e32 v2, s9, v2
	v_fma_mixlo_f16 v2, s4, v7, v2
	global_store_short v[0:1], v2, off
	global_load_ushort v2, v[4:5], off offset:32
	s_waitcnt vmcnt(0)
	v_cvt_f32_f16_e32 v2, v2
	v_mul_f32_e32 v2, s9, v2
	v_fma_mixlo_f16 v2, s4, v6, v2
	global_store_short v[0:1], v2, off offset:32
.LBB372_6:
	s_endpgm
.LBB372_7:
	s_branch .LBB372_5
	.section	.rodata,"a",@progbits
	.p2align	6, 0x0
	.amdhsa_kernel _ZN12_GLOBAL__N_127rocblas_gemm_batched_kernelIfLi16ELi16ELi32ELi32ELi8ELi32ELi8ELi8ELi32ELc78ELc78EKDF16_S1_DF16_EEvlllT_PT11_llS4_llS2_PT12_llPT13_lli
		.amdhsa_group_segment_fixed_size 2048
		.amdhsa_private_segment_fixed_size 0
		.amdhsa_kernarg_size 140
		.amdhsa_user_sgpr_count 6
		.amdhsa_user_sgpr_private_segment_buffer 1
		.amdhsa_user_sgpr_dispatch_ptr 0
		.amdhsa_user_sgpr_queue_ptr 0
		.amdhsa_user_sgpr_kernarg_segment_ptr 1
		.amdhsa_user_sgpr_dispatch_id 0
		.amdhsa_user_sgpr_flat_scratch_init 0
		.amdhsa_user_sgpr_private_segment_size 0
		.amdhsa_wavefront_size32 1
		.amdhsa_uses_dynamic_stack 0
		.amdhsa_system_sgpr_private_segment_wavefront_offset 0
		.amdhsa_system_sgpr_workgroup_id_x 1
		.amdhsa_system_sgpr_workgroup_id_y 1
		.amdhsa_system_sgpr_workgroup_id_z 1
		.amdhsa_system_sgpr_workgroup_info 0
		.amdhsa_system_vgpr_workitem_id 1
		.amdhsa_next_free_vgpr 46
		.amdhsa_next_free_sgpr 22
		.amdhsa_reserve_vcc 1
		.amdhsa_reserve_flat_scratch 0
		.amdhsa_float_round_mode_32 0
		.amdhsa_float_round_mode_16_64 0
		.amdhsa_float_denorm_mode_32 3
		.amdhsa_float_denorm_mode_16_64 3
		.amdhsa_dx10_clamp 1
		.amdhsa_ieee_mode 1
		.amdhsa_fp16_overflow 0
		.amdhsa_workgroup_processor_mode 1
		.amdhsa_memory_ordered 1
		.amdhsa_forward_progress 1
		.amdhsa_shared_vgpr_count 0
		.amdhsa_exception_fp_ieee_invalid_op 0
		.amdhsa_exception_fp_denorm_src 0
		.amdhsa_exception_fp_ieee_div_zero 0
		.amdhsa_exception_fp_ieee_overflow 0
		.amdhsa_exception_fp_ieee_underflow 0
		.amdhsa_exception_fp_ieee_inexact 0
		.amdhsa_exception_int_div_zero 0
	.end_amdhsa_kernel
	.section	.text._ZN12_GLOBAL__N_127rocblas_gemm_batched_kernelIfLi16ELi16ELi32ELi32ELi8ELi32ELi8ELi8ELi32ELc78ELc78EKDF16_S1_DF16_EEvlllT_PT11_llS4_llS2_PT12_llPT13_lli,"axG",@progbits,_ZN12_GLOBAL__N_127rocblas_gemm_batched_kernelIfLi16ELi16ELi32ELi32ELi8ELi32ELi8ELi8ELi32ELc78ELc78EKDF16_S1_DF16_EEvlllT_PT11_llS4_llS2_PT12_llPT13_lli,comdat
.Lfunc_end372:
	.size	_ZN12_GLOBAL__N_127rocblas_gemm_batched_kernelIfLi16ELi16ELi32ELi32ELi8ELi32ELi8ELi8ELi32ELc78ELc78EKDF16_S1_DF16_EEvlllT_PT11_llS4_llS2_PT12_llPT13_lli, .Lfunc_end372-_ZN12_GLOBAL__N_127rocblas_gemm_batched_kernelIfLi16ELi16ELi32ELi32ELi8ELi32ELi8ELi8ELi32ELc78ELc78EKDF16_S1_DF16_EEvlllT_PT11_llS4_llS2_PT12_llPT13_lli
                                        ; -- End function
	.set _ZN12_GLOBAL__N_127rocblas_gemm_batched_kernelIfLi16ELi16ELi32ELi32ELi8ELi32ELi8ELi8ELi32ELc78ELc78EKDF16_S1_DF16_EEvlllT_PT11_llS4_llS2_PT12_llPT13_lli.num_vgpr, 46
	.set _ZN12_GLOBAL__N_127rocblas_gemm_batched_kernelIfLi16ELi16ELi32ELi32ELi8ELi32ELi8ELi8ELi32ELc78ELc78EKDF16_S1_DF16_EEvlllT_PT11_llS4_llS2_PT12_llPT13_lli.num_agpr, 0
	.set _ZN12_GLOBAL__N_127rocblas_gemm_batched_kernelIfLi16ELi16ELi32ELi32ELi8ELi32ELi8ELi8ELi32ELc78ELc78EKDF16_S1_DF16_EEvlllT_PT11_llS4_llS2_PT12_llPT13_lli.numbered_sgpr, 22
	.set _ZN12_GLOBAL__N_127rocblas_gemm_batched_kernelIfLi16ELi16ELi32ELi32ELi8ELi32ELi8ELi8ELi32ELc78ELc78EKDF16_S1_DF16_EEvlllT_PT11_llS4_llS2_PT12_llPT13_lli.num_named_barrier, 0
	.set _ZN12_GLOBAL__N_127rocblas_gemm_batched_kernelIfLi16ELi16ELi32ELi32ELi8ELi32ELi8ELi8ELi32ELc78ELc78EKDF16_S1_DF16_EEvlllT_PT11_llS4_llS2_PT12_llPT13_lli.private_seg_size, 0
	.set _ZN12_GLOBAL__N_127rocblas_gemm_batched_kernelIfLi16ELi16ELi32ELi32ELi8ELi32ELi8ELi8ELi32ELc78ELc78EKDF16_S1_DF16_EEvlllT_PT11_llS4_llS2_PT12_llPT13_lli.uses_vcc, 1
	.set _ZN12_GLOBAL__N_127rocblas_gemm_batched_kernelIfLi16ELi16ELi32ELi32ELi8ELi32ELi8ELi8ELi32ELc78ELc78EKDF16_S1_DF16_EEvlllT_PT11_llS4_llS2_PT12_llPT13_lli.uses_flat_scratch, 0
	.set _ZN12_GLOBAL__N_127rocblas_gemm_batched_kernelIfLi16ELi16ELi32ELi32ELi8ELi32ELi8ELi8ELi32ELc78ELc78EKDF16_S1_DF16_EEvlllT_PT11_llS4_llS2_PT12_llPT13_lli.has_dyn_sized_stack, 0
	.set _ZN12_GLOBAL__N_127rocblas_gemm_batched_kernelIfLi16ELi16ELi32ELi32ELi8ELi32ELi8ELi8ELi32ELc78ELc78EKDF16_S1_DF16_EEvlllT_PT11_llS4_llS2_PT12_llPT13_lli.has_recursion, 0
	.set _ZN12_GLOBAL__N_127rocblas_gemm_batched_kernelIfLi16ELi16ELi32ELi32ELi8ELi32ELi8ELi8ELi32ELc78ELc78EKDF16_S1_DF16_EEvlllT_PT11_llS4_llS2_PT12_llPT13_lli.has_indirect_call, 0
	.section	.AMDGPU.csdata,"",@progbits
; Kernel info:
; codeLenInByte = 1440
; TotalNumSgprs: 24
; NumVgprs: 46
; ScratchSize: 0
; MemoryBound: 0
; FloatMode: 240
; IeeeMode: 1
; LDSByteSize: 2048 bytes/workgroup (compile time only)
; SGPRBlocks: 0
; VGPRBlocks: 5
; NumSGPRsForWavesPerEU: 24
; NumVGPRsForWavesPerEU: 46
; Occupancy: 16
; WaveLimiterHint : 0
; COMPUTE_PGM_RSRC2:SCRATCH_EN: 0
; COMPUTE_PGM_RSRC2:USER_SGPR: 6
; COMPUTE_PGM_RSRC2:TRAP_HANDLER: 0
; COMPUTE_PGM_RSRC2:TGID_X_EN: 1
; COMPUTE_PGM_RSRC2:TGID_Y_EN: 1
; COMPUTE_PGM_RSRC2:TGID_Z_EN: 1
; COMPUTE_PGM_RSRC2:TIDIG_COMP_CNT: 1
	.section	.text._ZN12_GLOBAL__N_127rocblas_gemm_batched_kernelIfLi16ELi16ELi32ELi32ELi8ELi32ELi8ELi8ELi32ELc84ELc78EKDF16_S1_DF16_EEvlllT_PT11_llS4_llS2_PT12_llPT13_lli,"axG",@progbits,_ZN12_GLOBAL__N_127rocblas_gemm_batched_kernelIfLi16ELi16ELi32ELi32ELi8ELi32ELi8ELi8ELi32ELc84ELc78EKDF16_S1_DF16_EEvlllT_PT11_llS4_llS2_PT12_llPT13_lli,comdat
	.globl	_ZN12_GLOBAL__N_127rocblas_gemm_batched_kernelIfLi16ELi16ELi32ELi32ELi8ELi32ELi8ELi8ELi32ELc84ELc78EKDF16_S1_DF16_EEvlllT_PT11_llS4_llS2_PT12_llPT13_lli ; -- Begin function _ZN12_GLOBAL__N_127rocblas_gemm_batched_kernelIfLi16ELi16ELi32ELi32ELi8ELi32ELi8ELi8ELi32ELc84ELc78EKDF16_S1_DF16_EEvlllT_PT11_llS4_llS2_PT12_llPT13_lli
	.p2align	8
	.type	_ZN12_GLOBAL__N_127rocblas_gemm_batched_kernelIfLi16ELi16ELi32ELi32ELi8ELi32ELi8ELi8ELi32ELc84ELc78EKDF16_S1_DF16_EEvlllT_PT11_llS4_llS2_PT12_llPT13_lli,@function
_ZN12_GLOBAL__N_127rocblas_gemm_batched_kernelIfLi16ELi16ELi32ELi32ELi8ELi32ELi8ELi8ELi32ELc84ELc78EKDF16_S1_DF16_EEvlllT_PT11_llS4_llS2_PT12_llPT13_lli: ; @_ZN12_GLOBAL__N_127rocblas_gemm_batched_kernelIfLi16ELi16ELi32ELi32ELi8ELi32ELi8ELi8ELi32ELc84ELc78EKDF16_S1_DF16_EEvlllT_PT11_llS4_llS2_PT12_llPT13_lli
; %bb.0:
	s_load_dwordx2 s[20:21], s[4:5], 0x10
	s_mov_b32 s0, s7
	v_mov_b32_e32 v9, 0
	v_mov_b32_e32 v8, 0
	;; [unrolled: 1-line block ×4, first 2 shown]
	s_ashr_i32 s7, s6, 31
	s_ashr_i32 s1, s0, 31
	s_lshl_b64 s[6:7], s[6:7], 5
	s_lshl_b64 s[10:11], s[0:1], 5
	s_waitcnt lgkmcnt(0)
	v_cmp_lt_i64_e64 s2, s[20:21], 1
	s_and_b32 vcc_lo, exec_lo, s2
	s_cbranch_vccnz .LBB373_3
; %bb.1:
	s_load_dwordx4 s[0:3], s[4:5], 0x40
	v_lshl_add_u32 v2, v1, 4, v0
	s_load_dwordx8 s[12:19], s[4:5], 0x20
	v_and_b32_e32 v7, 7, v0
	v_mov_b32_e32 v6, 0
	v_lshlrev_b32_e32 v10, 2, v0
	v_lshrrev_b32_e32 v3, 3, v2
	v_and_b32_e32 v4, 31, v2
	v_lshlrev_b32_e32 v5, 2, v7
	v_lshrrev_b32_e32 v14, 5, v2
	v_add_co_u32 v8, s9, v3, s10
	v_add_co_ci_u32_e64 v9, null, 0, s11, s9
	v_lshl_or_b32 v5, v3, 5, v5
	v_lshlrev_b32_e32 v11, 2, v4
	v_add_nc_u32_e32 v12, 0x400, v5
	s_waitcnt lgkmcnt(0)
	v_mul_lo_u32 v13, s1, v8
	v_mul_lo_u32 v9, s0, v9
	v_mad_u64_u32 v[2:3], null, s0, v8, 0
	v_add_co_u32 v4, s0, s6, v4
	v_add_co_ci_u32_e64 v8, null, s7, 0, s0
	s_mul_i32 s0, s3, s8
	v_mul_lo_u32 v15, s15, v4
	v_add3_u32 v3, v3, v9, v13
	v_mul_lo_u32 v8, s14, v8
	v_mad_u64_u32 v[4:5], null, s14, v4, 0
	s_mul_hi_u32 s1, s2, s8
	v_lshlrev_b64 v[2:3], 1, v[2:3]
	s_add_i32 s1, s1, s0
	s_mul_i32 s0, s2, s8
	v_lshl_or_b32 v11, v14, 7, v11
	s_lshl_b64 s[0:1], s[0:1], 1
	v_add3_u32 v5, v5, v8, v15
	v_add_co_u32 v8, vcc_lo, v2, s0
	v_add_co_ci_u32_e64 v9, null, s1, v3, vcc_lo
	s_mul_i32 s0, s17, s8
	s_mul_hi_u32 s1, s16, s8
	v_lshlrev_b64 v[2:3], 1, v[4:5]
	s_add_i32 s1, s1, s0
	s_mul_i32 s0, s16, s8
	v_lshlrev_b32_e32 v4, 1, v7
	s_lshl_b64 s[0:1], s[0:1], 1
	v_lshlrev_b32_e32 v5, 1, v14
	v_add_co_u32 v2, vcc_lo, v2, s0
	v_add_co_ci_u32_e64 v3, null, s1, v3, vcc_lo
	v_add_co_u32 v4, vcc_lo, v8, v4
	v_add_co_ci_u32_e64 v7, null, 0, v9, vcc_lo
	;; [unrolled: 2-line block ×4, first 2 shown]
	v_add_co_u32 v4, vcc_lo, s12, v5
	v_lshl_add_u32 v13, v1, 5, 0x400
	v_add_co_ci_u32_e64 v5, null, s13, v8, vcc_lo
	v_mov_b32_e32 v7, 0
	v_mov_b32_e32 v8, 0
	;; [unrolled: 1-line block ×3, first 2 shown]
	s_mov_b64 s[0:1], 0
.LBB373_2:                              ; =>This Inner Loop Header: Depth=1
	global_load_ushort v14, v[4:5], off
	global_load_ushort v15, v[2:3], off
	s_add_u32 s0, s0, 8
	s_addc_u32 s1, s1, 0
	v_add_co_u32 v2, vcc_lo, v2, 16
	v_cmp_lt_i64_e64 s2, s[0:1], s[20:21]
	v_add_co_ci_u32_e64 v3, null, 0, v3, vcc_lo
	v_add_co_u32 v4, vcc_lo, v4, 16
	v_add_co_ci_u32_e64 v5, null, 0, v5, vcc_lo
	s_and_b32 vcc_lo, exec_lo, s2
	s_waitcnt vmcnt(1)
	v_cvt_f32_f16_e32 v14, v14
	s_waitcnt vmcnt(0)
	v_cvt_f32_f16_e32 v15, v15
	ds_write_b32 v11, v14
	ds_write_b32 v12, v15
	s_waitcnt lgkmcnt(0)
	s_barrier
	buffer_gl0_inv
	ds_read_b128 v[14:17], v13
	ds_read2_b32 v[30:31], v10 offset1:16
	ds_read_b128 v[18:21], v13 offset:512
	ds_read2_b32 v[32:33], v10 offset0:32 offset1:48
	ds_read2_b32 v[34:35], v10 offset0:64 offset1:80
	ds_read_b128 v[22:25], v13 offset:16
	ds_read2_b32 v[36:37], v10 offset0:96 offset1:112
	ds_read2_b32 v[38:39], v10 offset0:128 offset1:144
	;; [unrolled: 3-line block ×3, first 2 shown]
	ds_read2_b32 v[44:45], v10 offset0:224 offset1:240
	s_waitcnt lgkmcnt(0)
	s_barrier
	buffer_gl0_inv
	v_fmac_f32_e32 v9, v30, v14
	v_fmac_f32_e32 v8, v31, v14
	;; [unrolled: 1-line block ×32, first 2 shown]
	s_cbranch_vccnz .LBB373_2
.LBB373_3:
	s_clause 0x3
	s_load_dwordx4 s[0:3], s[4:5], 0x78
	s_load_dword s9, s[4:5], 0x50
	s_load_dwordx8 s[12:19], s[4:5], 0x58
	s_load_dword s4, s[4:5], 0x18
	v_add_co_u32 v3, s5, s6, v0
	v_add_co_ci_u32_e64 v4, null, s7, 0, s5
	v_add_co_u32 v2, s5, s10, v1
	v_add_co_ci_u32_e64 v5, null, s11, 0, s5
	v_lshlrev_b64 v[0:1], 1, v[3:4]
	s_waitcnt lgkmcnt(0)
	s_mul_i32 s3, s3, s8
	s_mul_hi_u32 s5, s2, s8
	v_mul_lo_u32 v3, v5, s0
	v_mul_lo_u32 v4, v2, s1
	s_mul_i32 s2, s2, s8
	v_cmp_neq_f32_e64 s6, s9, 0
	s_add_i32 s3, s5, s3
	s_mov_b32 s5, 0
	s_lshl_b64 s[2:3], s[2:3], 1
	s_add_u32 s2, s18, s2
	s_addc_u32 s3, s19, s3
	s_and_b32 vcc_lo, exec_lo, s6
	s_cbranch_vccnz .LBB373_7
; %bb.4:
	v_mad_u64_u32 v[10:11], null, v2, s0, 0
	s_lshl_b64 s[6:7], s[0:1], 5
	v_fma_mixlo_f16 v14, s4, v9, 0
	v_fma_mixlo_f16 v15, s4, v8, 0
	;; [unrolled: 1-line block ×4, first 2 shown]
	v_add3_u32 v11, v11, v4, v3
	v_lshlrev_b64 v[10:11], 1, v[10:11]
	v_add_co_u32 v10, vcc_lo, s2, v10
	v_add_co_ci_u32_e64 v11, null, s3, v11, vcc_lo
	v_add_co_u32 v12, vcc_lo, v10, s6
	v_add_co_ci_u32_e64 v13, null, s7, v11, vcc_lo
	;; [unrolled: 2-line block ×4, first 2 shown]
	global_store_short v[10:11], v14, off
	global_store_short v[10:11], v15, off offset:32
	global_store_short v[12:13], v16, off
	global_store_short v[12:13], v17, off offset:32
	s_andn2_b32 vcc_lo, exec_lo, s5
	s_cbranch_vccnz .LBB373_6
.LBB373_5:
	v_mul_lo_u32 v5, v5, s14
	v_mul_lo_u32 v12, v2, s15
	v_mad_u64_u32 v[10:11], null, v2, s14, 0
	s_mul_i32 s5, s17, s8
	s_mul_hi_u32 s7, s16, s8
	s_mul_i32 s6, s16, s8
	s_add_i32 s7, s7, s5
	s_lshl_b64 s[6:7], s[6:7], 1
	v_add3_u32 v11, v11, v12, v5
	s_add_u32 s5, s12, s6
	s_addc_u32 s6, s13, s7
	v_mad_u64_u32 v[12:13], null, v2, s0, 0
	v_lshlrev_b64 v[10:11], 1, v[10:11]
	s_lshl_b64 s[0:1], s[0:1], 5
	v_add3_u32 v13, v13, v4, v3
	v_add_co_u32 v5, vcc_lo, s5, v10
	v_add_co_ci_u32_e64 v14, null, s6, v11, vcc_lo
	v_lshlrev_b64 v[2:3], 1, v[12:13]
	v_add_co_u32 v10, vcc_lo, v5, v0
	v_add_co_ci_u32_e64 v11, null, v14, v1, vcc_lo
	v_add_co_u32 v12, vcc_lo, s2, v2
	global_load_ushort v15, v[10:11], off
	v_add_co_ci_u32_e64 v13, null, s3, v3, vcc_lo
	v_add_co_u32 v2, vcc_lo, v12, v0
	s_lshl_b64 s[2:3], s[14:15], 5
	v_add_co_ci_u32_e64 v3, null, v13, v1, vcc_lo
	v_add_co_u32 v5, vcc_lo, v5, s2
	s_waitcnt vmcnt(0)
	v_cvt_f32_f16_e32 v4, v15
	v_mul_f32_e32 v4, s9, v4
	v_fma_mixlo_f16 v4, s4, v9, v4
	v_add_co_ci_u32_e64 v9, null, s3, v14, vcc_lo
	global_store_short v[2:3], v4, off
	global_load_ushort v4, v[10:11], off offset:32
	s_waitcnt vmcnt(0)
	v_cvt_f32_f16_e32 v4, v4
	v_mul_f32_e32 v4, s9, v4
	v_fma_mixlo_f16 v8, s4, v8, v4
	v_add_co_u32 v4, vcc_lo, v5, v0
	v_add_co_ci_u32_e64 v5, null, v9, v1, vcc_lo
	global_store_short v[2:3], v8, off offset:32
	v_add_co_u32 v3, vcc_lo, v12, s0
	global_load_ushort v2, v[4:5], off
	v_add_co_ci_u32_e64 v8, null, s1, v13, vcc_lo
	v_add_co_u32 v0, vcc_lo, v3, v0
	v_add_co_ci_u32_e64 v1, null, v8, v1, vcc_lo
	s_waitcnt vmcnt(0)
	v_cvt_f32_f16_e32 v2, v2
	v_mul_f32_e32 v2, s9, v2
	v_fma_mixlo_f16 v2, s4, v7, v2
	global_store_short v[0:1], v2, off
	global_load_ushort v2, v[4:5], off offset:32
	s_waitcnt vmcnt(0)
	v_cvt_f32_f16_e32 v2, v2
	v_mul_f32_e32 v2, s9, v2
	v_fma_mixlo_f16 v2, s4, v6, v2
	global_store_short v[0:1], v2, off offset:32
.LBB373_6:
	s_endpgm
.LBB373_7:
	s_branch .LBB373_5
	.section	.rodata,"a",@progbits
	.p2align	6, 0x0
	.amdhsa_kernel _ZN12_GLOBAL__N_127rocblas_gemm_batched_kernelIfLi16ELi16ELi32ELi32ELi8ELi32ELi8ELi8ELi32ELc84ELc78EKDF16_S1_DF16_EEvlllT_PT11_llS4_llS2_PT12_llPT13_lli
		.amdhsa_group_segment_fixed_size 2048
		.amdhsa_private_segment_fixed_size 0
		.amdhsa_kernarg_size 140
		.amdhsa_user_sgpr_count 6
		.amdhsa_user_sgpr_private_segment_buffer 1
		.amdhsa_user_sgpr_dispatch_ptr 0
		.amdhsa_user_sgpr_queue_ptr 0
		.amdhsa_user_sgpr_kernarg_segment_ptr 1
		.amdhsa_user_sgpr_dispatch_id 0
		.amdhsa_user_sgpr_flat_scratch_init 0
		.amdhsa_user_sgpr_private_segment_size 0
		.amdhsa_wavefront_size32 1
		.amdhsa_uses_dynamic_stack 0
		.amdhsa_system_sgpr_private_segment_wavefront_offset 0
		.amdhsa_system_sgpr_workgroup_id_x 1
		.amdhsa_system_sgpr_workgroup_id_y 1
		.amdhsa_system_sgpr_workgroup_id_z 1
		.amdhsa_system_sgpr_workgroup_info 0
		.amdhsa_system_vgpr_workitem_id 1
		.amdhsa_next_free_vgpr 46
		.amdhsa_next_free_sgpr 22
		.amdhsa_reserve_vcc 1
		.amdhsa_reserve_flat_scratch 0
		.amdhsa_float_round_mode_32 0
		.amdhsa_float_round_mode_16_64 0
		.amdhsa_float_denorm_mode_32 3
		.amdhsa_float_denorm_mode_16_64 3
		.amdhsa_dx10_clamp 1
		.amdhsa_ieee_mode 1
		.amdhsa_fp16_overflow 0
		.amdhsa_workgroup_processor_mode 1
		.amdhsa_memory_ordered 1
		.amdhsa_forward_progress 1
		.amdhsa_shared_vgpr_count 0
		.amdhsa_exception_fp_ieee_invalid_op 0
		.amdhsa_exception_fp_denorm_src 0
		.amdhsa_exception_fp_ieee_div_zero 0
		.amdhsa_exception_fp_ieee_overflow 0
		.amdhsa_exception_fp_ieee_underflow 0
		.amdhsa_exception_fp_ieee_inexact 0
		.amdhsa_exception_int_div_zero 0
	.end_amdhsa_kernel
	.section	.text._ZN12_GLOBAL__N_127rocblas_gemm_batched_kernelIfLi16ELi16ELi32ELi32ELi8ELi32ELi8ELi8ELi32ELc84ELc78EKDF16_S1_DF16_EEvlllT_PT11_llS4_llS2_PT12_llPT13_lli,"axG",@progbits,_ZN12_GLOBAL__N_127rocblas_gemm_batched_kernelIfLi16ELi16ELi32ELi32ELi8ELi32ELi8ELi8ELi32ELc84ELc78EKDF16_S1_DF16_EEvlllT_PT11_llS4_llS2_PT12_llPT13_lli,comdat
.Lfunc_end373:
	.size	_ZN12_GLOBAL__N_127rocblas_gemm_batched_kernelIfLi16ELi16ELi32ELi32ELi8ELi32ELi8ELi8ELi32ELc84ELc78EKDF16_S1_DF16_EEvlllT_PT11_llS4_llS2_PT12_llPT13_lli, .Lfunc_end373-_ZN12_GLOBAL__N_127rocblas_gemm_batched_kernelIfLi16ELi16ELi32ELi32ELi8ELi32ELi8ELi8ELi32ELc84ELc78EKDF16_S1_DF16_EEvlllT_PT11_llS4_llS2_PT12_llPT13_lli
                                        ; -- End function
	.set _ZN12_GLOBAL__N_127rocblas_gemm_batched_kernelIfLi16ELi16ELi32ELi32ELi8ELi32ELi8ELi8ELi32ELc84ELc78EKDF16_S1_DF16_EEvlllT_PT11_llS4_llS2_PT12_llPT13_lli.num_vgpr, 46
	.set _ZN12_GLOBAL__N_127rocblas_gemm_batched_kernelIfLi16ELi16ELi32ELi32ELi8ELi32ELi8ELi8ELi32ELc84ELc78EKDF16_S1_DF16_EEvlllT_PT11_llS4_llS2_PT12_llPT13_lli.num_agpr, 0
	.set _ZN12_GLOBAL__N_127rocblas_gemm_batched_kernelIfLi16ELi16ELi32ELi32ELi8ELi32ELi8ELi8ELi32ELc84ELc78EKDF16_S1_DF16_EEvlllT_PT11_llS4_llS2_PT12_llPT13_lli.numbered_sgpr, 22
	.set _ZN12_GLOBAL__N_127rocblas_gemm_batched_kernelIfLi16ELi16ELi32ELi32ELi8ELi32ELi8ELi8ELi32ELc84ELc78EKDF16_S1_DF16_EEvlllT_PT11_llS4_llS2_PT12_llPT13_lli.num_named_barrier, 0
	.set _ZN12_GLOBAL__N_127rocblas_gemm_batched_kernelIfLi16ELi16ELi32ELi32ELi8ELi32ELi8ELi8ELi32ELc84ELc78EKDF16_S1_DF16_EEvlllT_PT11_llS4_llS2_PT12_llPT13_lli.private_seg_size, 0
	.set _ZN12_GLOBAL__N_127rocblas_gemm_batched_kernelIfLi16ELi16ELi32ELi32ELi8ELi32ELi8ELi8ELi32ELc84ELc78EKDF16_S1_DF16_EEvlllT_PT11_llS4_llS2_PT12_llPT13_lli.uses_vcc, 1
	.set _ZN12_GLOBAL__N_127rocblas_gemm_batched_kernelIfLi16ELi16ELi32ELi32ELi8ELi32ELi8ELi8ELi32ELc84ELc78EKDF16_S1_DF16_EEvlllT_PT11_llS4_llS2_PT12_llPT13_lli.uses_flat_scratch, 0
	.set _ZN12_GLOBAL__N_127rocblas_gemm_batched_kernelIfLi16ELi16ELi32ELi32ELi8ELi32ELi8ELi8ELi32ELc84ELc78EKDF16_S1_DF16_EEvlllT_PT11_llS4_llS2_PT12_llPT13_lli.has_dyn_sized_stack, 0
	.set _ZN12_GLOBAL__N_127rocblas_gemm_batched_kernelIfLi16ELi16ELi32ELi32ELi8ELi32ELi8ELi8ELi32ELc84ELc78EKDF16_S1_DF16_EEvlllT_PT11_llS4_llS2_PT12_llPT13_lli.has_recursion, 0
	.set _ZN12_GLOBAL__N_127rocblas_gemm_batched_kernelIfLi16ELi16ELi32ELi32ELi8ELi32ELi8ELi8ELi32ELc84ELc78EKDF16_S1_DF16_EEvlllT_PT11_llS4_llS2_PT12_llPT13_lli.has_indirect_call, 0
	.section	.AMDGPU.csdata,"",@progbits
; Kernel info:
; codeLenInByte = 1480
; TotalNumSgprs: 24
; NumVgprs: 46
; ScratchSize: 0
; MemoryBound: 0
; FloatMode: 240
; IeeeMode: 1
; LDSByteSize: 2048 bytes/workgroup (compile time only)
; SGPRBlocks: 0
; VGPRBlocks: 5
; NumSGPRsForWavesPerEU: 24
; NumVGPRsForWavesPerEU: 46
; Occupancy: 16
; WaveLimiterHint : 0
; COMPUTE_PGM_RSRC2:SCRATCH_EN: 0
; COMPUTE_PGM_RSRC2:USER_SGPR: 6
; COMPUTE_PGM_RSRC2:TRAP_HANDLER: 0
; COMPUTE_PGM_RSRC2:TGID_X_EN: 1
; COMPUTE_PGM_RSRC2:TGID_Y_EN: 1
; COMPUTE_PGM_RSRC2:TGID_Z_EN: 1
; COMPUTE_PGM_RSRC2:TIDIG_COMP_CNT: 1
	.section	.text._ZN12_GLOBAL__N_127rocblas_gemm_batched_kernelIfLi16ELi16ELi32ELi32ELi8ELi32ELi8ELi8ELi32ELc78ELc84EKDF16_S1_DF16_EEvlllT_PT11_llS4_llS2_PT12_llPT13_lli,"axG",@progbits,_ZN12_GLOBAL__N_127rocblas_gemm_batched_kernelIfLi16ELi16ELi32ELi32ELi8ELi32ELi8ELi8ELi32ELc78ELc84EKDF16_S1_DF16_EEvlllT_PT11_llS4_llS2_PT12_llPT13_lli,comdat
	.globl	_ZN12_GLOBAL__N_127rocblas_gemm_batched_kernelIfLi16ELi16ELi32ELi32ELi8ELi32ELi8ELi8ELi32ELc78ELc84EKDF16_S1_DF16_EEvlllT_PT11_llS4_llS2_PT12_llPT13_lli ; -- Begin function _ZN12_GLOBAL__N_127rocblas_gemm_batched_kernelIfLi16ELi16ELi32ELi32ELi8ELi32ELi8ELi8ELi32ELc78ELc84EKDF16_S1_DF16_EEvlllT_PT11_llS4_llS2_PT12_llPT13_lli
	.p2align	8
	.type	_ZN12_GLOBAL__N_127rocblas_gemm_batched_kernelIfLi16ELi16ELi32ELi32ELi8ELi32ELi8ELi8ELi32ELc78ELc84EKDF16_S1_DF16_EEvlllT_PT11_llS4_llS2_PT12_llPT13_lli,@function
_ZN12_GLOBAL__N_127rocblas_gemm_batched_kernelIfLi16ELi16ELi32ELi32ELi8ELi32ELi8ELi8ELi32ELc78ELc84EKDF16_S1_DF16_EEvlllT_PT11_llS4_llS2_PT12_llPT13_lli: ; @_ZN12_GLOBAL__N_127rocblas_gemm_batched_kernelIfLi16ELi16ELi32ELi32ELi8ELi32ELi8ELi8ELi32ELc78ELc84EKDF16_S1_DF16_EEvlllT_PT11_llS4_llS2_PT12_llPT13_lli
; %bb.0:
	s_load_dwordx2 s[20:21], s[4:5], 0x10
	s_mov_b32 s0, s7
	v_mov_b32_e32 v9, 0
	v_mov_b32_e32 v8, 0
	;; [unrolled: 1-line block ×4, first 2 shown]
	s_ashr_i32 s7, s6, 31
	s_ashr_i32 s1, s0, 31
	s_lshl_b64 s[6:7], s[6:7], 5
	s_lshl_b64 s[10:11], s[0:1], 5
	s_waitcnt lgkmcnt(0)
	v_cmp_lt_i64_e64 s2, s[20:21], 1
	s_and_b32 vcc_lo, exec_lo, s2
	s_cbranch_vccnz .LBB374_3
; %bb.1:
	s_clause 0x1
	s_load_dwordx4 s[0:3], s[4:5], 0x40
	s_load_dwordx8 s[12:19], s[4:5], 0x20
	v_lshl_add_u32 v3, v1, 4, v0
	v_and_b32_e32 v8, 7, v0
	v_lshlrev_b32_e32 v10, 2, v0
	v_lshl_add_u32 v11, v1, 5, 0x400
	v_lshrrev_b32_e32 v2, 3, v3
	v_and_b32_e32 v14, 31, v3
	v_lshlrev_b32_e32 v4, 2, v8
	v_lshrrev_b32_e32 v9, 5, v3
	v_mov_b32_e32 v3, 0
	v_lshlrev_b32_e32 v5, 2, v14
	v_lshl_or_b32 v4, v2, 5, v4
	v_lshl_or_b32 v12, v9, 7, v5
	v_add_nc_u32_e32 v13, 0x400, v4
	s_waitcnt lgkmcnt(0)
	v_mad_u64_u32 v[4:5], null, s0, v8, v[2:3]
	v_mad_u64_u32 v[6:7], null, s14, v9, s[6:7]
	s_mul_i32 s3, s3, s8
	s_mul_hi_u32 s9, s2, s8
	s_mul_i32 s2, s2, s8
	s_add_i32 s3, s9, s3
	v_mov_b32_e32 v2, v5
	v_add_co_u32 v4, vcc_lo, v4, s10
	v_mov_b32_e32 v5, v7
	s_lshl_b64 s[2:3], s[2:3], 1
	v_mad_u64_u32 v[7:8], null, s1, v8, v[2:3]
	s_mul_i32 s17, s17, s8
	v_mad_u64_u32 v[8:9], null, s15, v9, v[5:6]
	s_mul_hi_u32 s9, s16, s8
	s_add_u32 s18, s18, s2
	s_mul_i32 s16, s16, s8
	v_add_co_ci_u32_e64 v5, null, s11, v7, vcc_lo
	v_add_co_u32 v6, vcc_lo, v6, v14
	v_add_co_ci_u32_e64 v7, null, 0, v8, vcc_lo
	v_lshlrev_b64 v[4:5], 1, v[4:5]
	s_addc_u32 s19, s19, s3
	s_add_i32 s17, s9, s17
	v_lshlrev_b64 v[6:7], 1, v[6:7]
	s_lshl_b64 s[2:3], s[16:17], 1
	s_lshl_b64 s[0:1], s[0:1], 4
	s_add_u32 s2, s12, s2
	v_add_co_u32 v4, vcc_lo, s18, v4
	v_add_co_ci_u32_e64 v5, null, s19, v5, vcc_lo
	s_addc_u32 s3, s13, s3
	v_add_co_u32 v6, vcc_lo, s2, v6
	v_add_co_ci_u32_e64 v7, null, s3, v7, vcc_lo
	v_mov_b32_e32 v2, v3
	v_mov_b32_e32 v8, v3
	;; [unrolled: 1-line block ×3, first 2 shown]
	s_lshl_b64 s[2:3], s[14:15], 4
	s_mov_b64 s[12:13], 0
.LBB374_2:                              ; =>This Inner Loop Header: Depth=1
	global_load_ushort v14, v[6:7], off
	global_load_ushort v15, v[4:5], off
	s_add_u32 s12, s12, 8
	s_addc_u32 s13, s13, 0
	v_add_co_u32 v4, vcc_lo, v4, s0
	v_cmp_lt_i64_e64 s9, s[12:13], s[20:21]
	v_add_co_ci_u32_e64 v5, null, s1, v5, vcc_lo
	v_add_co_u32 v6, vcc_lo, v6, s2
	v_add_co_ci_u32_e64 v7, null, s3, v7, vcc_lo
	s_and_b32 vcc_lo, exec_lo, s9
	s_waitcnt vmcnt(1)
	v_cvt_f32_f16_e32 v14, v14
	s_waitcnt vmcnt(0)
	v_cvt_f32_f16_e32 v15, v15
	ds_write_b32 v12, v14
	ds_write_b32 v13, v15
	s_waitcnt lgkmcnt(0)
	s_barrier
	buffer_gl0_inv
	ds_read_b128 v[14:17], v11
	ds_read2_b32 v[30:31], v10 offset1:16
	ds_read_b128 v[18:21], v11 offset:512
	ds_read2_b32 v[32:33], v10 offset0:32 offset1:48
	ds_read2_b32 v[34:35], v10 offset0:64 offset1:80
	ds_read_b128 v[22:25], v11 offset:16
	ds_read2_b32 v[36:37], v10 offset0:96 offset1:112
	ds_read2_b32 v[38:39], v10 offset0:128 offset1:144
	;; [unrolled: 3-line block ×3, first 2 shown]
	ds_read2_b32 v[44:45], v10 offset0:224 offset1:240
	s_waitcnt lgkmcnt(0)
	s_barrier
	buffer_gl0_inv
	v_fmac_f32_e32 v9, v30, v14
	v_fmac_f32_e32 v8, v31, v14
	;; [unrolled: 1-line block ×32, first 2 shown]
	s_cbranch_vccnz .LBB374_2
.LBB374_3:
	s_clause 0x3
	s_load_dwordx4 s[0:3], s[4:5], 0x78
	s_load_dword s9, s[4:5], 0x50
	s_load_dwordx8 s[12:19], s[4:5], 0x58
	s_load_dword s4, s[4:5], 0x18
	v_add_co_u32 v5, s5, s6, v0
	v_add_co_ci_u32_e64 v6, null, s7, 0, s5
	v_add_co_u32 v4, s5, s10, v1
	v_add_co_ci_u32_e64 v7, null, s11, 0, s5
	v_lshlrev_b64 v[0:1], 1, v[5:6]
	s_waitcnt lgkmcnt(0)
	s_mul_i32 s3, s3, s8
	s_mul_hi_u32 s5, s2, s8
	v_mul_lo_u32 v5, v7, s0
	v_mul_lo_u32 v6, v4, s1
	s_mul_i32 s2, s2, s8
	v_cmp_neq_f32_e64 s6, s9, 0
	s_add_i32 s3, s5, s3
	s_mov_b32 s5, 0
	s_lshl_b64 s[2:3], s[2:3], 1
	s_add_u32 s2, s18, s2
	s_addc_u32 s3, s19, s3
	s_and_b32 vcc_lo, exec_lo, s6
	s_cbranch_vccnz .LBB374_7
; %bb.4:
	v_mad_u64_u32 v[10:11], null, v4, s0, 0
	s_lshl_b64 s[6:7], s[0:1], 5
	v_fma_mixlo_f16 v14, s4, v9, 0
	v_fma_mixlo_f16 v15, s4, v8, 0
	;; [unrolled: 1-line block ×4, first 2 shown]
	v_add3_u32 v11, v11, v6, v5
	v_lshlrev_b64 v[10:11], 1, v[10:11]
	v_add_co_u32 v10, vcc_lo, s2, v10
	v_add_co_ci_u32_e64 v11, null, s3, v11, vcc_lo
	v_add_co_u32 v12, vcc_lo, v10, s6
	v_add_co_ci_u32_e64 v13, null, s7, v11, vcc_lo
	;; [unrolled: 2-line block ×4, first 2 shown]
	global_store_short v[10:11], v14, off
	global_store_short v[10:11], v15, off offset:32
	global_store_short v[12:13], v16, off
	global_store_short v[12:13], v17, off offset:32
	s_andn2_b32 vcc_lo, exec_lo, s5
	s_cbranch_vccnz .LBB374_6
.LBB374_5:
	v_mul_lo_u32 v7, v7, s14
	v_mul_lo_u32 v12, v4, s15
	v_mad_u64_u32 v[10:11], null, v4, s14, 0
	s_mul_i32 s5, s17, s8
	s_mul_hi_u32 s7, s16, s8
	s_mul_i32 s6, s16, s8
	s_add_i32 s7, s7, s5
	s_lshl_b64 s[6:7], s[6:7], 1
	v_add3_u32 v11, v11, v12, v7
	s_add_u32 s5, s12, s6
	s_addc_u32 s6, s13, s7
	v_mad_u64_u32 v[12:13], null, v4, s0, 0
	v_lshlrev_b64 v[10:11], 1, v[10:11]
	s_lshl_b64 s[0:1], s[0:1], 5
	v_add3_u32 v13, v13, v6, v5
	v_add_co_u32 v7, vcc_lo, s5, v10
	v_add_co_ci_u32_e64 v14, null, s6, v11, vcc_lo
	v_lshlrev_b64 v[4:5], 1, v[12:13]
	v_add_co_u32 v10, vcc_lo, v7, v0
	v_add_co_ci_u32_e64 v11, null, v14, v1, vcc_lo
	v_add_co_u32 v12, vcc_lo, s2, v4
	global_load_ushort v15, v[10:11], off
	v_add_co_ci_u32_e64 v13, null, s3, v5, vcc_lo
	v_add_co_u32 v4, vcc_lo, v12, v0
	s_lshl_b64 s[2:3], s[14:15], 5
	v_add_co_ci_u32_e64 v5, null, v13, v1, vcc_lo
	v_add_co_u32 v7, vcc_lo, v7, s2
	s_waitcnt vmcnt(0)
	v_cvt_f32_f16_e32 v6, v15
	v_mul_f32_e32 v6, s9, v6
	v_fma_mixlo_f16 v6, s4, v9, v6
	v_add_co_ci_u32_e64 v9, null, s3, v14, vcc_lo
	global_store_short v[4:5], v6, off
	global_load_ushort v6, v[10:11], off offset:32
	s_waitcnt vmcnt(0)
	v_cvt_f32_f16_e32 v6, v6
	v_mul_f32_e32 v6, s9, v6
	v_fma_mixlo_f16 v8, s4, v8, v6
	v_add_co_u32 v6, vcc_lo, v7, v0
	v_add_co_ci_u32_e64 v7, null, v9, v1, vcc_lo
	global_store_short v[4:5], v8, off offset:32
	v_add_co_u32 v5, vcc_lo, v12, s0
	global_load_ushort v4, v[6:7], off
	v_add_co_ci_u32_e64 v8, null, s1, v13, vcc_lo
	v_add_co_u32 v0, vcc_lo, v5, v0
	v_add_co_ci_u32_e64 v1, null, v8, v1, vcc_lo
	s_waitcnt vmcnt(0)
	v_cvt_f32_f16_e32 v4, v4
	v_mul_f32_e32 v4, s9, v4
	v_fma_mixlo_f16 v2, s4, v2, v4
	global_store_short v[0:1], v2, off
	global_load_ushort v2, v[6:7], off offset:32
	s_waitcnt vmcnt(0)
	v_cvt_f32_f16_e32 v2, v2
	v_mul_f32_e32 v2, s9, v2
	v_fma_mixlo_f16 v2, s4, v3, v2
	global_store_short v[0:1], v2, off offset:32
.LBB374_6:
	s_endpgm
.LBB374_7:
	s_branch .LBB374_5
	.section	.rodata,"a",@progbits
	.p2align	6, 0x0
	.amdhsa_kernel _ZN12_GLOBAL__N_127rocblas_gemm_batched_kernelIfLi16ELi16ELi32ELi32ELi8ELi32ELi8ELi8ELi32ELc78ELc84EKDF16_S1_DF16_EEvlllT_PT11_llS4_llS2_PT12_llPT13_lli
		.amdhsa_group_segment_fixed_size 2048
		.amdhsa_private_segment_fixed_size 0
		.amdhsa_kernarg_size 140
		.amdhsa_user_sgpr_count 6
		.amdhsa_user_sgpr_private_segment_buffer 1
		.amdhsa_user_sgpr_dispatch_ptr 0
		.amdhsa_user_sgpr_queue_ptr 0
		.amdhsa_user_sgpr_kernarg_segment_ptr 1
		.amdhsa_user_sgpr_dispatch_id 0
		.amdhsa_user_sgpr_flat_scratch_init 0
		.amdhsa_user_sgpr_private_segment_size 0
		.amdhsa_wavefront_size32 1
		.amdhsa_uses_dynamic_stack 0
		.amdhsa_system_sgpr_private_segment_wavefront_offset 0
		.amdhsa_system_sgpr_workgroup_id_x 1
		.amdhsa_system_sgpr_workgroup_id_y 1
		.amdhsa_system_sgpr_workgroup_id_z 1
		.amdhsa_system_sgpr_workgroup_info 0
		.amdhsa_system_vgpr_workitem_id 1
		.amdhsa_next_free_vgpr 46
		.amdhsa_next_free_sgpr 22
		.amdhsa_reserve_vcc 1
		.amdhsa_reserve_flat_scratch 0
		.amdhsa_float_round_mode_32 0
		.amdhsa_float_round_mode_16_64 0
		.amdhsa_float_denorm_mode_32 3
		.amdhsa_float_denorm_mode_16_64 3
		.amdhsa_dx10_clamp 1
		.amdhsa_ieee_mode 1
		.amdhsa_fp16_overflow 0
		.amdhsa_workgroup_processor_mode 1
		.amdhsa_memory_ordered 1
		.amdhsa_forward_progress 1
		.amdhsa_shared_vgpr_count 0
		.amdhsa_exception_fp_ieee_invalid_op 0
		.amdhsa_exception_fp_denorm_src 0
		.amdhsa_exception_fp_ieee_div_zero 0
		.amdhsa_exception_fp_ieee_overflow 0
		.amdhsa_exception_fp_ieee_underflow 0
		.amdhsa_exception_fp_ieee_inexact 0
		.amdhsa_exception_int_div_zero 0
	.end_amdhsa_kernel
	.section	.text._ZN12_GLOBAL__N_127rocblas_gemm_batched_kernelIfLi16ELi16ELi32ELi32ELi8ELi32ELi8ELi8ELi32ELc78ELc84EKDF16_S1_DF16_EEvlllT_PT11_llS4_llS2_PT12_llPT13_lli,"axG",@progbits,_ZN12_GLOBAL__N_127rocblas_gemm_batched_kernelIfLi16ELi16ELi32ELi32ELi8ELi32ELi8ELi8ELi32ELc78ELc84EKDF16_S1_DF16_EEvlllT_PT11_llS4_llS2_PT12_llPT13_lli,comdat
.Lfunc_end374:
	.size	_ZN12_GLOBAL__N_127rocblas_gemm_batched_kernelIfLi16ELi16ELi32ELi32ELi8ELi32ELi8ELi8ELi32ELc78ELc84EKDF16_S1_DF16_EEvlllT_PT11_llS4_llS2_PT12_llPT13_lli, .Lfunc_end374-_ZN12_GLOBAL__N_127rocblas_gemm_batched_kernelIfLi16ELi16ELi32ELi32ELi8ELi32ELi8ELi8ELi32ELc78ELc84EKDF16_S1_DF16_EEvlllT_PT11_llS4_llS2_PT12_llPT13_lli
                                        ; -- End function
	.set _ZN12_GLOBAL__N_127rocblas_gemm_batched_kernelIfLi16ELi16ELi32ELi32ELi8ELi32ELi8ELi8ELi32ELc78ELc84EKDF16_S1_DF16_EEvlllT_PT11_llS4_llS2_PT12_llPT13_lli.num_vgpr, 46
	.set _ZN12_GLOBAL__N_127rocblas_gemm_batched_kernelIfLi16ELi16ELi32ELi32ELi8ELi32ELi8ELi8ELi32ELc78ELc84EKDF16_S1_DF16_EEvlllT_PT11_llS4_llS2_PT12_llPT13_lli.num_agpr, 0
	.set _ZN12_GLOBAL__N_127rocblas_gemm_batched_kernelIfLi16ELi16ELi32ELi32ELi8ELi32ELi8ELi8ELi32ELc78ELc84EKDF16_S1_DF16_EEvlllT_PT11_llS4_llS2_PT12_llPT13_lli.numbered_sgpr, 22
	.set _ZN12_GLOBAL__N_127rocblas_gemm_batched_kernelIfLi16ELi16ELi32ELi32ELi8ELi32ELi8ELi8ELi32ELc78ELc84EKDF16_S1_DF16_EEvlllT_PT11_llS4_llS2_PT12_llPT13_lli.num_named_barrier, 0
	.set _ZN12_GLOBAL__N_127rocblas_gemm_batched_kernelIfLi16ELi16ELi32ELi32ELi8ELi32ELi8ELi8ELi32ELc78ELc84EKDF16_S1_DF16_EEvlllT_PT11_llS4_llS2_PT12_llPT13_lli.private_seg_size, 0
	.set _ZN12_GLOBAL__N_127rocblas_gemm_batched_kernelIfLi16ELi16ELi32ELi32ELi8ELi32ELi8ELi8ELi32ELc78ELc84EKDF16_S1_DF16_EEvlllT_PT11_llS4_llS2_PT12_llPT13_lli.uses_vcc, 1
	.set _ZN12_GLOBAL__N_127rocblas_gemm_batched_kernelIfLi16ELi16ELi32ELi32ELi8ELi32ELi8ELi8ELi32ELc78ELc84EKDF16_S1_DF16_EEvlllT_PT11_llS4_llS2_PT12_llPT13_lli.uses_flat_scratch, 0
	.set _ZN12_GLOBAL__N_127rocblas_gemm_batched_kernelIfLi16ELi16ELi32ELi32ELi8ELi32ELi8ELi8ELi32ELc78ELc84EKDF16_S1_DF16_EEvlllT_PT11_llS4_llS2_PT12_llPT13_lli.has_dyn_sized_stack, 0
	.set _ZN12_GLOBAL__N_127rocblas_gemm_batched_kernelIfLi16ELi16ELi32ELi32ELi8ELi32ELi8ELi8ELi32ELc78ELc84EKDF16_S1_DF16_EEvlllT_PT11_llS4_llS2_PT12_llPT13_lli.has_recursion, 0
	.set _ZN12_GLOBAL__N_127rocblas_gemm_batched_kernelIfLi16ELi16ELi32ELi32ELi8ELi32ELi8ELi8ELi32ELc78ELc84EKDF16_S1_DF16_EEvlllT_PT11_llS4_llS2_PT12_llPT13_lli.has_indirect_call, 0
	.section	.AMDGPU.csdata,"",@progbits
; Kernel info:
; codeLenInByte = 1412
; TotalNumSgprs: 24
; NumVgprs: 46
; ScratchSize: 0
; MemoryBound: 0
; FloatMode: 240
; IeeeMode: 1
; LDSByteSize: 2048 bytes/workgroup (compile time only)
; SGPRBlocks: 0
; VGPRBlocks: 5
; NumSGPRsForWavesPerEU: 24
; NumVGPRsForWavesPerEU: 46
; Occupancy: 16
; WaveLimiterHint : 0
; COMPUTE_PGM_RSRC2:SCRATCH_EN: 0
; COMPUTE_PGM_RSRC2:USER_SGPR: 6
; COMPUTE_PGM_RSRC2:TRAP_HANDLER: 0
; COMPUTE_PGM_RSRC2:TGID_X_EN: 1
; COMPUTE_PGM_RSRC2:TGID_Y_EN: 1
; COMPUTE_PGM_RSRC2:TGID_Z_EN: 1
; COMPUTE_PGM_RSRC2:TIDIG_COMP_CNT: 1
	.section	.text._ZN12_GLOBAL__N_127rocblas_gemm_batched_kernelIfLi16ELi16ELi32ELi32ELi8ELi32ELi8ELi8ELi32ELc84ELc84EKDF16_S1_DF16_EEvlllT_PT11_llS4_llS2_PT12_llPT13_lli,"axG",@progbits,_ZN12_GLOBAL__N_127rocblas_gemm_batched_kernelIfLi16ELi16ELi32ELi32ELi8ELi32ELi8ELi8ELi32ELc84ELc84EKDF16_S1_DF16_EEvlllT_PT11_llS4_llS2_PT12_llPT13_lli,comdat
	.globl	_ZN12_GLOBAL__N_127rocblas_gemm_batched_kernelIfLi16ELi16ELi32ELi32ELi8ELi32ELi8ELi8ELi32ELc84ELc84EKDF16_S1_DF16_EEvlllT_PT11_llS4_llS2_PT12_llPT13_lli ; -- Begin function _ZN12_GLOBAL__N_127rocblas_gemm_batched_kernelIfLi16ELi16ELi32ELi32ELi8ELi32ELi8ELi8ELi32ELc84ELc84EKDF16_S1_DF16_EEvlllT_PT11_llS4_llS2_PT12_llPT13_lli
	.p2align	8
	.type	_ZN12_GLOBAL__N_127rocblas_gemm_batched_kernelIfLi16ELi16ELi32ELi32ELi8ELi32ELi8ELi8ELi32ELc84ELc84EKDF16_S1_DF16_EEvlllT_PT11_llS4_llS2_PT12_llPT13_lli,@function
_ZN12_GLOBAL__N_127rocblas_gemm_batched_kernelIfLi16ELi16ELi32ELi32ELi8ELi32ELi8ELi8ELi32ELc84ELc84EKDF16_S1_DF16_EEvlllT_PT11_llS4_llS2_PT12_llPT13_lli: ; @_ZN12_GLOBAL__N_127rocblas_gemm_batched_kernelIfLi16ELi16ELi32ELi32ELi8ELi32ELi8ELi8ELi32ELc84ELc84EKDF16_S1_DF16_EEvlllT_PT11_llS4_llS2_PT12_llPT13_lli
; %bb.0:
	s_load_dwordx2 s[20:21], s[4:5], 0x10
	s_mov_b32 s0, s7
	v_mov_b32_e32 v9, 0
	v_mov_b32_e32 v8, 0
	;; [unrolled: 1-line block ×4, first 2 shown]
	s_ashr_i32 s7, s6, 31
	s_ashr_i32 s1, s0, 31
	s_lshl_b64 s[6:7], s[6:7], 5
	s_lshl_b64 s[10:11], s[0:1], 5
	s_waitcnt lgkmcnt(0)
	v_cmp_lt_i64_e64 s2, s[20:21], 1
	s_and_b32 vcc_lo, exec_lo, s2
	s_cbranch_vccnz .LBB375_3
; %bb.1:
	s_clause 0x1
	s_load_dwordx8 s[12:19], s[4:5], 0x20
	s_load_dwordx4 s[0:3], s[4:5], 0x40
	v_lshl_add_u32 v4, v1, 4, v0
	v_and_b32_e32 v8, 7, v0
	v_mov_b32_e32 v3, 0
	v_lshlrev_b32_e32 v10, 2, v0
	v_lshl_add_u32 v11, v1, 5, 0x400
	v_and_b32_e32 v5, 31, v4
	v_lshrrev_b32_e32 v2, 3, v4
	v_lshlrev_b32_e32 v6, 2, v8
	v_lshrrev_b32_e32 v14, 5, v4
	v_lshlrev_b32_e32 v4, 2, v5
	v_lshl_or_b32 v9, v2, 5, v6
	v_add_co_u32 v6, s9, s6, v5
	v_add_co_ci_u32_e64 v7, null, s7, 0, s9
	v_lshl_or_b32 v12, v14, 7, v4
	s_waitcnt lgkmcnt(0)
	v_mul_lo_u32 v15, s15, v6
	v_mad_u64_u32 v[4:5], null, s0, v8, v[2:3]
	v_mul_lo_u32 v16, s14, v7
	v_mad_u64_u32 v[6:7], null, s14, v6, 0
	s_mul_i32 s3, s3, s8
	s_mul_hi_u32 s9, s2, s8
	s_mul_i32 s2, s2, s8
	v_mov_b32_e32 v2, v5
	s_add_i32 s3, s9, s3
	v_add_nc_u32_e32 v13, 0x400, v9
	v_add3_u32 v7, v7, v16, v15
	s_lshl_b64 s[2:3], s[2:3], 1
	v_mad_u64_u32 v[8:9], null, s1, v8, v[2:3]
	s_add_u32 s9, s18, s2
	s_addc_u32 s14, s19, s3
	s_mul_i32 s2, s17, s8
	s_mul_hi_u32 s3, s16, s8
	v_lshlrev_b64 v[5:6], 1, v[6:7]
	v_add_co_u32 v7, vcc_lo, v4, s10
	s_add_i32 s3, s3, s2
	s_mul_i32 s2, s16, s8
	v_add_co_ci_u32_e64 v8, null, s11, v8, vcc_lo
	s_lshl_b64 s[2:3], s[2:3], 1
	v_lshlrev_b32_e32 v2, 1, v14
	v_add_co_u32 v9, vcc_lo, v5, s2
	v_add_co_ci_u32_e64 v6, null, s3, v6, vcc_lo
	v_lshlrev_b64 v[4:5], 1, v[7:8]
	v_add_co_u32 v2, vcc_lo, v9, v2
	v_add_co_ci_u32_e64 v7, null, 0, v6, vcc_lo
	v_mov_b32_e32 v8, v3
	v_add_co_u32 v4, vcc_lo, s9, v4
	v_add_co_ci_u32_e64 v5, null, s14, v5, vcc_lo
	v_add_co_u32 v6, vcc_lo, s12, v2
	v_add_co_ci_u32_e64 v7, null, s13, v7, vcc_lo
	v_mov_b32_e32 v2, v3
	v_mov_b32_e32 v9, v3
	s_lshl_b64 s[0:1], s[0:1], 4
	s_mov_b64 s[2:3], 0
.LBB375_2:                              ; =>This Inner Loop Header: Depth=1
	global_load_ushort v14, v[6:7], off
	global_load_ushort v15, v[4:5], off
	s_add_u32 s2, s2, 8
	s_addc_u32 s3, s3, 0
	v_add_co_u32 v4, vcc_lo, v4, s0
	v_cmp_lt_i64_e64 s9, s[2:3], s[20:21]
	v_add_co_ci_u32_e64 v5, null, s1, v5, vcc_lo
	v_add_co_u32 v6, vcc_lo, v6, 16
	v_add_co_ci_u32_e64 v7, null, 0, v7, vcc_lo
	s_and_b32 vcc_lo, exec_lo, s9
	s_waitcnt vmcnt(1)
	v_cvt_f32_f16_e32 v14, v14
	s_waitcnt vmcnt(0)
	v_cvt_f32_f16_e32 v15, v15
	ds_write_b32 v12, v14
	ds_write_b32 v13, v15
	s_waitcnt lgkmcnt(0)
	s_barrier
	buffer_gl0_inv
	ds_read_b128 v[14:17], v11
	ds_read2_b32 v[30:31], v10 offset1:16
	ds_read_b128 v[18:21], v11 offset:512
	ds_read2_b32 v[32:33], v10 offset0:32 offset1:48
	ds_read2_b32 v[34:35], v10 offset0:64 offset1:80
	ds_read_b128 v[22:25], v11 offset:16
	ds_read2_b32 v[36:37], v10 offset0:96 offset1:112
	ds_read2_b32 v[38:39], v10 offset0:128 offset1:144
	;; [unrolled: 3-line block ×3, first 2 shown]
	ds_read2_b32 v[44:45], v10 offset0:224 offset1:240
	s_waitcnt lgkmcnt(0)
	s_barrier
	buffer_gl0_inv
	v_fmac_f32_e32 v9, v30, v14
	v_fmac_f32_e32 v8, v31, v14
	;; [unrolled: 1-line block ×32, first 2 shown]
	s_cbranch_vccnz .LBB375_2
.LBB375_3:
	s_clause 0x3
	s_load_dwordx4 s[0:3], s[4:5], 0x78
	s_load_dword s9, s[4:5], 0x50
	s_load_dwordx8 s[12:19], s[4:5], 0x58
	s_load_dword s4, s[4:5], 0x18
	v_add_co_u32 v5, s5, s6, v0
	v_add_co_ci_u32_e64 v6, null, s7, 0, s5
	v_add_co_u32 v4, s5, s10, v1
	v_add_co_ci_u32_e64 v7, null, s11, 0, s5
	v_lshlrev_b64 v[0:1], 1, v[5:6]
	s_waitcnt lgkmcnt(0)
	s_mul_i32 s3, s3, s8
	s_mul_hi_u32 s5, s2, s8
	v_mul_lo_u32 v5, v7, s0
	v_mul_lo_u32 v6, v4, s1
	s_mul_i32 s2, s2, s8
	v_cmp_neq_f32_e64 s6, s9, 0
	s_add_i32 s3, s5, s3
	s_mov_b32 s5, 0
	s_lshl_b64 s[2:3], s[2:3], 1
	s_add_u32 s2, s18, s2
	s_addc_u32 s3, s19, s3
	s_and_b32 vcc_lo, exec_lo, s6
	s_cbranch_vccnz .LBB375_7
; %bb.4:
	v_mad_u64_u32 v[10:11], null, v4, s0, 0
	s_lshl_b64 s[6:7], s[0:1], 5
	v_fma_mixlo_f16 v14, s4, v9, 0
	v_fma_mixlo_f16 v15, s4, v8, 0
	;; [unrolled: 1-line block ×4, first 2 shown]
	v_add3_u32 v11, v11, v6, v5
	v_lshlrev_b64 v[10:11], 1, v[10:11]
	v_add_co_u32 v10, vcc_lo, s2, v10
	v_add_co_ci_u32_e64 v11, null, s3, v11, vcc_lo
	v_add_co_u32 v12, vcc_lo, v10, s6
	v_add_co_ci_u32_e64 v13, null, s7, v11, vcc_lo
	;; [unrolled: 2-line block ×4, first 2 shown]
	global_store_short v[10:11], v14, off
	global_store_short v[10:11], v15, off offset:32
	global_store_short v[12:13], v16, off
	global_store_short v[12:13], v17, off offset:32
	s_andn2_b32 vcc_lo, exec_lo, s5
	s_cbranch_vccnz .LBB375_6
.LBB375_5:
	v_mul_lo_u32 v7, v7, s14
	v_mul_lo_u32 v12, v4, s15
	v_mad_u64_u32 v[10:11], null, v4, s14, 0
	s_mul_i32 s5, s17, s8
	s_mul_hi_u32 s7, s16, s8
	s_mul_i32 s6, s16, s8
	s_add_i32 s7, s7, s5
	s_lshl_b64 s[6:7], s[6:7], 1
	v_add3_u32 v11, v11, v12, v7
	s_add_u32 s5, s12, s6
	s_addc_u32 s6, s13, s7
	v_mad_u64_u32 v[12:13], null, v4, s0, 0
	v_lshlrev_b64 v[10:11], 1, v[10:11]
	s_lshl_b64 s[0:1], s[0:1], 5
	v_add3_u32 v13, v13, v6, v5
	v_add_co_u32 v7, vcc_lo, s5, v10
	v_add_co_ci_u32_e64 v14, null, s6, v11, vcc_lo
	v_lshlrev_b64 v[4:5], 1, v[12:13]
	v_add_co_u32 v10, vcc_lo, v7, v0
	v_add_co_ci_u32_e64 v11, null, v14, v1, vcc_lo
	v_add_co_u32 v12, vcc_lo, s2, v4
	global_load_ushort v15, v[10:11], off
	v_add_co_ci_u32_e64 v13, null, s3, v5, vcc_lo
	v_add_co_u32 v4, vcc_lo, v12, v0
	s_lshl_b64 s[2:3], s[14:15], 5
	v_add_co_ci_u32_e64 v5, null, v13, v1, vcc_lo
	v_add_co_u32 v7, vcc_lo, v7, s2
	s_waitcnt vmcnt(0)
	v_cvt_f32_f16_e32 v6, v15
	v_mul_f32_e32 v6, s9, v6
	v_fma_mixlo_f16 v6, s4, v9, v6
	v_add_co_ci_u32_e64 v9, null, s3, v14, vcc_lo
	global_store_short v[4:5], v6, off
	global_load_ushort v6, v[10:11], off offset:32
	s_waitcnt vmcnt(0)
	v_cvt_f32_f16_e32 v6, v6
	v_mul_f32_e32 v6, s9, v6
	v_fma_mixlo_f16 v8, s4, v8, v6
	v_add_co_u32 v6, vcc_lo, v7, v0
	v_add_co_ci_u32_e64 v7, null, v9, v1, vcc_lo
	global_store_short v[4:5], v8, off offset:32
	v_add_co_u32 v5, vcc_lo, v12, s0
	global_load_ushort v4, v[6:7], off
	v_add_co_ci_u32_e64 v8, null, s1, v13, vcc_lo
	v_add_co_u32 v0, vcc_lo, v5, v0
	v_add_co_ci_u32_e64 v1, null, v8, v1, vcc_lo
	s_waitcnt vmcnt(0)
	v_cvt_f32_f16_e32 v4, v4
	v_mul_f32_e32 v4, s9, v4
	v_fma_mixlo_f16 v2, s4, v2, v4
	global_store_short v[0:1], v2, off
	global_load_ushort v2, v[6:7], off offset:32
	s_waitcnt vmcnt(0)
	v_cvt_f32_f16_e32 v2, v2
	v_mul_f32_e32 v2, s9, v2
	v_fma_mixlo_f16 v2, s4, v3, v2
	global_store_short v[0:1], v2, off offset:32
.LBB375_6:
	s_endpgm
.LBB375_7:
	s_branch .LBB375_5
	.section	.rodata,"a",@progbits
	.p2align	6, 0x0
	.amdhsa_kernel _ZN12_GLOBAL__N_127rocblas_gemm_batched_kernelIfLi16ELi16ELi32ELi32ELi8ELi32ELi8ELi8ELi32ELc84ELc84EKDF16_S1_DF16_EEvlllT_PT11_llS4_llS2_PT12_llPT13_lli
		.amdhsa_group_segment_fixed_size 2048
		.amdhsa_private_segment_fixed_size 0
		.amdhsa_kernarg_size 140
		.amdhsa_user_sgpr_count 6
		.amdhsa_user_sgpr_private_segment_buffer 1
		.amdhsa_user_sgpr_dispatch_ptr 0
		.amdhsa_user_sgpr_queue_ptr 0
		.amdhsa_user_sgpr_kernarg_segment_ptr 1
		.amdhsa_user_sgpr_dispatch_id 0
		.amdhsa_user_sgpr_flat_scratch_init 0
		.amdhsa_user_sgpr_private_segment_size 0
		.amdhsa_wavefront_size32 1
		.amdhsa_uses_dynamic_stack 0
		.amdhsa_system_sgpr_private_segment_wavefront_offset 0
		.amdhsa_system_sgpr_workgroup_id_x 1
		.amdhsa_system_sgpr_workgroup_id_y 1
		.amdhsa_system_sgpr_workgroup_id_z 1
		.amdhsa_system_sgpr_workgroup_info 0
		.amdhsa_system_vgpr_workitem_id 1
		.amdhsa_next_free_vgpr 46
		.amdhsa_next_free_sgpr 22
		.amdhsa_reserve_vcc 1
		.amdhsa_reserve_flat_scratch 0
		.amdhsa_float_round_mode_32 0
		.amdhsa_float_round_mode_16_64 0
		.amdhsa_float_denorm_mode_32 3
		.amdhsa_float_denorm_mode_16_64 3
		.amdhsa_dx10_clamp 1
		.amdhsa_ieee_mode 1
		.amdhsa_fp16_overflow 0
		.amdhsa_workgroup_processor_mode 1
		.amdhsa_memory_ordered 1
		.amdhsa_forward_progress 1
		.amdhsa_shared_vgpr_count 0
		.amdhsa_exception_fp_ieee_invalid_op 0
		.amdhsa_exception_fp_denorm_src 0
		.amdhsa_exception_fp_ieee_div_zero 0
		.amdhsa_exception_fp_ieee_overflow 0
		.amdhsa_exception_fp_ieee_underflow 0
		.amdhsa_exception_fp_ieee_inexact 0
		.amdhsa_exception_int_div_zero 0
	.end_amdhsa_kernel
	.section	.text._ZN12_GLOBAL__N_127rocblas_gemm_batched_kernelIfLi16ELi16ELi32ELi32ELi8ELi32ELi8ELi8ELi32ELc84ELc84EKDF16_S1_DF16_EEvlllT_PT11_llS4_llS2_PT12_llPT13_lli,"axG",@progbits,_ZN12_GLOBAL__N_127rocblas_gemm_batched_kernelIfLi16ELi16ELi32ELi32ELi8ELi32ELi8ELi8ELi32ELc84ELc84EKDF16_S1_DF16_EEvlllT_PT11_llS4_llS2_PT12_llPT13_lli,comdat
.Lfunc_end375:
	.size	_ZN12_GLOBAL__N_127rocblas_gemm_batched_kernelIfLi16ELi16ELi32ELi32ELi8ELi32ELi8ELi8ELi32ELc84ELc84EKDF16_S1_DF16_EEvlllT_PT11_llS4_llS2_PT12_llPT13_lli, .Lfunc_end375-_ZN12_GLOBAL__N_127rocblas_gemm_batched_kernelIfLi16ELi16ELi32ELi32ELi8ELi32ELi8ELi8ELi32ELc84ELc84EKDF16_S1_DF16_EEvlllT_PT11_llS4_llS2_PT12_llPT13_lli
                                        ; -- End function
	.set _ZN12_GLOBAL__N_127rocblas_gemm_batched_kernelIfLi16ELi16ELi32ELi32ELi8ELi32ELi8ELi8ELi32ELc84ELc84EKDF16_S1_DF16_EEvlllT_PT11_llS4_llS2_PT12_llPT13_lli.num_vgpr, 46
	.set _ZN12_GLOBAL__N_127rocblas_gemm_batched_kernelIfLi16ELi16ELi32ELi32ELi8ELi32ELi8ELi8ELi32ELc84ELc84EKDF16_S1_DF16_EEvlllT_PT11_llS4_llS2_PT12_llPT13_lli.num_agpr, 0
	.set _ZN12_GLOBAL__N_127rocblas_gemm_batched_kernelIfLi16ELi16ELi32ELi32ELi8ELi32ELi8ELi8ELi32ELc84ELc84EKDF16_S1_DF16_EEvlllT_PT11_llS4_llS2_PT12_llPT13_lli.numbered_sgpr, 22
	.set _ZN12_GLOBAL__N_127rocblas_gemm_batched_kernelIfLi16ELi16ELi32ELi32ELi8ELi32ELi8ELi8ELi32ELc84ELc84EKDF16_S1_DF16_EEvlllT_PT11_llS4_llS2_PT12_llPT13_lli.num_named_barrier, 0
	.set _ZN12_GLOBAL__N_127rocblas_gemm_batched_kernelIfLi16ELi16ELi32ELi32ELi8ELi32ELi8ELi8ELi32ELc84ELc84EKDF16_S1_DF16_EEvlllT_PT11_llS4_llS2_PT12_llPT13_lli.private_seg_size, 0
	.set _ZN12_GLOBAL__N_127rocblas_gemm_batched_kernelIfLi16ELi16ELi32ELi32ELi8ELi32ELi8ELi8ELi32ELc84ELc84EKDF16_S1_DF16_EEvlllT_PT11_llS4_llS2_PT12_llPT13_lli.uses_vcc, 1
	.set _ZN12_GLOBAL__N_127rocblas_gemm_batched_kernelIfLi16ELi16ELi32ELi32ELi8ELi32ELi8ELi8ELi32ELc84ELc84EKDF16_S1_DF16_EEvlllT_PT11_llS4_llS2_PT12_llPT13_lli.uses_flat_scratch, 0
	.set _ZN12_GLOBAL__N_127rocblas_gemm_batched_kernelIfLi16ELi16ELi32ELi32ELi8ELi32ELi8ELi8ELi32ELc84ELc84EKDF16_S1_DF16_EEvlllT_PT11_llS4_llS2_PT12_llPT13_lli.has_dyn_sized_stack, 0
	.set _ZN12_GLOBAL__N_127rocblas_gemm_batched_kernelIfLi16ELi16ELi32ELi32ELi8ELi32ELi8ELi8ELi32ELc84ELc84EKDF16_S1_DF16_EEvlllT_PT11_llS4_llS2_PT12_llPT13_lli.has_recursion, 0
	.set _ZN12_GLOBAL__N_127rocblas_gemm_batched_kernelIfLi16ELi16ELi32ELi32ELi8ELi32ELi8ELi8ELi32ELc84ELc84EKDF16_S1_DF16_EEvlllT_PT11_llS4_llS2_PT12_llPT13_lli.has_indirect_call, 0
	.section	.AMDGPU.csdata,"",@progbits
; Kernel info:
; codeLenInByte = 1448
; TotalNumSgprs: 24
; NumVgprs: 46
; ScratchSize: 0
; MemoryBound: 0
; FloatMode: 240
; IeeeMode: 1
; LDSByteSize: 2048 bytes/workgroup (compile time only)
; SGPRBlocks: 0
; VGPRBlocks: 5
; NumSGPRsForWavesPerEU: 24
; NumVGPRsForWavesPerEU: 46
; Occupancy: 16
; WaveLimiterHint : 0
; COMPUTE_PGM_RSRC2:SCRATCH_EN: 0
; COMPUTE_PGM_RSRC2:USER_SGPR: 6
; COMPUTE_PGM_RSRC2:TRAP_HANDLER: 0
; COMPUTE_PGM_RSRC2:TGID_X_EN: 1
; COMPUTE_PGM_RSRC2:TGID_Y_EN: 1
; COMPUTE_PGM_RSRC2:TGID_Z_EN: 1
; COMPUTE_PGM_RSRC2:TIDIG_COMP_CNT: 1
	.section	.text._ZN12_GLOBAL__N_127rocblas_gemm_batched_kernelIfLi16ELi16ELi32ELi32ELi8ELi32ELi8ELi8ELi32ELc67ELc67EKDF16_S1_DF16_EEvlllT_PT11_llS4_llS2_PT12_llPT13_lli,"axG",@progbits,_ZN12_GLOBAL__N_127rocblas_gemm_batched_kernelIfLi16ELi16ELi32ELi32ELi8ELi32ELi8ELi8ELi32ELc67ELc67EKDF16_S1_DF16_EEvlllT_PT11_llS4_llS2_PT12_llPT13_lli,comdat
	.globl	_ZN12_GLOBAL__N_127rocblas_gemm_batched_kernelIfLi16ELi16ELi32ELi32ELi8ELi32ELi8ELi8ELi32ELc67ELc67EKDF16_S1_DF16_EEvlllT_PT11_llS4_llS2_PT12_llPT13_lli ; -- Begin function _ZN12_GLOBAL__N_127rocblas_gemm_batched_kernelIfLi16ELi16ELi32ELi32ELi8ELi32ELi8ELi8ELi32ELc67ELc67EKDF16_S1_DF16_EEvlllT_PT11_llS4_llS2_PT12_llPT13_lli
	.p2align	8
	.type	_ZN12_GLOBAL__N_127rocblas_gemm_batched_kernelIfLi16ELi16ELi32ELi32ELi8ELi32ELi8ELi8ELi32ELc67ELc67EKDF16_S1_DF16_EEvlllT_PT11_llS4_llS2_PT12_llPT13_lli,@function
_ZN12_GLOBAL__N_127rocblas_gemm_batched_kernelIfLi16ELi16ELi32ELi32ELi8ELi32ELi8ELi8ELi32ELc67ELc67EKDF16_S1_DF16_EEvlllT_PT11_llS4_llS2_PT12_llPT13_lli: ; @_ZN12_GLOBAL__N_127rocblas_gemm_batched_kernelIfLi16ELi16ELi32ELi32ELi8ELi32ELi8ELi8ELi32ELc67ELc67EKDF16_S1_DF16_EEvlllT_PT11_llS4_llS2_PT12_llPT13_lli
; %bb.0:
	s_load_dwordx2 s[20:21], s[4:5], 0x10
	s_mov_b32 s0, s7
	v_mov_b32_e32 v9, 0
	v_mov_b32_e32 v8, 0
	;; [unrolled: 1-line block ×4, first 2 shown]
	s_ashr_i32 s7, s6, 31
	s_ashr_i32 s1, s0, 31
	s_lshl_b64 s[6:7], s[6:7], 5
	s_lshl_b64 s[10:11], s[0:1], 5
	s_waitcnt lgkmcnt(0)
	v_cmp_lt_i64_e64 s2, s[20:21], 1
	s_and_b32 vcc_lo, exec_lo, s2
	s_cbranch_vccnz .LBB376_3
; %bb.1:
	s_clause 0x1
	s_load_dwordx8 s[12:19], s[4:5], 0x20
	s_load_dwordx4 s[0:3], s[4:5], 0x40
	v_lshl_add_u32 v4, v1, 4, v0
	v_and_b32_e32 v8, 7, v0
	v_mov_b32_e32 v3, 0
	v_lshlrev_b32_e32 v10, 2, v0
	v_lshl_add_u32 v11, v1, 5, 0x400
	v_and_b32_e32 v5, 31, v4
	v_lshrrev_b32_e32 v2, 3, v4
	v_lshlrev_b32_e32 v6, 2, v8
	v_lshrrev_b32_e32 v14, 5, v4
	v_lshlrev_b32_e32 v4, 2, v5
	v_lshl_or_b32 v9, v2, 5, v6
	v_add_co_u32 v6, s9, s6, v5
	v_add_co_ci_u32_e64 v7, null, s7, 0, s9
	v_lshl_or_b32 v12, v14, 7, v4
	s_waitcnt lgkmcnt(0)
	v_mul_lo_u32 v15, s15, v6
	v_mad_u64_u32 v[4:5], null, s0, v8, v[2:3]
	v_mul_lo_u32 v16, s14, v7
	v_mad_u64_u32 v[6:7], null, s14, v6, 0
	s_mul_i32 s3, s3, s8
	s_mul_hi_u32 s9, s2, s8
	s_mul_i32 s2, s2, s8
	v_mov_b32_e32 v2, v5
	s_add_i32 s3, s9, s3
	v_add_nc_u32_e32 v13, 0x400, v9
	v_add3_u32 v7, v7, v16, v15
	s_lshl_b64 s[2:3], s[2:3], 1
	v_mad_u64_u32 v[8:9], null, s1, v8, v[2:3]
	s_add_u32 s9, s18, s2
	s_addc_u32 s14, s19, s3
	s_mul_i32 s2, s17, s8
	s_mul_hi_u32 s3, s16, s8
	v_lshlrev_b64 v[5:6], 1, v[6:7]
	v_add_co_u32 v7, vcc_lo, v4, s10
	s_add_i32 s3, s3, s2
	s_mul_i32 s2, s16, s8
	v_add_co_ci_u32_e64 v8, null, s11, v8, vcc_lo
	s_lshl_b64 s[2:3], s[2:3], 1
	v_lshlrev_b32_e32 v2, 1, v14
	v_add_co_u32 v9, vcc_lo, v5, s2
	v_add_co_ci_u32_e64 v6, null, s3, v6, vcc_lo
	v_lshlrev_b64 v[4:5], 1, v[7:8]
	v_add_co_u32 v2, vcc_lo, v9, v2
	v_add_co_ci_u32_e64 v7, null, 0, v6, vcc_lo
	v_mov_b32_e32 v8, v3
	v_add_co_u32 v4, vcc_lo, s9, v4
	v_add_co_ci_u32_e64 v5, null, s14, v5, vcc_lo
	v_add_co_u32 v6, vcc_lo, s12, v2
	v_add_co_ci_u32_e64 v7, null, s13, v7, vcc_lo
	v_mov_b32_e32 v2, v3
	v_mov_b32_e32 v9, v3
	s_lshl_b64 s[0:1], s[0:1], 4
	s_mov_b64 s[2:3], 0
.LBB376_2:                              ; =>This Inner Loop Header: Depth=1
	global_load_ushort v14, v[6:7], off
	global_load_ushort v15, v[4:5], off
	s_add_u32 s2, s2, 8
	s_addc_u32 s3, s3, 0
	v_add_co_u32 v4, vcc_lo, v4, s0
	v_cmp_lt_i64_e64 s9, s[2:3], s[20:21]
	v_add_co_ci_u32_e64 v5, null, s1, v5, vcc_lo
	v_add_co_u32 v6, vcc_lo, v6, 16
	v_add_co_ci_u32_e64 v7, null, 0, v7, vcc_lo
	s_and_b32 vcc_lo, exec_lo, s9
	s_waitcnt vmcnt(1)
	v_cvt_f32_f16_e32 v14, v14
	s_waitcnt vmcnt(0)
	v_cvt_f32_f16_e32 v15, v15
	ds_write_b32 v12, v14
	ds_write_b32 v13, v15
	s_waitcnt lgkmcnt(0)
	s_barrier
	buffer_gl0_inv
	ds_read_b128 v[14:17], v11
	ds_read2_b32 v[30:31], v10 offset1:16
	ds_read_b128 v[18:21], v11 offset:512
	ds_read2_b32 v[32:33], v10 offset0:32 offset1:48
	ds_read2_b32 v[34:35], v10 offset0:64 offset1:80
	ds_read_b128 v[22:25], v11 offset:16
	ds_read2_b32 v[36:37], v10 offset0:96 offset1:112
	ds_read2_b32 v[38:39], v10 offset0:128 offset1:144
	;; [unrolled: 3-line block ×3, first 2 shown]
	ds_read2_b32 v[44:45], v10 offset0:224 offset1:240
	s_waitcnt lgkmcnt(0)
	s_barrier
	buffer_gl0_inv
	v_fmac_f32_e32 v9, v30, v14
	v_fmac_f32_e32 v8, v31, v14
	v_fmac_f32_e32 v2, v30, v18
	v_fmac_f32_e32 v3, v31, v18
	v_fmac_f32_e32 v9, v32, v15
	v_fmac_f32_e32 v8, v33, v15
	v_fmac_f32_e32 v2, v32, v19
	v_fmac_f32_e32 v3, v33, v19
	v_fmac_f32_e32 v9, v34, v16
	v_fmac_f32_e32 v8, v35, v16
	v_fmac_f32_e32 v2, v34, v20
	v_fmac_f32_e32 v3, v35, v20
	v_fmac_f32_e32 v9, v36, v17
	v_fmac_f32_e32 v8, v37, v17
	v_fmac_f32_e32 v2, v36, v21
	v_fmac_f32_e32 v3, v37, v21
	v_fmac_f32_e32 v9, v38, v22
	v_fmac_f32_e32 v8, v39, v22
	v_fmac_f32_e32 v2, v38, v26
	v_fmac_f32_e32 v3, v39, v26
	v_fmac_f32_e32 v9, v40, v23
	v_fmac_f32_e32 v8, v41, v23
	v_fmac_f32_e32 v2, v40, v27
	v_fmac_f32_e32 v3, v41, v27
	v_fmac_f32_e32 v9, v42, v24
	v_fmac_f32_e32 v8, v43, v24
	v_fmac_f32_e32 v2, v42, v28
	v_fmac_f32_e32 v3, v43, v28
	v_fmac_f32_e32 v9, v44, v25
	v_fmac_f32_e32 v8, v45, v25
	v_fmac_f32_e32 v2, v44, v29
	v_fmac_f32_e32 v3, v45, v29
	s_cbranch_vccnz .LBB376_2
.LBB376_3:
	s_clause 0x3
	s_load_dwordx4 s[0:3], s[4:5], 0x78
	s_load_dword s9, s[4:5], 0x50
	s_load_dwordx8 s[12:19], s[4:5], 0x58
	s_load_dword s4, s[4:5], 0x18
	v_add_co_u32 v5, s5, s6, v0
	v_add_co_ci_u32_e64 v6, null, s7, 0, s5
	v_add_co_u32 v4, s5, s10, v1
	v_add_co_ci_u32_e64 v7, null, s11, 0, s5
	v_lshlrev_b64 v[0:1], 1, v[5:6]
	s_waitcnt lgkmcnt(0)
	s_mul_i32 s3, s3, s8
	s_mul_hi_u32 s5, s2, s8
	v_mul_lo_u32 v5, v7, s0
	v_mul_lo_u32 v6, v4, s1
	s_mul_i32 s2, s2, s8
	v_cmp_neq_f32_e64 s6, s9, 0
	s_add_i32 s3, s5, s3
	s_mov_b32 s5, 0
	s_lshl_b64 s[2:3], s[2:3], 1
	s_add_u32 s2, s18, s2
	s_addc_u32 s3, s19, s3
	s_and_b32 vcc_lo, exec_lo, s6
	s_cbranch_vccnz .LBB376_7
; %bb.4:
	v_mad_u64_u32 v[10:11], null, v4, s0, 0
	s_lshl_b64 s[6:7], s[0:1], 5
	v_fma_mixlo_f16 v14, s4, v9, 0
	v_fma_mixlo_f16 v15, s4, v8, 0
	;; [unrolled: 1-line block ×4, first 2 shown]
	v_add3_u32 v11, v11, v6, v5
	v_lshlrev_b64 v[10:11], 1, v[10:11]
	v_add_co_u32 v10, vcc_lo, s2, v10
	v_add_co_ci_u32_e64 v11, null, s3, v11, vcc_lo
	v_add_co_u32 v12, vcc_lo, v10, s6
	v_add_co_ci_u32_e64 v13, null, s7, v11, vcc_lo
	;; [unrolled: 2-line block ×4, first 2 shown]
	global_store_short v[10:11], v14, off
	global_store_short v[10:11], v15, off offset:32
	global_store_short v[12:13], v16, off
	global_store_short v[12:13], v17, off offset:32
	s_andn2_b32 vcc_lo, exec_lo, s5
	s_cbranch_vccnz .LBB376_6
.LBB376_5:
	v_mul_lo_u32 v7, v7, s14
	v_mul_lo_u32 v12, v4, s15
	v_mad_u64_u32 v[10:11], null, v4, s14, 0
	s_mul_i32 s5, s17, s8
	s_mul_hi_u32 s7, s16, s8
	s_mul_i32 s6, s16, s8
	s_add_i32 s7, s7, s5
	s_lshl_b64 s[6:7], s[6:7], 1
	v_add3_u32 v11, v11, v12, v7
	s_add_u32 s5, s12, s6
	s_addc_u32 s6, s13, s7
	v_mad_u64_u32 v[12:13], null, v4, s0, 0
	v_lshlrev_b64 v[10:11], 1, v[10:11]
	s_lshl_b64 s[0:1], s[0:1], 5
	v_add3_u32 v13, v13, v6, v5
	v_add_co_u32 v7, vcc_lo, s5, v10
	v_add_co_ci_u32_e64 v14, null, s6, v11, vcc_lo
	v_lshlrev_b64 v[4:5], 1, v[12:13]
	v_add_co_u32 v10, vcc_lo, v7, v0
	v_add_co_ci_u32_e64 v11, null, v14, v1, vcc_lo
	v_add_co_u32 v12, vcc_lo, s2, v4
	global_load_ushort v15, v[10:11], off
	v_add_co_ci_u32_e64 v13, null, s3, v5, vcc_lo
	v_add_co_u32 v4, vcc_lo, v12, v0
	s_lshl_b64 s[2:3], s[14:15], 5
	v_add_co_ci_u32_e64 v5, null, v13, v1, vcc_lo
	v_add_co_u32 v7, vcc_lo, v7, s2
	s_waitcnt vmcnt(0)
	v_cvt_f32_f16_e32 v6, v15
	v_mul_f32_e32 v6, s9, v6
	v_fma_mixlo_f16 v6, s4, v9, v6
	v_add_co_ci_u32_e64 v9, null, s3, v14, vcc_lo
	global_store_short v[4:5], v6, off
	global_load_ushort v6, v[10:11], off offset:32
	s_waitcnt vmcnt(0)
	v_cvt_f32_f16_e32 v6, v6
	v_mul_f32_e32 v6, s9, v6
	v_fma_mixlo_f16 v8, s4, v8, v6
	v_add_co_u32 v6, vcc_lo, v7, v0
	v_add_co_ci_u32_e64 v7, null, v9, v1, vcc_lo
	global_store_short v[4:5], v8, off offset:32
	v_add_co_u32 v5, vcc_lo, v12, s0
	global_load_ushort v4, v[6:7], off
	v_add_co_ci_u32_e64 v8, null, s1, v13, vcc_lo
	v_add_co_u32 v0, vcc_lo, v5, v0
	v_add_co_ci_u32_e64 v1, null, v8, v1, vcc_lo
	s_waitcnt vmcnt(0)
	v_cvt_f32_f16_e32 v4, v4
	v_mul_f32_e32 v4, s9, v4
	v_fma_mixlo_f16 v2, s4, v2, v4
	global_store_short v[0:1], v2, off
	global_load_ushort v2, v[6:7], off offset:32
	s_waitcnt vmcnt(0)
	v_cvt_f32_f16_e32 v2, v2
	v_mul_f32_e32 v2, s9, v2
	v_fma_mixlo_f16 v2, s4, v3, v2
	global_store_short v[0:1], v2, off offset:32
.LBB376_6:
	s_endpgm
.LBB376_7:
	s_branch .LBB376_5
	.section	.rodata,"a",@progbits
	.p2align	6, 0x0
	.amdhsa_kernel _ZN12_GLOBAL__N_127rocblas_gemm_batched_kernelIfLi16ELi16ELi32ELi32ELi8ELi32ELi8ELi8ELi32ELc67ELc67EKDF16_S1_DF16_EEvlllT_PT11_llS4_llS2_PT12_llPT13_lli
		.amdhsa_group_segment_fixed_size 2048
		.amdhsa_private_segment_fixed_size 0
		.amdhsa_kernarg_size 140
		.amdhsa_user_sgpr_count 6
		.amdhsa_user_sgpr_private_segment_buffer 1
		.amdhsa_user_sgpr_dispatch_ptr 0
		.amdhsa_user_sgpr_queue_ptr 0
		.amdhsa_user_sgpr_kernarg_segment_ptr 1
		.amdhsa_user_sgpr_dispatch_id 0
		.amdhsa_user_sgpr_flat_scratch_init 0
		.amdhsa_user_sgpr_private_segment_size 0
		.amdhsa_wavefront_size32 1
		.amdhsa_uses_dynamic_stack 0
		.amdhsa_system_sgpr_private_segment_wavefront_offset 0
		.amdhsa_system_sgpr_workgroup_id_x 1
		.amdhsa_system_sgpr_workgroup_id_y 1
		.amdhsa_system_sgpr_workgroup_id_z 1
		.amdhsa_system_sgpr_workgroup_info 0
		.amdhsa_system_vgpr_workitem_id 1
		.amdhsa_next_free_vgpr 46
		.amdhsa_next_free_sgpr 22
		.amdhsa_reserve_vcc 1
		.amdhsa_reserve_flat_scratch 0
		.amdhsa_float_round_mode_32 0
		.amdhsa_float_round_mode_16_64 0
		.amdhsa_float_denorm_mode_32 3
		.amdhsa_float_denorm_mode_16_64 3
		.amdhsa_dx10_clamp 1
		.amdhsa_ieee_mode 1
		.amdhsa_fp16_overflow 0
		.amdhsa_workgroup_processor_mode 1
		.amdhsa_memory_ordered 1
		.amdhsa_forward_progress 1
		.amdhsa_shared_vgpr_count 0
		.amdhsa_exception_fp_ieee_invalid_op 0
		.amdhsa_exception_fp_denorm_src 0
		.amdhsa_exception_fp_ieee_div_zero 0
		.amdhsa_exception_fp_ieee_overflow 0
		.amdhsa_exception_fp_ieee_underflow 0
		.amdhsa_exception_fp_ieee_inexact 0
		.amdhsa_exception_int_div_zero 0
	.end_amdhsa_kernel
	.section	.text._ZN12_GLOBAL__N_127rocblas_gemm_batched_kernelIfLi16ELi16ELi32ELi32ELi8ELi32ELi8ELi8ELi32ELc67ELc67EKDF16_S1_DF16_EEvlllT_PT11_llS4_llS2_PT12_llPT13_lli,"axG",@progbits,_ZN12_GLOBAL__N_127rocblas_gemm_batched_kernelIfLi16ELi16ELi32ELi32ELi8ELi32ELi8ELi8ELi32ELc67ELc67EKDF16_S1_DF16_EEvlllT_PT11_llS4_llS2_PT12_llPT13_lli,comdat
.Lfunc_end376:
	.size	_ZN12_GLOBAL__N_127rocblas_gemm_batched_kernelIfLi16ELi16ELi32ELi32ELi8ELi32ELi8ELi8ELi32ELc67ELc67EKDF16_S1_DF16_EEvlllT_PT11_llS4_llS2_PT12_llPT13_lli, .Lfunc_end376-_ZN12_GLOBAL__N_127rocblas_gemm_batched_kernelIfLi16ELi16ELi32ELi32ELi8ELi32ELi8ELi8ELi32ELc67ELc67EKDF16_S1_DF16_EEvlllT_PT11_llS4_llS2_PT12_llPT13_lli
                                        ; -- End function
	.set _ZN12_GLOBAL__N_127rocblas_gemm_batched_kernelIfLi16ELi16ELi32ELi32ELi8ELi32ELi8ELi8ELi32ELc67ELc67EKDF16_S1_DF16_EEvlllT_PT11_llS4_llS2_PT12_llPT13_lli.num_vgpr, 46
	.set _ZN12_GLOBAL__N_127rocblas_gemm_batched_kernelIfLi16ELi16ELi32ELi32ELi8ELi32ELi8ELi8ELi32ELc67ELc67EKDF16_S1_DF16_EEvlllT_PT11_llS4_llS2_PT12_llPT13_lli.num_agpr, 0
	.set _ZN12_GLOBAL__N_127rocblas_gemm_batched_kernelIfLi16ELi16ELi32ELi32ELi8ELi32ELi8ELi8ELi32ELc67ELc67EKDF16_S1_DF16_EEvlllT_PT11_llS4_llS2_PT12_llPT13_lli.numbered_sgpr, 22
	.set _ZN12_GLOBAL__N_127rocblas_gemm_batched_kernelIfLi16ELi16ELi32ELi32ELi8ELi32ELi8ELi8ELi32ELc67ELc67EKDF16_S1_DF16_EEvlllT_PT11_llS4_llS2_PT12_llPT13_lli.num_named_barrier, 0
	.set _ZN12_GLOBAL__N_127rocblas_gemm_batched_kernelIfLi16ELi16ELi32ELi32ELi8ELi32ELi8ELi8ELi32ELc67ELc67EKDF16_S1_DF16_EEvlllT_PT11_llS4_llS2_PT12_llPT13_lli.private_seg_size, 0
	.set _ZN12_GLOBAL__N_127rocblas_gemm_batched_kernelIfLi16ELi16ELi32ELi32ELi8ELi32ELi8ELi8ELi32ELc67ELc67EKDF16_S1_DF16_EEvlllT_PT11_llS4_llS2_PT12_llPT13_lli.uses_vcc, 1
	.set _ZN12_GLOBAL__N_127rocblas_gemm_batched_kernelIfLi16ELi16ELi32ELi32ELi8ELi32ELi8ELi8ELi32ELc67ELc67EKDF16_S1_DF16_EEvlllT_PT11_llS4_llS2_PT12_llPT13_lli.uses_flat_scratch, 0
	.set _ZN12_GLOBAL__N_127rocblas_gemm_batched_kernelIfLi16ELi16ELi32ELi32ELi8ELi32ELi8ELi8ELi32ELc67ELc67EKDF16_S1_DF16_EEvlllT_PT11_llS4_llS2_PT12_llPT13_lli.has_dyn_sized_stack, 0
	.set _ZN12_GLOBAL__N_127rocblas_gemm_batched_kernelIfLi16ELi16ELi32ELi32ELi8ELi32ELi8ELi8ELi32ELc67ELc67EKDF16_S1_DF16_EEvlllT_PT11_llS4_llS2_PT12_llPT13_lli.has_recursion, 0
	.set _ZN12_GLOBAL__N_127rocblas_gemm_batched_kernelIfLi16ELi16ELi32ELi32ELi8ELi32ELi8ELi8ELi32ELc67ELc67EKDF16_S1_DF16_EEvlllT_PT11_llS4_llS2_PT12_llPT13_lli.has_indirect_call, 0
	.section	.AMDGPU.csdata,"",@progbits
; Kernel info:
; codeLenInByte = 1448
; TotalNumSgprs: 24
; NumVgprs: 46
; ScratchSize: 0
; MemoryBound: 0
; FloatMode: 240
; IeeeMode: 1
; LDSByteSize: 2048 bytes/workgroup (compile time only)
; SGPRBlocks: 0
; VGPRBlocks: 5
; NumSGPRsForWavesPerEU: 24
; NumVGPRsForWavesPerEU: 46
; Occupancy: 16
; WaveLimiterHint : 0
; COMPUTE_PGM_RSRC2:SCRATCH_EN: 0
; COMPUTE_PGM_RSRC2:USER_SGPR: 6
; COMPUTE_PGM_RSRC2:TRAP_HANDLER: 0
; COMPUTE_PGM_RSRC2:TGID_X_EN: 1
; COMPUTE_PGM_RSRC2:TGID_Y_EN: 1
; COMPUTE_PGM_RSRC2:TGID_Z_EN: 1
; COMPUTE_PGM_RSRC2:TIDIG_COMP_CNT: 1
	.section	.text._ZN12_GLOBAL__N_127rocblas_gemm_batched_kernelIfLi16ELi16ELi32ELi32ELi8ELi32ELi8ELi8ELi32ELc67ELc78EKDF16_S1_DF16_EEvlllT_PT11_llS4_llS2_PT12_llPT13_lli,"axG",@progbits,_ZN12_GLOBAL__N_127rocblas_gemm_batched_kernelIfLi16ELi16ELi32ELi32ELi8ELi32ELi8ELi8ELi32ELc67ELc78EKDF16_S1_DF16_EEvlllT_PT11_llS4_llS2_PT12_llPT13_lli,comdat
	.globl	_ZN12_GLOBAL__N_127rocblas_gemm_batched_kernelIfLi16ELi16ELi32ELi32ELi8ELi32ELi8ELi8ELi32ELc67ELc78EKDF16_S1_DF16_EEvlllT_PT11_llS4_llS2_PT12_llPT13_lli ; -- Begin function _ZN12_GLOBAL__N_127rocblas_gemm_batched_kernelIfLi16ELi16ELi32ELi32ELi8ELi32ELi8ELi8ELi32ELc67ELc78EKDF16_S1_DF16_EEvlllT_PT11_llS4_llS2_PT12_llPT13_lli
	.p2align	8
	.type	_ZN12_GLOBAL__N_127rocblas_gemm_batched_kernelIfLi16ELi16ELi32ELi32ELi8ELi32ELi8ELi8ELi32ELc67ELc78EKDF16_S1_DF16_EEvlllT_PT11_llS4_llS2_PT12_llPT13_lli,@function
_ZN12_GLOBAL__N_127rocblas_gemm_batched_kernelIfLi16ELi16ELi32ELi32ELi8ELi32ELi8ELi8ELi32ELc67ELc78EKDF16_S1_DF16_EEvlllT_PT11_llS4_llS2_PT12_llPT13_lli: ; @_ZN12_GLOBAL__N_127rocblas_gemm_batched_kernelIfLi16ELi16ELi32ELi32ELi8ELi32ELi8ELi8ELi32ELc67ELc78EKDF16_S1_DF16_EEvlllT_PT11_llS4_llS2_PT12_llPT13_lli
; %bb.0:
	s_load_dwordx2 s[20:21], s[4:5], 0x10
	s_mov_b32 s0, s7
	v_mov_b32_e32 v9, 0
	v_mov_b32_e32 v8, 0
	;; [unrolled: 1-line block ×4, first 2 shown]
	s_ashr_i32 s7, s6, 31
	s_ashr_i32 s1, s0, 31
	s_lshl_b64 s[6:7], s[6:7], 5
	s_lshl_b64 s[10:11], s[0:1], 5
	s_waitcnt lgkmcnt(0)
	v_cmp_lt_i64_e64 s2, s[20:21], 1
	s_and_b32 vcc_lo, exec_lo, s2
	s_cbranch_vccnz .LBB377_3
; %bb.1:
	s_load_dwordx4 s[0:3], s[4:5], 0x40
	v_lshl_add_u32 v2, v1, 4, v0
	s_load_dwordx8 s[12:19], s[4:5], 0x20
	v_and_b32_e32 v7, 7, v0
	v_mov_b32_e32 v6, 0
	v_lshlrev_b32_e32 v10, 2, v0
	v_lshrrev_b32_e32 v3, 3, v2
	v_and_b32_e32 v4, 31, v2
	v_lshlrev_b32_e32 v5, 2, v7
	v_lshrrev_b32_e32 v14, 5, v2
	v_add_co_u32 v8, s9, v3, s10
	v_add_co_ci_u32_e64 v9, null, 0, s11, s9
	v_lshl_or_b32 v5, v3, 5, v5
	v_lshlrev_b32_e32 v11, 2, v4
	v_add_nc_u32_e32 v12, 0x400, v5
	s_waitcnt lgkmcnt(0)
	v_mul_lo_u32 v13, s1, v8
	v_mul_lo_u32 v9, s0, v9
	v_mad_u64_u32 v[2:3], null, s0, v8, 0
	v_add_co_u32 v4, s0, s6, v4
	v_add_co_ci_u32_e64 v8, null, s7, 0, s0
	s_mul_i32 s0, s3, s8
	v_mul_lo_u32 v15, s15, v4
	v_add3_u32 v3, v3, v9, v13
	v_mul_lo_u32 v8, s14, v8
	v_mad_u64_u32 v[4:5], null, s14, v4, 0
	s_mul_hi_u32 s1, s2, s8
	v_lshlrev_b64 v[2:3], 1, v[2:3]
	s_add_i32 s1, s1, s0
	s_mul_i32 s0, s2, s8
	v_lshl_or_b32 v11, v14, 7, v11
	s_lshl_b64 s[0:1], s[0:1], 1
	v_add3_u32 v5, v5, v8, v15
	v_add_co_u32 v8, vcc_lo, v2, s0
	v_add_co_ci_u32_e64 v9, null, s1, v3, vcc_lo
	s_mul_i32 s0, s17, s8
	s_mul_hi_u32 s1, s16, s8
	v_lshlrev_b64 v[2:3], 1, v[4:5]
	s_add_i32 s1, s1, s0
	s_mul_i32 s0, s16, s8
	v_lshlrev_b32_e32 v4, 1, v7
	s_lshl_b64 s[0:1], s[0:1], 1
	v_lshlrev_b32_e32 v5, 1, v14
	v_add_co_u32 v2, vcc_lo, v2, s0
	v_add_co_ci_u32_e64 v3, null, s1, v3, vcc_lo
	v_add_co_u32 v4, vcc_lo, v8, v4
	v_add_co_ci_u32_e64 v7, null, 0, v9, vcc_lo
	;; [unrolled: 2-line block ×4, first 2 shown]
	v_add_co_u32 v4, vcc_lo, s12, v5
	v_lshl_add_u32 v13, v1, 5, 0x400
	v_add_co_ci_u32_e64 v5, null, s13, v8, vcc_lo
	v_mov_b32_e32 v7, 0
	v_mov_b32_e32 v8, 0
	;; [unrolled: 1-line block ×3, first 2 shown]
	s_mov_b64 s[0:1], 0
.LBB377_2:                              ; =>This Inner Loop Header: Depth=1
	global_load_ushort v14, v[4:5], off
	global_load_ushort v15, v[2:3], off
	s_add_u32 s0, s0, 8
	s_addc_u32 s1, s1, 0
	v_add_co_u32 v2, vcc_lo, v2, 16
	v_cmp_lt_i64_e64 s2, s[0:1], s[20:21]
	v_add_co_ci_u32_e64 v3, null, 0, v3, vcc_lo
	v_add_co_u32 v4, vcc_lo, v4, 16
	v_add_co_ci_u32_e64 v5, null, 0, v5, vcc_lo
	s_and_b32 vcc_lo, exec_lo, s2
	s_waitcnt vmcnt(1)
	v_cvt_f32_f16_e32 v14, v14
	s_waitcnt vmcnt(0)
	v_cvt_f32_f16_e32 v15, v15
	ds_write_b32 v11, v14
	ds_write_b32 v12, v15
	s_waitcnt lgkmcnt(0)
	s_barrier
	buffer_gl0_inv
	ds_read_b128 v[14:17], v13
	ds_read2_b32 v[30:31], v10 offset1:16
	ds_read_b128 v[18:21], v13 offset:512
	ds_read2_b32 v[32:33], v10 offset0:32 offset1:48
	ds_read2_b32 v[34:35], v10 offset0:64 offset1:80
	ds_read_b128 v[22:25], v13 offset:16
	ds_read2_b32 v[36:37], v10 offset0:96 offset1:112
	ds_read2_b32 v[38:39], v10 offset0:128 offset1:144
	;; [unrolled: 3-line block ×3, first 2 shown]
	ds_read2_b32 v[44:45], v10 offset0:224 offset1:240
	s_waitcnt lgkmcnt(0)
	s_barrier
	buffer_gl0_inv
	v_fmac_f32_e32 v9, v30, v14
	v_fmac_f32_e32 v8, v31, v14
	;; [unrolled: 1-line block ×32, first 2 shown]
	s_cbranch_vccnz .LBB377_2
.LBB377_3:
	s_clause 0x3
	s_load_dwordx4 s[0:3], s[4:5], 0x78
	s_load_dword s9, s[4:5], 0x50
	s_load_dwordx8 s[12:19], s[4:5], 0x58
	s_load_dword s4, s[4:5], 0x18
	v_add_co_u32 v3, s5, s6, v0
	v_add_co_ci_u32_e64 v4, null, s7, 0, s5
	v_add_co_u32 v2, s5, s10, v1
	v_add_co_ci_u32_e64 v5, null, s11, 0, s5
	v_lshlrev_b64 v[0:1], 1, v[3:4]
	s_waitcnt lgkmcnt(0)
	s_mul_i32 s3, s3, s8
	s_mul_hi_u32 s5, s2, s8
	v_mul_lo_u32 v3, v5, s0
	v_mul_lo_u32 v4, v2, s1
	s_mul_i32 s2, s2, s8
	v_cmp_neq_f32_e64 s6, s9, 0
	s_add_i32 s3, s5, s3
	s_mov_b32 s5, 0
	s_lshl_b64 s[2:3], s[2:3], 1
	s_add_u32 s2, s18, s2
	s_addc_u32 s3, s19, s3
	s_and_b32 vcc_lo, exec_lo, s6
	s_cbranch_vccnz .LBB377_7
; %bb.4:
	v_mad_u64_u32 v[10:11], null, v2, s0, 0
	s_lshl_b64 s[6:7], s[0:1], 5
	v_fma_mixlo_f16 v14, s4, v9, 0
	v_fma_mixlo_f16 v15, s4, v8, 0
	;; [unrolled: 1-line block ×4, first 2 shown]
	v_add3_u32 v11, v11, v4, v3
	v_lshlrev_b64 v[10:11], 1, v[10:11]
	v_add_co_u32 v10, vcc_lo, s2, v10
	v_add_co_ci_u32_e64 v11, null, s3, v11, vcc_lo
	v_add_co_u32 v12, vcc_lo, v10, s6
	v_add_co_ci_u32_e64 v13, null, s7, v11, vcc_lo
	;; [unrolled: 2-line block ×4, first 2 shown]
	global_store_short v[10:11], v14, off
	global_store_short v[10:11], v15, off offset:32
	global_store_short v[12:13], v16, off
	global_store_short v[12:13], v17, off offset:32
	s_andn2_b32 vcc_lo, exec_lo, s5
	s_cbranch_vccnz .LBB377_6
.LBB377_5:
	v_mul_lo_u32 v5, v5, s14
	v_mul_lo_u32 v12, v2, s15
	v_mad_u64_u32 v[10:11], null, v2, s14, 0
	s_mul_i32 s5, s17, s8
	s_mul_hi_u32 s7, s16, s8
	s_mul_i32 s6, s16, s8
	s_add_i32 s7, s7, s5
	s_lshl_b64 s[6:7], s[6:7], 1
	v_add3_u32 v11, v11, v12, v5
	s_add_u32 s5, s12, s6
	s_addc_u32 s6, s13, s7
	v_mad_u64_u32 v[12:13], null, v2, s0, 0
	v_lshlrev_b64 v[10:11], 1, v[10:11]
	s_lshl_b64 s[0:1], s[0:1], 5
	v_add3_u32 v13, v13, v4, v3
	v_add_co_u32 v5, vcc_lo, s5, v10
	v_add_co_ci_u32_e64 v14, null, s6, v11, vcc_lo
	v_lshlrev_b64 v[2:3], 1, v[12:13]
	v_add_co_u32 v10, vcc_lo, v5, v0
	v_add_co_ci_u32_e64 v11, null, v14, v1, vcc_lo
	v_add_co_u32 v12, vcc_lo, s2, v2
	global_load_ushort v15, v[10:11], off
	v_add_co_ci_u32_e64 v13, null, s3, v3, vcc_lo
	v_add_co_u32 v2, vcc_lo, v12, v0
	s_lshl_b64 s[2:3], s[14:15], 5
	v_add_co_ci_u32_e64 v3, null, v13, v1, vcc_lo
	v_add_co_u32 v5, vcc_lo, v5, s2
	s_waitcnt vmcnt(0)
	v_cvt_f32_f16_e32 v4, v15
	v_mul_f32_e32 v4, s9, v4
	v_fma_mixlo_f16 v4, s4, v9, v4
	v_add_co_ci_u32_e64 v9, null, s3, v14, vcc_lo
	global_store_short v[2:3], v4, off
	global_load_ushort v4, v[10:11], off offset:32
	s_waitcnt vmcnt(0)
	v_cvt_f32_f16_e32 v4, v4
	v_mul_f32_e32 v4, s9, v4
	v_fma_mixlo_f16 v8, s4, v8, v4
	v_add_co_u32 v4, vcc_lo, v5, v0
	v_add_co_ci_u32_e64 v5, null, v9, v1, vcc_lo
	global_store_short v[2:3], v8, off offset:32
	v_add_co_u32 v3, vcc_lo, v12, s0
	global_load_ushort v2, v[4:5], off
	v_add_co_ci_u32_e64 v8, null, s1, v13, vcc_lo
	v_add_co_u32 v0, vcc_lo, v3, v0
	v_add_co_ci_u32_e64 v1, null, v8, v1, vcc_lo
	s_waitcnt vmcnt(0)
	v_cvt_f32_f16_e32 v2, v2
	v_mul_f32_e32 v2, s9, v2
	v_fma_mixlo_f16 v2, s4, v7, v2
	global_store_short v[0:1], v2, off
	global_load_ushort v2, v[4:5], off offset:32
	s_waitcnt vmcnt(0)
	v_cvt_f32_f16_e32 v2, v2
	v_mul_f32_e32 v2, s9, v2
	v_fma_mixlo_f16 v2, s4, v6, v2
	global_store_short v[0:1], v2, off offset:32
.LBB377_6:
	s_endpgm
.LBB377_7:
	s_branch .LBB377_5
	.section	.rodata,"a",@progbits
	.p2align	6, 0x0
	.amdhsa_kernel _ZN12_GLOBAL__N_127rocblas_gemm_batched_kernelIfLi16ELi16ELi32ELi32ELi8ELi32ELi8ELi8ELi32ELc67ELc78EKDF16_S1_DF16_EEvlllT_PT11_llS4_llS2_PT12_llPT13_lli
		.amdhsa_group_segment_fixed_size 2048
		.amdhsa_private_segment_fixed_size 0
		.amdhsa_kernarg_size 140
		.amdhsa_user_sgpr_count 6
		.amdhsa_user_sgpr_private_segment_buffer 1
		.amdhsa_user_sgpr_dispatch_ptr 0
		.amdhsa_user_sgpr_queue_ptr 0
		.amdhsa_user_sgpr_kernarg_segment_ptr 1
		.amdhsa_user_sgpr_dispatch_id 0
		.amdhsa_user_sgpr_flat_scratch_init 0
		.amdhsa_user_sgpr_private_segment_size 0
		.amdhsa_wavefront_size32 1
		.amdhsa_uses_dynamic_stack 0
		.amdhsa_system_sgpr_private_segment_wavefront_offset 0
		.amdhsa_system_sgpr_workgroup_id_x 1
		.amdhsa_system_sgpr_workgroup_id_y 1
		.amdhsa_system_sgpr_workgroup_id_z 1
		.amdhsa_system_sgpr_workgroup_info 0
		.amdhsa_system_vgpr_workitem_id 1
		.amdhsa_next_free_vgpr 46
		.amdhsa_next_free_sgpr 22
		.amdhsa_reserve_vcc 1
		.amdhsa_reserve_flat_scratch 0
		.amdhsa_float_round_mode_32 0
		.amdhsa_float_round_mode_16_64 0
		.amdhsa_float_denorm_mode_32 3
		.amdhsa_float_denorm_mode_16_64 3
		.amdhsa_dx10_clamp 1
		.amdhsa_ieee_mode 1
		.amdhsa_fp16_overflow 0
		.amdhsa_workgroup_processor_mode 1
		.amdhsa_memory_ordered 1
		.amdhsa_forward_progress 1
		.amdhsa_shared_vgpr_count 0
		.amdhsa_exception_fp_ieee_invalid_op 0
		.amdhsa_exception_fp_denorm_src 0
		.amdhsa_exception_fp_ieee_div_zero 0
		.amdhsa_exception_fp_ieee_overflow 0
		.amdhsa_exception_fp_ieee_underflow 0
		.amdhsa_exception_fp_ieee_inexact 0
		.amdhsa_exception_int_div_zero 0
	.end_amdhsa_kernel
	.section	.text._ZN12_GLOBAL__N_127rocblas_gemm_batched_kernelIfLi16ELi16ELi32ELi32ELi8ELi32ELi8ELi8ELi32ELc67ELc78EKDF16_S1_DF16_EEvlllT_PT11_llS4_llS2_PT12_llPT13_lli,"axG",@progbits,_ZN12_GLOBAL__N_127rocblas_gemm_batched_kernelIfLi16ELi16ELi32ELi32ELi8ELi32ELi8ELi8ELi32ELc67ELc78EKDF16_S1_DF16_EEvlllT_PT11_llS4_llS2_PT12_llPT13_lli,comdat
.Lfunc_end377:
	.size	_ZN12_GLOBAL__N_127rocblas_gemm_batched_kernelIfLi16ELi16ELi32ELi32ELi8ELi32ELi8ELi8ELi32ELc67ELc78EKDF16_S1_DF16_EEvlllT_PT11_llS4_llS2_PT12_llPT13_lli, .Lfunc_end377-_ZN12_GLOBAL__N_127rocblas_gemm_batched_kernelIfLi16ELi16ELi32ELi32ELi8ELi32ELi8ELi8ELi32ELc67ELc78EKDF16_S1_DF16_EEvlllT_PT11_llS4_llS2_PT12_llPT13_lli
                                        ; -- End function
	.set _ZN12_GLOBAL__N_127rocblas_gemm_batched_kernelIfLi16ELi16ELi32ELi32ELi8ELi32ELi8ELi8ELi32ELc67ELc78EKDF16_S1_DF16_EEvlllT_PT11_llS4_llS2_PT12_llPT13_lli.num_vgpr, 46
	.set _ZN12_GLOBAL__N_127rocblas_gemm_batched_kernelIfLi16ELi16ELi32ELi32ELi8ELi32ELi8ELi8ELi32ELc67ELc78EKDF16_S1_DF16_EEvlllT_PT11_llS4_llS2_PT12_llPT13_lli.num_agpr, 0
	.set _ZN12_GLOBAL__N_127rocblas_gemm_batched_kernelIfLi16ELi16ELi32ELi32ELi8ELi32ELi8ELi8ELi32ELc67ELc78EKDF16_S1_DF16_EEvlllT_PT11_llS4_llS2_PT12_llPT13_lli.numbered_sgpr, 22
	.set _ZN12_GLOBAL__N_127rocblas_gemm_batched_kernelIfLi16ELi16ELi32ELi32ELi8ELi32ELi8ELi8ELi32ELc67ELc78EKDF16_S1_DF16_EEvlllT_PT11_llS4_llS2_PT12_llPT13_lli.num_named_barrier, 0
	.set _ZN12_GLOBAL__N_127rocblas_gemm_batched_kernelIfLi16ELi16ELi32ELi32ELi8ELi32ELi8ELi8ELi32ELc67ELc78EKDF16_S1_DF16_EEvlllT_PT11_llS4_llS2_PT12_llPT13_lli.private_seg_size, 0
	.set _ZN12_GLOBAL__N_127rocblas_gemm_batched_kernelIfLi16ELi16ELi32ELi32ELi8ELi32ELi8ELi8ELi32ELc67ELc78EKDF16_S1_DF16_EEvlllT_PT11_llS4_llS2_PT12_llPT13_lli.uses_vcc, 1
	.set _ZN12_GLOBAL__N_127rocblas_gemm_batched_kernelIfLi16ELi16ELi32ELi32ELi8ELi32ELi8ELi8ELi32ELc67ELc78EKDF16_S1_DF16_EEvlllT_PT11_llS4_llS2_PT12_llPT13_lli.uses_flat_scratch, 0
	.set _ZN12_GLOBAL__N_127rocblas_gemm_batched_kernelIfLi16ELi16ELi32ELi32ELi8ELi32ELi8ELi8ELi32ELc67ELc78EKDF16_S1_DF16_EEvlllT_PT11_llS4_llS2_PT12_llPT13_lli.has_dyn_sized_stack, 0
	.set _ZN12_GLOBAL__N_127rocblas_gemm_batched_kernelIfLi16ELi16ELi32ELi32ELi8ELi32ELi8ELi8ELi32ELc67ELc78EKDF16_S1_DF16_EEvlllT_PT11_llS4_llS2_PT12_llPT13_lli.has_recursion, 0
	.set _ZN12_GLOBAL__N_127rocblas_gemm_batched_kernelIfLi16ELi16ELi32ELi32ELi8ELi32ELi8ELi8ELi32ELc67ELc78EKDF16_S1_DF16_EEvlllT_PT11_llS4_llS2_PT12_llPT13_lli.has_indirect_call, 0
	.section	.AMDGPU.csdata,"",@progbits
; Kernel info:
; codeLenInByte = 1480
; TotalNumSgprs: 24
; NumVgprs: 46
; ScratchSize: 0
; MemoryBound: 0
; FloatMode: 240
; IeeeMode: 1
; LDSByteSize: 2048 bytes/workgroup (compile time only)
; SGPRBlocks: 0
; VGPRBlocks: 5
; NumSGPRsForWavesPerEU: 24
; NumVGPRsForWavesPerEU: 46
; Occupancy: 16
; WaveLimiterHint : 0
; COMPUTE_PGM_RSRC2:SCRATCH_EN: 0
; COMPUTE_PGM_RSRC2:USER_SGPR: 6
; COMPUTE_PGM_RSRC2:TRAP_HANDLER: 0
; COMPUTE_PGM_RSRC2:TGID_X_EN: 1
; COMPUTE_PGM_RSRC2:TGID_Y_EN: 1
; COMPUTE_PGM_RSRC2:TGID_Z_EN: 1
; COMPUTE_PGM_RSRC2:TIDIG_COMP_CNT: 1
	.section	.text._ZN12_GLOBAL__N_127rocblas_gemm_batched_kernelIfLi16ELi16ELi32ELi32ELi8ELi32ELi8ELi8ELi32ELc67ELc84EKDF16_S1_DF16_EEvlllT_PT11_llS4_llS2_PT12_llPT13_lli,"axG",@progbits,_ZN12_GLOBAL__N_127rocblas_gemm_batched_kernelIfLi16ELi16ELi32ELi32ELi8ELi32ELi8ELi8ELi32ELc67ELc84EKDF16_S1_DF16_EEvlllT_PT11_llS4_llS2_PT12_llPT13_lli,comdat
	.globl	_ZN12_GLOBAL__N_127rocblas_gemm_batched_kernelIfLi16ELi16ELi32ELi32ELi8ELi32ELi8ELi8ELi32ELc67ELc84EKDF16_S1_DF16_EEvlllT_PT11_llS4_llS2_PT12_llPT13_lli ; -- Begin function _ZN12_GLOBAL__N_127rocblas_gemm_batched_kernelIfLi16ELi16ELi32ELi32ELi8ELi32ELi8ELi8ELi32ELc67ELc84EKDF16_S1_DF16_EEvlllT_PT11_llS4_llS2_PT12_llPT13_lli
	.p2align	8
	.type	_ZN12_GLOBAL__N_127rocblas_gemm_batched_kernelIfLi16ELi16ELi32ELi32ELi8ELi32ELi8ELi8ELi32ELc67ELc84EKDF16_S1_DF16_EEvlllT_PT11_llS4_llS2_PT12_llPT13_lli,@function
_ZN12_GLOBAL__N_127rocblas_gemm_batched_kernelIfLi16ELi16ELi32ELi32ELi8ELi32ELi8ELi8ELi32ELc67ELc84EKDF16_S1_DF16_EEvlllT_PT11_llS4_llS2_PT12_llPT13_lli: ; @_ZN12_GLOBAL__N_127rocblas_gemm_batched_kernelIfLi16ELi16ELi32ELi32ELi8ELi32ELi8ELi8ELi32ELc67ELc84EKDF16_S1_DF16_EEvlllT_PT11_llS4_llS2_PT12_llPT13_lli
; %bb.0:
	s_load_dwordx2 s[20:21], s[4:5], 0x10
	s_mov_b32 s0, s7
	v_mov_b32_e32 v9, 0
	v_mov_b32_e32 v8, 0
	v_mov_b32_e32 v2, 0
	v_mov_b32_e32 v3, 0
	s_ashr_i32 s7, s6, 31
	s_ashr_i32 s1, s0, 31
	s_lshl_b64 s[6:7], s[6:7], 5
	s_lshl_b64 s[10:11], s[0:1], 5
	s_waitcnt lgkmcnt(0)
	v_cmp_lt_i64_e64 s2, s[20:21], 1
	s_and_b32 vcc_lo, exec_lo, s2
	s_cbranch_vccnz .LBB378_3
; %bb.1:
	s_clause 0x1
	s_load_dwordx8 s[12:19], s[4:5], 0x20
	s_load_dwordx4 s[0:3], s[4:5], 0x40
	v_lshl_add_u32 v4, v1, 4, v0
	v_and_b32_e32 v8, 7, v0
	v_mov_b32_e32 v3, 0
	v_lshlrev_b32_e32 v10, 2, v0
	v_lshl_add_u32 v11, v1, 5, 0x400
	v_and_b32_e32 v5, 31, v4
	v_lshrrev_b32_e32 v2, 3, v4
	v_lshlrev_b32_e32 v6, 2, v8
	v_lshrrev_b32_e32 v14, 5, v4
	v_lshlrev_b32_e32 v4, 2, v5
	v_lshl_or_b32 v9, v2, 5, v6
	v_add_co_u32 v6, s9, s6, v5
	v_add_co_ci_u32_e64 v7, null, s7, 0, s9
	v_lshl_or_b32 v12, v14, 7, v4
	s_waitcnt lgkmcnt(0)
	v_mul_lo_u32 v15, s15, v6
	v_mad_u64_u32 v[4:5], null, s0, v8, v[2:3]
	v_mul_lo_u32 v16, s14, v7
	v_mad_u64_u32 v[6:7], null, s14, v6, 0
	s_mul_i32 s3, s3, s8
	s_mul_hi_u32 s9, s2, s8
	s_mul_i32 s2, s2, s8
	v_mov_b32_e32 v2, v5
	s_add_i32 s3, s9, s3
	v_add_nc_u32_e32 v13, 0x400, v9
	v_add3_u32 v7, v7, v16, v15
	s_lshl_b64 s[2:3], s[2:3], 1
	v_mad_u64_u32 v[8:9], null, s1, v8, v[2:3]
	s_add_u32 s9, s18, s2
	s_addc_u32 s14, s19, s3
	s_mul_i32 s2, s17, s8
	s_mul_hi_u32 s3, s16, s8
	v_lshlrev_b64 v[5:6], 1, v[6:7]
	v_add_co_u32 v7, vcc_lo, v4, s10
	s_add_i32 s3, s3, s2
	s_mul_i32 s2, s16, s8
	v_add_co_ci_u32_e64 v8, null, s11, v8, vcc_lo
	s_lshl_b64 s[2:3], s[2:3], 1
	v_lshlrev_b32_e32 v2, 1, v14
	v_add_co_u32 v9, vcc_lo, v5, s2
	v_add_co_ci_u32_e64 v6, null, s3, v6, vcc_lo
	v_lshlrev_b64 v[4:5], 1, v[7:8]
	v_add_co_u32 v2, vcc_lo, v9, v2
	v_add_co_ci_u32_e64 v7, null, 0, v6, vcc_lo
	v_mov_b32_e32 v8, v3
	v_add_co_u32 v4, vcc_lo, s9, v4
	v_add_co_ci_u32_e64 v5, null, s14, v5, vcc_lo
	v_add_co_u32 v6, vcc_lo, s12, v2
	v_add_co_ci_u32_e64 v7, null, s13, v7, vcc_lo
	v_mov_b32_e32 v2, v3
	v_mov_b32_e32 v9, v3
	s_lshl_b64 s[0:1], s[0:1], 4
	s_mov_b64 s[2:3], 0
.LBB378_2:                              ; =>This Inner Loop Header: Depth=1
	global_load_ushort v14, v[6:7], off
	global_load_ushort v15, v[4:5], off
	s_add_u32 s2, s2, 8
	s_addc_u32 s3, s3, 0
	v_add_co_u32 v4, vcc_lo, v4, s0
	v_cmp_lt_i64_e64 s9, s[2:3], s[20:21]
	v_add_co_ci_u32_e64 v5, null, s1, v5, vcc_lo
	v_add_co_u32 v6, vcc_lo, v6, 16
	v_add_co_ci_u32_e64 v7, null, 0, v7, vcc_lo
	s_and_b32 vcc_lo, exec_lo, s9
	s_waitcnt vmcnt(1)
	v_cvt_f32_f16_e32 v14, v14
	s_waitcnt vmcnt(0)
	v_cvt_f32_f16_e32 v15, v15
	ds_write_b32 v12, v14
	ds_write_b32 v13, v15
	s_waitcnt lgkmcnt(0)
	s_barrier
	buffer_gl0_inv
	ds_read_b128 v[14:17], v11
	ds_read2_b32 v[30:31], v10 offset1:16
	ds_read_b128 v[18:21], v11 offset:512
	ds_read2_b32 v[32:33], v10 offset0:32 offset1:48
	ds_read2_b32 v[34:35], v10 offset0:64 offset1:80
	ds_read_b128 v[22:25], v11 offset:16
	ds_read2_b32 v[36:37], v10 offset0:96 offset1:112
	ds_read2_b32 v[38:39], v10 offset0:128 offset1:144
	;; [unrolled: 3-line block ×3, first 2 shown]
	ds_read2_b32 v[44:45], v10 offset0:224 offset1:240
	s_waitcnt lgkmcnt(0)
	s_barrier
	buffer_gl0_inv
	v_fmac_f32_e32 v9, v30, v14
	v_fmac_f32_e32 v8, v31, v14
	;; [unrolled: 1-line block ×32, first 2 shown]
	s_cbranch_vccnz .LBB378_2
.LBB378_3:
	s_clause 0x3
	s_load_dwordx4 s[0:3], s[4:5], 0x78
	s_load_dword s9, s[4:5], 0x50
	s_load_dwordx8 s[12:19], s[4:5], 0x58
	s_load_dword s4, s[4:5], 0x18
	v_add_co_u32 v5, s5, s6, v0
	v_add_co_ci_u32_e64 v6, null, s7, 0, s5
	v_add_co_u32 v4, s5, s10, v1
	v_add_co_ci_u32_e64 v7, null, s11, 0, s5
	v_lshlrev_b64 v[0:1], 1, v[5:6]
	s_waitcnt lgkmcnt(0)
	s_mul_i32 s3, s3, s8
	s_mul_hi_u32 s5, s2, s8
	v_mul_lo_u32 v5, v7, s0
	v_mul_lo_u32 v6, v4, s1
	s_mul_i32 s2, s2, s8
	v_cmp_neq_f32_e64 s6, s9, 0
	s_add_i32 s3, s5, s3
	s_mov_b32 s5, 0
	s_lshl_b64 s[2:3], s[2:3], 1
	s_add_u32 s2, s18, s2
	s_addc_u32 s3, s19, s3
	s_and_b32 vcc_lo, exec_lo, s6
	s_cbranch_vccnz .LBB378_7
; %bb.4:
	v_mad_u64_u32 v[10:11], null, v4, s0, 0
	s_lshl_b64 s[6:7], s[0:1], 5
	v_fma_mixlo_f16 v14, s4, v9, 0
	v_fma_mixlo_f16 v15, s4, v8, 0
	;; [unrolled: 1-line block ×4, first 2 shown]
	v_add3_u32 v11, v11, v6, v5
	v_lshlrev_b64 v[10:11], 1, v[10:11]
	v_add_co_u32 v10, vcc_lo, s2, v10
	v_add_co_ci_u32_e64 v11, null, s3, v11, vcc_lo
	v_add_co_u32 v12, vcc_lo, v10, s6
	v_add_co_ci_u32_e64 v13, null, s7, v11, vcc_lo
	;; [unrolled: 2-line block ×4, first 2 shown]
	global_store_short v[10:11], v14, off
	global_store_short v[10:11], v15, off offset:32
	global_store_short v[12:13], v16, off
	global_store_short v[12:13], v17, off offset:32
	s_andn2_b32 vcc_lo, exec_lo, s5
	s_cbranch_vccnz .LBB378_6
.LBB378_5:
	v_mul_lo_u32 v7, v7, s14
	v_mul_lo_u32 v12, v4, s15
	v_mad_u64_u32 v[10:11], null, v4, s14, 0
	s_mul_i32 s5, s17, s8
	s_mul_hi_u32 s7, s16, s8
	s_mul_i32 s6, s16, s8
	s_add_i32 s7, s7, s5
	s_lshl_b64 s[6:7], s[6:7], 1
	v_add3_u32 v11, v11, v12, v7
	s_add_u32 s5, s12, s6
	s_addc_u32 s6, s13, s7
	v_mad_u64_u32 v[12:13], null, v4, s0, 0
	v_lshlrev_b64 v[10:11], 1, v[10:11]
	s_lshl_b64 s[0:1], s[0:1], 5
	v_add3_u32 v13, v13, v6, v5
	v_add_co_u32 v7, vcc_lo, s5, v10
	v_add_co_ci_u32_e64 v14, null, s6, v11, vcc_lo
	v_lshlrev_b64 v[4:5], 1, v[12:13]
	v_add_co_u32 v10, vcc_lo, v7, v0
	v_add_co_ci_u32_e64 v11, null, v14, v1, vcc_lo
	v_add_co_u32 v12, vcc_lo, s2, v4
	global_load_ushort v15, v[10:11], off
	v_add_co_ci_u32_e64 v13, null, s3, v5, vcc_lo
	v_add_co_u32 v4, vcc_lo, v12, v0
	s_lshl_b64 s[2:3], s[14:15], 5
	v_add_co_ci_u32_e64 v5, null, v13, v1, vcc_lo
	v_add_co_u32 v7, vcc_lo, v7, s2
	s_waitcnt vmcnt(0)
	v_cvt_f32_f16_e32 v6, v15
	v_mul_f32_e32 v6, s9, v6
	v_fma_mixlo_f16 v6, s4, v9, v6
	v_add_co_ci_u32_e64 v9, null, s3, v14, vcc_lo
	global_store_short v[4:5], v6, off
	global_load_ushort v6, v[10:11], off offset:32
	s_waitcnt vmcnt(0)
	v_cvt_f32_f16_e32 v6, v6
	v_mul_f32_e32 v6, s9, v6
	v_fma_mixlo_f16 v8, s4, v8, v6
	v_add_co_u32 v6, vcc_lo, v7, v0
	v_add_co_ci_u32_e64 v7, null, v9, v1, vcc_lo
	global_store_short v[4:5], v8, off offset:32
	v_add_co_u32 v5, vcc_lo, v12, s0
	global_load_ushort v4, v[6:7], off
	v_add_co_ci_u32_e64 v8, null, s1, v13, vcc_lo
	v_add_co_u32 v0, vcc_lo, v5, v0
	v_add_co_ci_u32_e64 v1, null, v8, v1, vcc_lo
	s_waitcnt vmcnt(0)
	v_cvt_f32_f16_e32 v4, v4
	v_mul_f32_e32 v4, s9, v4
	v_fma_mixlo_f16 v2, s4, v2, v4
	global_store_short v[0:1], v2, off
	global_load_ushort v2, v[6:7], off offset:32
	s_waitcnt vmcnt(0)
	v_cvt_f32_f16_e32 v2, v2
	v_mul_f32_e32 v2, s9, v2
	v_fma_mixlo_f16 v2, s4, v3, v2
	global_store_short v[0:1], v2, off offset:32
.LBB378_6:
	s_endpgm
.LBB378_7:
	s_branch .LBB378_5
	.section	.rodata,"a",@progbits
	.p2align	6, 0x0
	.amdhsa_kernel _ZN12_GLOBAL__N_127rocblas_gemm_batched_kernelIfLi16ELi16ELi32ELi32ELi8ELi32ELi8ELi8ELi32ELc67ELc84EKDF16_S1_DF16_EEvlllT_PT11_llS4_llS2_PT12_llPT13_lli
		.amdhsa_group_segment_fixed_size 2048
		.amdhsa_private_segment_fixed_size 0
		.amdhsa_kernarg_size 140
		.amdhsa_user_sgpr_count 6
		.amdhsa_user_sgpr_private_segment_buffer 1
		.amdhsa_user_sgpr_dispatch_ptr 0
		.amdhsa_user_sgpr_queue_ptr 0
		.amdhsa_user_sgpr_kernarg_segment_ptr 1
		.amdhsa_user_sgpr_dispatch_id 0
		.amdhsa_user_sgpr_flat_scratch_init 0
		.amdhsa_user_sgpr_private_segment_size 0
		.amdhsa_wavefront_size32 1
		.amdhsa_uses_dynamic_stack 0
		.amdhsa_system_sgpr_private_segment_wavefront_offset 0
		.amdhsa_system_sgpr_workgroup_id_x 1
		.amdhsa_system_sgpr_workgroup_id_y 1
		.amdhsa_system_sgpr_workgroup_id_z 1
		.amdhsa_system_sgpr_workgroup_info 0
		.amdhsa_system_vgpr_workitem_id 1
		.amdhsa_next_free_vgpr 46
		.amdhsa_next_free_sgpr 22
		.amdhsa_reserve_vcc 1
		.amdhsa_reserve_flat_scratch 0
		.amdhsa_float_round_mode_32 0
		.amdhsa_float_round_mode_16_64 0
		.amdhsa_float_denorm_mode_32 3
		.amdhsa_float_denorm_mode_16_64 3
		.amdhsa_dx10_clamp 1
		.amdhsa_ieee_mode 1
		.amdhsa_fp16_overflow 0
		.amdhsa_workgroup_processor_mode 1
		.amdhsa_memory_ordered 1
		.amdhsa_forward_progress 1
		.amdhsa_shared_vgpr_count 0
		.amdhsa_exception_fp_ieee_invalid_op 0
		.amdhsa_exception_fp_denorm_src 0
		.amdhsa_exception_fp_ieee_div_zero 0
		.amdhsa_exception_fp_ieee_overflow 0
		.amdhsa_exception_fp_ieee_underflow 0
		.amdhsa_exception_fp_ieee_inexact 0
		.amdhsa_exception_int_div_zero 0
	.end_amdhsa_kernel
	.section	.text._ZN12_GLOBAL__N_127rocblas_gemm_batched_kernelIfLi16ELi16ELi32ELi32ELi8ELi32ELi8ELi8ELi32ELc67ELc84EKDF16_S1_DF16_EEvlllT_PT11_llS4_llS2_PT12_llPT13_lli,"axG",@progbits,_ZN12_GLOBAL__N_127rocblas_gemm_batched_kernelIfLi16ELi16ELi32ELi32ELi8ELi32ELi8ELi8ELi32ELc67ELc84EKDF16_S1_DF16_EEvlllT_PT11_llS4_llS2_PT12_llPT13_lli,comdat
.Lfunc_end378:
	.size	_ZN12_GLOBAL__N_127rocblas_gemm_batched_kernelIfLi16ELi16ELi32ELi32ELi8ELi32ELi8ELi8ELi32ELc67ELc84EKDF16_S1_DF16_EEvlllT_PT11_llS4_llS2_PT12_llPT13_lli, .Lfunc_end378-_ZN12_GLOBAL__N_127rocblas_gemm_batched_kernelIfLi16ELi16ELi32ELi32ELi8ELi32ELi8ELi8ELi32ELc67ELc84EKDF16_S1_DF16_EEvlllT_PT11_llS4_llS2_PT12_llPT13_lli
                                        ; -- End function
	.set _ZN12_GLOBAL__N_127rocblas_gemm_batched_kernelIfLi16ELi16ELi32ELi32ELi8ELi32ELi8ELi8ELi32ELc67ELc84EKDF16_S1_DF16_EEvlllT_PT11_llS4_llS2_PT12_llPT13_lli.num_vgpr, 46
	.set _ZN12_GLOBAL__N_127rocblas_gemm_batched_kernelIfLi16ELi16ELi32ELi32ELi8ELi32ELi8ELi8ELi32ELc67ELc84EKDF16_S1_DF16_EEvlllT_PT11_llS4_llS2_PT12_llPT13_lli.num_agpr, 0
	.set _ZN12_GLOBAL__N_127rocblas_gemm_batched_kernelIfLi16ELi16ELi32ELi32ELi8ELi32ELi8ELi8ELi32ELc67ELc84EKDF16_S1_DF16_EEvlllT_PT11_llS4_llS2_PT12_llPT13_lli.numbered_sgpr, 22
	.set _ZN12_GLOBAL__N_127rocblas_gemm_batched_kernelIfLi16ELi16ELi32ELi32ELi8ELi32ELi8ELi8ELi32ELc67ELc84EKDF16_S1_DF16_EEvlllT_PT11_llS4_llS2_PT12_llPT13_lli.num_named_barrier, 0
	.set _ZN12_GLOBAL__N_127rocblas_gemm_batched_kernelIfLi16ELi16ELi32ELi32ELi8ELi32ELi8ELi8ELi32ELc67ELc84EKDF16_S1_DF16_EEvlllT_PT11_llS4_llS2_PT12_llPT13_lli.private_seg_size, 0
	.set _ZN12_GLOBAL__N_127rocblas_gemm_batched_kernelIfLi16ELi16ELi32ELi32ELi8ELi32ELi8ELi8ELi32ELc67ELc84EKDF16_S1_DF16_EEvlllT_PT11_llS4_llS2_PT12_llPT13_lli.uses_vcc, 1
	.set _ZN12_GLOBAL__N_127rocblas_gemm_batched_kernelIfLi16ELi16ELi32ELi32ELi8ELi32ELi8ELi8ELi32ELc67ELc84EKDF16_S1_DF16_EEvlllT_PT11_llS4_llS2_PT12_llPT13_lli.uses_flat_scratch, 0
	.set _ZN12_GLOBAL__N_127rocblas_gemm_batched_kernelIfLi16ELi16ELi32ELi32ELi8ELi32ELi8ELi8ELi32ELc67ELc84EKDF16_S1_DF16_EEvlllT_PT11_llS4_llS2_PT12_llPT13_lli.has_dyn_sized_stack, 0
	.set _ZN12_GLOBAL__N_127rocblas_gemm_batched_kernelIfLi16ELi16ELi32ELi32ELi8ELi32ELi8ELi8ELi32ELc67ELc84EKDF16_S1_DF16_EEvlllT_PT11_llS4_llS2_PT12_llPT13_lli.has_recursion, 0
	.set _ZN12_GLOBAL__N_127rocblas_gemm_batched_kernelIfLi16ELi16ELi32ELi32ELi8ELi32ELi8ELi8ELi32ELc67ELc84EKDF16_S1_DF16_EEvlllT_PT11_llS4_llS2_PT12_llPT13_lli.has_indirect_call, 0
	.section	.AMDGPU.csdata,"",@progbits
; Kernel info:
; codeLenInByte = 1448
; TotalNumSgprs: 24
; NumVgprs: 46
; ScratchSize: 0
; MemoryBound: 0
; FloatMode: 240
; IeeeMode: 1
; LDSByteSize: 2048 bytes/workgroup (compile time only)
; SGPRBlocks: 0
; VGPRBlocks: 5
; NumSGPRsForWavesPerEU: 24
; NumVGPRsForWavesPerEU: 46
; Occupancy: 16
; WaveLimiterHint : 0
; COMPUTE_PGM_RSRC2:SCRATCH_EN: 0
; COMPUTE_PGM_RSRC2:USER_SGPR: 6
; COMPUTE_PGM_RSRC2:TRAP_HANDLER: 0
; COMPUTE_PGM_RSRC2:TGID_X_EN: 1
; COMPUTE_PGM_RSRC2:TGID_Y_EN: 1
; COMPUTE_PGM_RSRC2:TGID_Z_EN: 1
; COMPUTE_PGM_RSRC2:TIDIG_COMP_CNT: 1
	.section	.text._ZN12_GLOBAL__N_127rocblas_gemm_batched_kernelIfLi16ELi16ELi32ELi32ELi8ELi32ELi8ELi8ELi32ELc78ELc67EKDF16_S1_DF16_EEvlllT_PT11_llS4_llS2_PT12_llPT13_lli,"axG",@progbits,_ZN12_GLOBAL__N_127rocblas_gemm_batched_kernelIfLi16ELi16ELi32ELi32ELi8ELi32ELi8ELi8ELi32ELc78ELc67EKDF16_S1_DF16_EEvlllT_PT11_llS4_llS2_PT12_llPT13_lli,comdat
	.globl	_ZN12_GLOBAL__N_127rocblas_gemm_batched_kernelIfLi16ELi16ELi32ELi32ELi8ELi32ELi8ELi8ELi32ELc78ELc67EKDF16_S1_DF16_EEvlllT_PT11_llS4_llS2_PT12_llPT13_lli ; -- Begin function _ZN12_GLOBAL__N_127rocblas_gemm_batched_kernelIfLi16ELi16ELi32ELi32ELi8ELi32ELi8ELi8ELi32ELc78ELc67EKDF16_S1_DF16_EEvlllT_PT11_llS4_llS2_PT12_llPT13_lli
	.p2align	8
	.type	_ZN12_GLOBAL__N_127rocblas_gemm_batched_kernelIfLi16ELi16ELi32ELi32ELi8ELi32ELi8ELi8ELi32ELc78ELc67EKDF16_S1_DF16_EEvlllT_PT11_llS4_llS2_PT12_llPT13_lli,@function
_ZN12_GLOBAL__N_127rocblas_gemm_batched_kernelIfLi16ELi16ELi32ELi32ELi8ELi32ELi8ELi8ELi32ELc78ELc67EKDF16_S1_DF16_EEvlllT_PT11_llS4_llS2_PT12_llPT13_lli: ; @_ZN12_GLOBAL__N_127rocblas_gemm_batched_kernelIfLi16ELi16ELi32ELi32ELi8ELi32ELi8ELi8ELi32ELc78ELc67EKDF16_S1_DF16_EEvlllT_PT11_llS4_llS2_PT12_llPT13_lli
; %bb.0:
	s_load_dwordx2 s[20:21], s[4:5], 0x10
	s_mov_b32 s0, s7
	v_mov_b32_e32 v9, 0
	v_mov_b32_e32 v8, 0
	;; [unrolled: 1-line block ×4, first 2 shown]
	s_ashr_i32 s7, s6, 31
	s_ashr_i32 s1, s0, 31
	s_lshl_b64 s[6:7], s[6:7], 5
	s_lshl_b64 s[10:11], s[0:1], 5
	s_waitcnt lgkmcnt(0)
	v_cmp_lt_i64_e64 s2, s[20:21], 1
	s_and_b32 vcc_lo, exec_lo, s2
	s_cbranch_vccnz .LBB379_3
; %bb.1:
	s_clause 0x1
	s_load_dwordx4 s[0:3], s[4:5], 0x40
	s_load_dwordx8 s[12:19], s[4:5], 0x20
	v_lshl_add_u32 v3, v1, 4, v0
	v_and_b32_e32 v8, 7, v0
	v_lshlrev_b32_e32 v10, 2, v0
	v_lshl_add_u32 v11, v1, 5, 0x400
	v_lshrrev_b32_e32 v2, 3, v3
	v_and_b32_e32 v14, 31, v3
	v_lshlrev_b32_e32 v4, 2, v8
	v_lshrrev_b32_e32 v9, 5, v3
	v_mov_b32_e32 v3, 0
	v_lshlrev_b32_e32 v5, 2, v14
	v_lshl_or_b32 v4, v2, 5, v4
	v_lshl_or_b32 v12, v9, 7, v5
	v_add_nc_u32_e32 v13, 0x400, v4
	s_waitcnt lgkmcnt(0)
	v_mad_u64_u32 v[4:5], null, s0, v8, v[2:3]
	v_mad_u64_u32 v[6:7], null, s14, v9, s[6:7]
	s_mul_i32 s3, s3, s8
	s_mul_hi_u32 s9, s2, s8
	s_mul_i32 s2, s2, s8
	s_add_i32 s3, s9, s3
	v_mov_b32_e32 v2, v5
	v_add_co_u32 v4, vcc_lo, v4, s10
	v_mov_b32_e32 v5, v7
	s_lshl_b64 s[2:3], s[2:3], 1
	v_mad_u64_u32 v[7:8], null, s1, v8, v[2:3]
	s_mul_i32 s17, s17, s8
	v_mad_u64_u32 v[8:9], null, s15, v9, v[5:6]
	s_mul_hi_u32 s9, s16, s8
	s_add_u32 s18, s18, s2
	s_mul_i32 s16, s16, s8
	v_add_co_ci_u32_e64 v5, null, s11, v7, vcc_lo
	v_add_co_u32 v6, vcc_lo, v6, v14
	v_add_co_ci_u32_e64 v7, null, 0, v8, vcc_lo
	v_lshlrev_b64 v[4:5], 1, v[4:5]
	s_addc_u32 s19, s19, s3
	s_add_i32 s17, s9, s17
	v_lshlrev_b64 v[6:7], 1, v[6:7]
	s_lshl_b64 s[2:3], s[16:17], 1
	s_lshl_b64 s[0:1], s[0:1], 4
	s_add_u32 s2, s12, s2
	v_add_co_u32 v4, vcc_lo, s18, v4
	v_add_co_ci_u32_e64 v5, null, s19, v5, vcc_lo
	s_addc_u32 s3, s13, s3
	v_add_co_u32 v6, vcc_lo, s2, v6
	v_add_co_ci_u32_e64 v7, null, s3, v7, vcc_lo
	v_mov_b32_e32 v2, v3
	v_mov_b32_e32 v8, v3
	;; [unrolled: 1-line block ×3, first 2 shown]
	s_lshl_b64 s[2:3], s[14:15], 4
	s_mov_b64 s[12:13], 0
.LBB379_2:                              ; =>This Inner Loop Header: Depth=1
	global_load_ushort v14, v[6:7], off
	global_load_ushort v15, v[4:5], off
	s_add_u32 s12, s12, 8
	s_addc_u32 s13, s13, 0
	v_add_co_u32 v4, vcc_lo, v4, s0
	v_cmp_lt_i64_e64 s9, s[12:13], s[20:21]
	v_add_co_ci_u32_e64 v5, null, s1, v5, vcc_lo
	v_add_co_u32 v6, vcc_lo, v6, s2
	v_add_co_ci_u32_e64 v7, null, s3, v7, vcc_lo
	s_and_b32 vcc_lo, exec_lo, s9
	s_waitcnt vmcnt(1)
	v_cvt_f32_f16_e32 v14, v14
	s_waitcnt vmcnt(0)
	v_cvt_f32_f16_e32 v15, v15
	ds_write_b32 v12, v14
	ds_write_b32 v13, v15
	s_waitcnt lgkmcnt(0)
	s_barrier
	buffer_gl0_inv
	ds_read_b128 v[14:17], v11
	ds_read2_b32 v[30:31], v10 offset1:16
	ds_read_b128 v[18:21], v11 offset:512
	ds_read2_b32 v[32:33], v10 offset0:32 offset1:48
	ds_read2_b32 v[34:35], v10 offset0:64 offset1:80
	ds_read_b128 v[22:25], v11 offset:16
	ds_read2_b32 v[36:37], v10 offset0:96 offset1:112
	ds_read2_b32 v[38:39], v10 offset0:128 offset1:144
	;; [unrolled: 3-line block ×3, first 2 shown]
	ds_read2_b32 v[44:45], v10 offset0:224 offset1:240
	s_waitcnt lgkmcnt(0)
	s_barrier
	buffer_gl0_inv
	v_fmac_f32_e32 v9, v30, v14
	v_fmac_f32_e32 v8, v31, v14
	;; [unrolled: 1-line block ×32, first 2 shown]
	s_cbranch_vccnz .LBB379_2
.LBB379_3:
	s_clause 0x3
	s_load_dwordx4 s[0:3], s[4:5], 0x78
	s_load_dword s9, s[4:5], 0x50
	s_load_dwordx8 s[12:19], s[4:5], 0x58
	s_load_dword s4, s[4:5], 0x18
	v_add_co_u32 v5, s5, s6, v0
	v_add_co_ci_u32_e64 v6, null, s7, 0, s5
	v_add_co_u32 v4, s5, s10, v1
	v_add_co_ci_u32_e64 v7, null, s11, 0, s5
	v_lshlrev_b64 v[0:1], 1, v[5:6]
	s_waitcnt lgkmcnt(0)
	s_mul_i32 s3, s3, s8
	s_mul_hi_u32 s5, s2, s8
	v_mul_lo_u32 v5, v7, s0
	v_mul_lo_u32 v6, v4, s1
	s_mul_i32 s2, s2, s8
	v_cmp_neq_f32_e64 s6, s9, 0
	s_add_i32 s3, s5, s3
	s_mov_b32 s5, 0
	s_lshl_b64 s[2:3], s[2:3], 1
	s_add_u32 s2, s18, s2
	s_addc_u32 s3, s19, s3
	s_and_b32 vcc_lo, exec_lo, s6
	s_cbranch_vccnz .LBB379_7
; %bb.4:
	v_mad_u64_u32 v[10:11], null, v4, s0, 0
	s_lshl_b64 s[6:7], s[0:1], 5
	v_fma_mixlo_f16 v14, s4, v9, 0
	v_fma_mixlo_f16 v15, s4, v8, 0
	;; [unrolled: 1-line block ×4, first 2 shown]
	v_add3_u32 v11, v11, v6, v5
	v_lshlrev_b64 v[10:11], 1, v[10:11]
	v_add_co_u32 v10, vcc_lo, s2, v10
	v_add_co_ci_u32_e64 v11, null, s3, v11, vcc_lo
	v_add_co_u32 v12, vcc_lo, v10, s6
	v_add_co_ci_u32_e64 v13, null, s7, v11, vcc_lo
	;; [unrolled: 2-line block ×4, first 2 shown]
	global_store_short v[10:11], v14, off
	global_store_short v[10:11], v15, off offset:32
	global_store_short v[12:13], v16, off
	global_store_short v[12:13], v17, off offset:32
	s_andn2_b32 vcc_lo, exec_lo, s5
	s_cbranch_vccnz .LBB379_6
.LBB379_5:
	v_mul_lo_u32 v7, v7, s14
	v_mul_lo_u32 v12, v4, s15
	v_mad_u64_u32 v[10:11], null, v4, s14, 0
	s_mul_i32 s5, s17, s8
	s_mul_hi_u32 s7, s16, s8
	s_mul_i32 s6, s16, s8
	s_add_i32 s7, s7, s5
	s_lshl_b64 s[6:7], s[6:7], 1
	v_add3_u32 v11, v11, v12, v7
	s_add_u32 s5, s12, s6
	s_addc_u32 s6, s13, s7
	v_mad_u64_u32 v[12:13], null, v4, s0, 0
	v_lshlrev_b64 v[10:11], 1, v[10:11]
	s_lshl_b64 s[0:1], s[0:1], 5
	v_add3_u32 v13, v13, v6, v5
	v_add_co_u32 v7, vcc_lo, s5, v10
	v_add_co_ci_u32_e64 v14, null, s6, v11, vcc_lo
	v_lshlrev_b64 v[4:5], 1, v[12:13]
	v_add_co_u32 v10, vcc_lo, v7, v0
	v_add_co_ci_u32_e64 v11, null, v14, v1, vcc_lo
	v_add_co_u32 v12, vcc_lo, s2, v4
	global_load_ushort v15, v[10:11], off
	v_add_co_ci_u32_e64 v13, null, s3, v5, vcc_lo
	v_add_co_u32 v4, vcc_lo, v12, v0
	s_lshl_b64 s[2:3], s[14:15], 5
	v_add_co_ci_u32_e64 v5, null, v13, v1, vcc_lo
	v_add_co_u32 v7, vcc_lo, v7, s2
	s_waitcnt vmcnt(0)
	v_cvt_f32_f16_e32 v6, v15
	v_mul_f32_e32 v6, s9, v6
	v_fma_mixlo_f16 v6, s4, v9, v6
	v_add_co_ci_u32_e64 v9, null, s3, v14, vcc_lo
	global_store_short v[4:5], v6, off
	global_load_ushort v6, v[10:11], off offset:32
	s_waitcnt vmcnt(0)
	v_cvt_f32_f16_e32 v6, v6
	v_mul_f32_e32 v6, s9, v6
	v_fma_mixlo_f16 v8, s4, v8, v6
	v_add_co_u32 v6, vcc_lo, v7, v0
	v_add_co_ci_u32_e64 v7, null, v9, v1, vcc_lo
	global_store_short v[4:5], v8, off offset:32
	v_add_co_u32 v5, vcc_lo, v12, s0
	global_load_ushort v4, v[6:7], off
	v_add_co_ci_u32_e64 v8, null, s1, v13, vcc_lo
	v_add_co_u32 v0, vcc_lo, v5, v0
	v_add_co_ci_u32_e64 v1, null, v8, v1, vcc_lo
	s_waitcnt vmcnt(0)
	v_cvt_f32_f16_e32 v4, v4
	v_mul_f32_e32 v4, s9, v4
	v_fma_mixlo_f16 v2, s4, v2, v4
	global_store_short v[0:1], v2, off
	global_load_ushort v2, v[6:7], off offset:32
	s_waitcnt vmcnt(0)
	v_cvt_f32_f16_e32 v2, v2
	v_mul_f32_e32 v2, s9, v2
	v_fma_mixlo_f16 v2, s4, v3, v2
	global_store_short v[0:1], v2, off offset:32
.LBB379_6:
	s_endpgm
.LBB379_7:
	s_branch .LBB379_5
	.section	.rodata,"a",@progbits
	.p2align	6, 0x0
	.amdhsa_kernel _ZN12_GLOBAL__N_127rocblas_gemm_batched_kernelIfLi16ELi16ELi32ELi32ELi8ELi32ELi8ELi8ELi32ELc78ELc67EKDF16_S1_DF16_EEvlllT_PT11_llS4_llS2_PT12_llPT13_lli
		.amdhsa_group_segment_fixed_size 2048
		.amdhsa_private_segment_fixed_size 0
		.amdhsa_kernarg_size 140
		.amdhsa_user_sgpr_count 6
		.amdhsa_user_sgpr_private_segment_buffer 1
		.amdhsa_user_sgpr_dispatch_ptr 0
		.amdhsa_user_sgpr_queue_ptr 0
		.amdhsa_user_sgpr_kernarg_segment_ptr 1
		.amdhsa_user_sgpr_dispatch_id 0
		.amdhsa_user_sgpr_flat_scratch_init 0
		.amdhsa_user_sgpr_private_segment_size 0
		.amdhsa_wavefront_size32 1
		.amdhsa_uses_dynamic_stack 0
		.amdhsa_system_sgpr_private_segment_wavefront_offset 0
		.amdhsa_system_sgpr_workgroup_id_x 1
		.amdhsa_system_sgpr_workgroup_id_y 1
		.amdhsa_system_sgpr_workgroup_id_z 1
		.amdhsa_system_sgpr_workgroup_info 0
		.amdhsa_system_vgpr_workitem_id 1
		.amdhsa_next_free_vgpr 46
		.amdhsa_next_free_sgpr 22
		.amdhsa_reserve_vcc 1
		.amdhsa_reserve_flat_scratch 0
		.amdhsa_float_round_mode_32 0
		.amdhsa_float_round_mode_16_64 0
		.amdhsa_float_denorm_mode_32 3
		.amdhsa_float_denorm_mode_16_64 3
		.amdhsa_dx10_clamp 1
		.amdhsa_ieee_mode 1
		.amdhsa_fp16_overflow 0
		.amdhsa_workgroup_processor_mode 1
		.amdhsa_memory_ordered 1
		.amdhsa_forward_progress 1
		.amdhsa_shared_vgpr_count 0
		.amdhsa_exception_fp_ieee_invalid_op 0
		.amdhsa_exception_fp_denorm_src 0
		.amdhsa_exception_fp_ieee_div_zero 0
		.amdhsa_exception_fp_ieee_overflow 0
		.amdhsa_exception_fp_ieee_underflow 0
		.amdhsa_exception_fp_ieee_inexact 0
		.amdhsa_exception_int_div_zero 0
	.end_amdhsa_kernel
	.section	.text._ZN12_GLOBAL__N_127rocblas_gemm_batched_kernelIfLi16ELi16ELi32ELi32ELi8ELi32ELi8ELi8ELi32ELc78ELc67EKDF16_S1_DF16_EEvlllT_PT11_llS4_llS2_PT12_llPT13_lli,"axG",@progbits,_ZN12_GLOBAL__N_127rocblas_gemm_batched_kernelIfLi16ELi16ELi32ELi32ELi8ELi32ELi8ELi8ELi32ELc78ELc67EKDF16_S1_DF16_EEvlllT_PT11_llS4_llS2_PT12_llPT13_lli,comdat
.Lfunc_end379:
	.size	_ZN12_GLOBAL__N_127rocblas_gemm_batched_kernelIfLi16ELi16ELi32ELi32ELi8ELi32ELi8ELi8ELi32ELc78ELc67EKDF16_S1_DF16_EEvlllT_PT11_llS4_llS2_PT12_llPT13_lli, .Lfunc_end379-_ZN12_GLOBAL__N_127rocblas_gemm_batched_kernelIfLi16ELi16ELi32ELi32ELi8ELi32ELi8ELi8ELi32ELc78ELc67EKDF16_S1_DF16_EEvlllT_PT11_llS4_llS2_PT12_llPT13_lli
                                        ; -- End function
	.set _ZN12_GLOBAL__N_127rocblas_gemm_batched_kernelIfLi16ELi16ELi32ELi32ELi8ELi32ELi8ELi8ELi32ELc78ELc67EKDF16_S1_DF16_EEvlllT_PT11_llS4_llS2_PT12_llPT13_lli.num_vgpr, 46
	.set _ZN12_GLOBAL__N_127rocblas_gemm_batched_kernelIfLi16ELi16ELi32ELi32ELi8ELi32ELi8ELi8ELi32ELc78ELc67EKDF16_S1_DF16_EEvlllT_PT11_llS4_llS2_PT12_llPT13_lli.num_agpr, 0
	.set _ZN12_GLOBAL__N_127rocblas_gemm_batched_kernelIfLi16ELi16ELi32ELi32ELi8ELi32ELi8ELi8ELi32ELc78ELc67EKDF16_S1_DF16_EEvlllT_PT11_llS4_llS2_PT12_llPT13_lli.numbered_sgpr, 22
	.set _ZN12_GLOBAL__N_127rocblas_gemm_batched_kernelIfLi16ELi16ELi32ELi32ELi8ELi32ELi8ELi8ELi32ELc78ELc67EKDF16_S1_DF16_EEvlllT_PT11_llS4_llS2_PT12_llPT13_lli.num_named_barrier, 0
	.set _ZN12_GLOBAL__N_127rocblas_gemm_batched_kernelIfLi16ELi16ELi32ELi32ELi8ELi32ELi8ELi8ELi32ELc78ELc67EKDF16_S1_DF16_EEvlllT_PT11_llS4_llS2_PT12_llPT13_lli.private_seg_size, 0
	.set _ZN12_GLOBAL__N_127rocblas_gemm_batched_kernelIfLi16ELi16ELi32ELi32ELi8ELi32ELi8ELi8ELi32ELc78ELc67EKDF16_S1_DF16_EEvlllT_PT11_llS4_llS2_PT12_llPT13_lli.uses_vcc, 1
	.set _ZN12_GLOBAL__N_127rocblas_gemm_batched_kernelIfLi16ELi16ELi32ELi32ELi8ELi32ELi8ELi8ELi32ELc78ELc67EKDF16_S1_DF16_EEvlllT_PT11_llS4_llS2_PT12_llPT13_lli.uses_flat_scratch, 0
	.set _ZN12_GLOBAL__N_127rocblas_gemm_batched_kernelIfLi16ELi16ELi32ELi32ELi8ELi32ELi8ELi8ELi32ELc78ELc67EKDF16_S1_DF16_EEvlllT_PT11_llS4_llS2_PT12_llPT13_lli.has_dyn_sized_stack, 0
	.set _ZN12_GLOBAL__N_127rocblas_gemm_batched_kernelIfLi16ELi16ELi32ELi32ELi8ELi32ELi8ELi8ELi32ELc78ELc67EKDF16_S1_DF16_EEvlllT_PT11_llS4_llS2_PT12_llPT13_lli.has_recursion, 0
	.set _ZN12_GLOBAL__N_127rocblas_gemm_batched_kernelIfLi16ELi16ELi32ELi32ELi8ELi32ELi8ELi8ELi32ELc78ELc67EKDF16_S1_DF16_EEvlllT_PT11_llS4_llS2_PT12_llPT13_lli.has_indirect_call, 0
	.section	.AMDGPU.csdata,"",@progbits
; Kernel info:
; codeLenInByte = 1412
; TotalNumSgprs: 24
; NumVgprs: 46
; ScratchSize: 0
; MemoryBound: 0
; FloatMode: 240
; IeeeMode: 1
; LDSByteSize: 2048 bytes/workgroup (compile time only)
; SGPRBlocks: 0
; VGPRBlocks: 5
; NumSGPRsForWavesPerEU: 24
; NumVGPRsForWavesPerEU: 46
; Occupancy: 16
; WaveLimiterHint : 0
; COMPUTE_PGM_RSRC2:SCRATCH_EN: 0
; COMPUTE_PGM_RSRC2:USER_SGPR: 6
; COMPUTE_PGM_RSRC2:TRAP_HANDLER: 0
; COMPUTE_PGM_RSRC2:TGID_X_EN: 1
; COMPUTE_PGM_RSRC2:TGID_Y_EN: 1
; COMPUTE_PGM_RSRC2:TGID_Z_EN: 1
; COMPUTE_PGM_RSRC2:TIDIG_COMP_CNT: 1
	.section	.text._ZN12_GLOBAL__N_127rocblas_gemm_batched_kernelIfLi16ELi16ELi32ELi32ELi8ELi32ELi8ELi8ELi32ELc84ELc67EKDF16_S1_DF16_EEvlllT_PT11_llS4_llS2_PT12_llPT13_lli,"axG",@progbits,_ZN12_GLOBAL__N_127rocblas_gemm_batched_kernelIfLi16ELi16ELi32ELi32ELi8ELi32ELi8ELi8ELi32ELc84ELc67EKDF16_S1_DF16_EEvlllT_PT11_llS4_llS2_PT12_llPT13_lli,comdat
	.globl	_ZN12_GLOBAL__N_127rocblas_gemm_batched_kernelIfLi16ELi16ELi32ELi32ELi8ELi32ELi8ELi8ELi32ELc84ELc67EKDF16_S1_DF16_EEvlllT_PT11_llS4_llS2_PT12_llPT13_lli ; -- Begin function _ZN12_GLOBAL__N_127rocblas_gemm_batched_kernelIfLi16ELi16ELi32ELi32ELi8ELi32ELi8ELi8ELi32ELc84ELc67EKDF16_S1_DF16_EEvlllT_PT11_llS4_llS2_PT12_llPT13_lli
	.p2align	8
	.type	_ZN12_GLOBAL__N_127rocblas_gemm_batched_kernelIfLi16ELi16ELi32ELi32ELi8ELi32ELi8ELi8ELi32ELc84ELc67EKDF16_S1_DF16_EEvlllT_PT11_llS4_llS2_PT12_llPT13_lli,@function
_ZN12_GLOBAL__N_127rocblas_gemm_batched_kernelIfLi16ELi16ELi32ELi32ELi8ELi32ELi8ELi8ELi32ELc84ELc67EKDF16_S1_DF16_EEvlllT_PT11_llS4_llS2_PT12_llPT13_lli: ; @_ZN12_GLOBAL__N_127rocblas_gemm_batched_kernelIfLi16ELi16ELi32ELi32ELi8ELi32ELi8ELi8ELi32ELc84ELc67EKDF16_S1_DF16_EEvlllT_PT11_llS4_llS2_PT12_llPT13_lli
; %bb.0:
	s_load_dwordx2 s[20:21], s[4:5], 0x10
	s_mov_b32 s0, s7
	v_mov_b32_e32 v9, 0
	v_mov_b32_e32 v8, 0
	;; [unrolled: 1-line block ×4, first 2 shown]
	s_ashr_i32 s7, s6, 31
	s_ashr_i32 s1, s0, 31
	s_lshl_b64 s[6:7], s[6:7], 5
	s_lshl_b64 s[10:11], s[0:1], 5
	s_waitcnt lgkmcnt(0)
	v_cmp_lt_i64_e64 s2, s[20:21], 1
	s_and_b32 vcc_lo, exec_lo, s2
	s_cbranch_vccnz .LBB380_3
; %bb.1:
	s_clause 0x1
	s_load_dwordx8 s[12:19], s[4:5], 0x20
	s_load_dwordx4 s[0:3], s[4:5], 0x40
	v_lshl_add_u32 v4, v1, 4, v0
	v_and_b32_e32 v8, 7, v0
	v_mov_b32_e32 v3, 0
	v_lshlrev_b32_e32 v10, 2, v0
	v_lshl_add_u32 v11, v1, 5, 0x400
	v_and_b32_e32 v5, 31, v4
	v_lshrrev_b32_e32 v2, 3, v4
	v_lshlrev_b32_e32 v6, 2, v8
	v_lshrrev_b32_e32 v14, 5, v4
	v_lshlrev_b32_e32 v4, 2, v5
	v_lshl_or_b32 v9, v2, 5, v6
	v_add_co_u32 v6, s9, s6, v5
	v_add_co_ci_u32_e64 v7, null, s7, 0, s9
	v_lshl_or_b32 v12, v14, 7, v4
	s_waitcnt lgkmcnt(0)
	v_mul_lo_u32 v15, s15, v6
	v_mad_u64_u32 v[4:5], null, s0, v8, v[2:3]
	v_mul_lo_u32 v16, s14, v7
	v_mad_u64_u32 v[6:7], null, s14, v6, 0
	s_mul_i32 s3, s3, s8
	s_mul_hi_u32 s9, s2, s8
	s_mul_i32 s2, s2, s8
	v_mov_b32_e32 v2, v5
	s_add_i32 s3, s9, s3
	v_add_nc_u32_e32 v13, 0x400, v9
	v_add3_u32 v7, v7, v16, v15
	s_lshl_b64 s[2:3], s[2:3], 1
	v_mad_u64_u32 v[8:9], null, s1, v8, v[2:3]
	s_add_u32 s9, s18, s2
	s_addc_u32 s14, s19, s3
	s_mul_i32 s2, s17, s8
	s_mul_hi_u32 s3, s16, s8
	v_lshlrev_b64 v[5:6], 1, v[6:7]
	v_add_co_u32 v7, vcc_lo, v4, s10
	s_add_i32 s3, s3, s2
	s_mul_i32 s2, s16, s8
	v_add_co_ci_u32_e64 v8, null, s11, v8, vcc_lo
	s_lshl_b64 s[2:3], s[2:3], 1
	v_lshlrev_b32_e32 v2, 1, v14
	v_add_co_u32 v9, vcc_lo, v5, s2
	v_add_co_ci_u32_e64 v6, null, s3, v6, vcc_lo
	v_lshlrev_b64 v[4:5], 1, v[7:8]
	v_add_co_u32 v2, vcc_lo, v9, v2
	v_add_co_ci_u32_e64 v7, null, 0, v6, vcc_lo
	v_mov_b32_e32 v8, v3
	v_add_co_u32 v4, vcc_lo, s9, v4
	v_add_co_ci_u32_e64 v5, null, s14, v5, vcc_lo
	v_add_co_u32 v6, vcc_lo, s12, v2
	v_add_co_ci_u32_e64 v7, null, s13, v7, vcc_lo
	v_mov_b32_e32 v2, v3
	v_mov_b32_e32 v9, v3
	s_lshl_b64 s[0:1], s[0:1], 4
	s_mov_b64 s[2:3], 0
.LBB380_2:                              ; =>This Inner Loop Header: Depth=1
	global_load_ushort v14, v[6:7], off
	global_load_ushort v15, v[4:5], off
	s_add_u32 s2, s2, 8
	s_addc_u32 s3, s3, 0
	v_add_co_u32 v4, vcc_lo, v4, s0
	v_cmp_lt_i64_e64 s9, s[2:3], s[20:21]
	v_add_co_ci_u32_e64 v5, null, s1, v5, vcc_lo
	v_add_co_u32 v6, vcc_lo, v6, 16
	v_add_co_ci_u32_e64 v7, null, 0, v7, vcc_lo
	s_and_b32 vcc_lo, exec_lo, s9
	s_waitcnt vmcnt(1)
	v_cvt_f32_f16_e32 v14, v14
	s_waitcnt vmcnt(0)
	v_cvt_f32_f16_e32 v15, v15
	ds_write_b32 v12, v14
	ds_write_b32 v13, v15
	s_waitcnt lgkmcnt(0)
	s_barrier
	buffer_gl0_inv
	ds_read_b128 v[14:17], v11
	ds_read2_b32 v[30:31], v10 offset1:16
	ds_read_b128 v[18:21], v11 offset:512
	ds_read2_b32 v[32:33], v10 offset0:32 offset1:48
	ds_read2_b32 v[34:35], v10 offset0:64 offset1:80
	ds_read_b128 v[22:25], v11 offset:16
	ds_read2_b32 v[36:37], v10 offset0:96 offset1:112
	ds_read2_b32 v[38:39], v10 offset0:128 offset1:144
	;; [unrolled: 3-line block ×3, first 2 shown]
	ds_read2_b32 v[44:45], v10 offset0:224 offset1:240
	s_waitcnt lgkmcnt(0)
	s_barrier
	buffer_gl0_inv
	v_fmac_f32_e32 v9, v30, v14
	v_fmac_f32_e32 v8, v31, v14
	;; [unrolled: 1-line block ×32, first 2 shown]
	s_cbranch_vccnz .LBB380_2
.LBB380_3:
	s_clause 0x3
	s_load_dwordx4 s[0:3], s[4:5], 0x78
	s_load_dword s9, s[4:5], 0x50
	s_load_dwordx8 s[12:19], s[4:5], 0x58
	s_load_dword s4, s[4:5], 0x18
	v_add_co_u32 v5, s5, s6, v0
	v_add_co_ci_u32_e64 v6, null, s7, 0, s5
	v_add_co_u32 v4, s5, s10, v1
	v_add_co_ci_u32_e64 v7, null, s11, 0, s5
	v_lshlrev_b64 v[0:1], 1, v[5:6]
	s_waitcnt lgkmcnt(0)
	s_mul_i32 s3, s3, s8
	s_mul_hi_u32 s5, s2, s8
	v_mul_lo_u32 v5, v7, s0
	v_mul_lo_u32 v6, v4, s1
	s_mul_i32 s2, s2, s8
	v_cmp_neq_f32_e64 s6, s9, 0
	s_add_i32 s3, s5, s3
	s_mov_b32 s5, 0
	s_lshl_b64 s[2:3], s[2:3], 1
	s_add_u32 s2, s18, s2
	s_addc_u32 s3, s19, s3
	s_and_b32 vcc_lo, exec_lo, s6
	s_cbranch_vccnz .LBB380_7
; %bb.4:
	v_mad_u64_u32 v[10:11], null, v4, s0, 0
	s_lshl_b64 s[6:7], s[0:1], 5
	v_fma_mixlo_f16 v14, s4, v9, 0
	v_fma_mixlo_f16 v15, s4, v8, 0
	v_fma_mixlo_f16 v16, s4, v2, 0
	v_fma_mixlo_f16 v17, s4, v3, 0
	v_add3_u32 v11, v11, v6, v5
	v_lshlrev_b64 v[10:11], 1, v[10:11]
	v_add_co_u32 v10, vcc_lo, s2, v10
	v_add_co_ci_u32_e64 v11, null, s3, v11, vcc_lo
	v_add_co_u32 v12, vcc_lo, v10, s6
	v_add_co_ci_u32_e64 v13, null, s7, v11, vcc_lo
	;; [unrolled: 2-line block ×4, first 2 shown]
	global_store_short v[10:11], v14, off
	global_store_short v[10:11], v15, off offset:32
	global_store_short v[12:13], v16, off
	global_store_short v[12:13], v17, off offset:32
	s_andn2_b32 vcc_lo, exec_lo, s5
	s_cbranch_vccnz .LBB380_6
.LBB380_5:
	v_mul_lo_u32 v7, v7, s14
	v_mul_lo_u32 v12, v4, s15
	v_mad_u64_u32 v[10:11], null, v4, s14, 0
	s_mul_i32 s5, s17, s8
	s_mul_hi_u32 s7, s16, s8
	s_mul_i32 s6, s16, s8
	s_add_i32 s7, s7, s5
	s_lshl_b64 s[6:7], s[6:7], 1
	v_add3_u32 v11, v11, v12, v7
	s_add_u32 s5, s12, s6
	s_addc_u32 s6, s13, s7
	v_mad_u64_u32 v[12:13], null, v4, s0, 0
	v_lshlrev_b64 v[10:11], 1, v[10:11]
	s_lshl_b64 s[0:1], s[0:1], 5
	v_add3_u32 v13, v13, v6, v5
	v_add_co_u32 v7, vcc_lo, s5, v10
	v_add_co_ci_u32_e64 v14, null, s6, v11, vcc_lo
	v_lshlrev_b64 v[4:5], 1, v[12:13]
	v_add_co_u32 v10, vcc_lo, v7, v0
	v_add_co_ci_u32_e64 v11, null, v14, v1, vcc_lo
	v_add_co_u32 v12, vcc_lo, s2, v4
	global_load_ushort v15, v[10:11], off
	v_add_co_ci_u32_e64 v13, null, s3, v5, vcc_lo
	v_add_co_u32 v4, vcc_lo, v12, v0
	s_lshl_b64 s[2:3], s[14:15], 5
	v_add_co_ci_u32_e64 v5, null, v13, v1, vcc_lo
	v_add_co_u32 v7, vcc_lo, v7, s2
	s_waitcnt vmcnt(0)
	v_cvt_f32_f16_e32 v6, v15
	v_mul_f32_e32 v6, s9, v6
	v_fma_mixlo_f16 v6, s4, v9, v6
	v_add_co_ci_u32_e64 v9, null, s3, v14, vcc_lo
	global_store_short v[4:5], v6, off
	global_load_ushort v6, v[10:11], off offset:32
	s_waitcnt vmcnt(0)
	v_cvt_f32_f16_e32 v6, v6
	v_mul_f32_e32 v6, s9, v6
	v_fma_mixlo_f16 v8, s4, v8, v6
	v_add_co_u32 v6, vcc_lo, v7, v0
	v_add_co_ci_u32_e64 v7, null, v9, v1, vcc_lo
	global_store_short v[4:5], v8, off offset:32
	v_add_co_u32 v5, vcc_lo, v12, s0
	global_load_ushort v4, v[6:7], off
	v_add_co_ci_u32_e64 v8, null, s1, v13, vcc_lo
	v_add_co_u32 v0, vcc_lo, v5, v0
	v_add_co_ci_u32_e64 v1, null, v8, v1, vcc_lo
	s_waitcnt vmcnt(0)
	v_cvt_f32_f16_e32 v4, v4
	v_mul_f32_e32 v4, s9, v4
	v_fma_mixlo_f16 v2, s4, v2, v4
	global_store_short v[0:1], v2, off
	global_load_ushort v2, v[6:7], off offset:32
	s_waitcnt vmcnt(0)
	v_cvt_f32_f16_e32 v2, v2
	v_mul_f32_e32 v2, s9, v2
	v_fma_mixlo_f16 v2, s4, v3, v2
	global_store_short v[0:1], v2, off offset:32
.LBB380_6:
	s_endpgm
.LBB380_7:
	s_branch .LBB380_5
	.section	.rodata,"a",@progbits
	.p2align	6, 0x0
	.amdhsa_kernel _ZN12_GLOBAL__N_127rocblas_gemm_batched_kernelIfLi16ELi16ELi32ELi32ELi8ELi32ELi8ELi8ELi32ELc84ELc67EKDF16_S1_DF16_EEvlllT_PT11_llS4_llS2_PT12_llPT13_lli
		.amdhsa_group_segment_fixed_size 2048
		.amdhsa_private_segment_fixed_size 0
		.amdhsa_kernarg_size 140
		.amdhsa_user_sgpr_count 6
		.amdhsa_user_sgpr_private_segment_buffer 1
		.amdhsa_user_sgpr_dispatch_ptr 0
		.amdhsa_user_sgpr_queue_ptr 0
		.amdhsa_user_sgpr_kernarg_segment_ptr 1
		.amdhsa_user_sgpr_dispatch_id 0
		.amdhsa_user_sgpr_flat_scratch_init 0
		.amdhsa_user_sgpr_private_segment_size 0
		.amdhsa_wavefront_size32 1
		.amdhsa_uses_dynamic_stack 0
		.amdhsa_system_sgpr_private_segment_wavefront_offset 0
		.amdhsa_system_sgpr_workgroup_id_x 1
		.amdhsa_system_sgpr_workgroup_id_y 1
		.amdhsa_system_sgpr_workgroup_id_z 1
		.amdhsa_system_sgpr_workgroup_info 0
		.amdhsa_system_vgpr_workitem_id 1
		.amdhsa_next_free_vgpr 46
		.amdhsa_next_free_sgpr 22
		.amdhsa_reserve_vcc 1
		.amdhsa_reserve_flat_scratch 0
		.amdhsa_float_round_mode_32 0
		.amdhsa_float_round_mode_16_64 0
		.amdhsa_float_denorm_mode_32 3
		.amdhsa_float_denorm_mode_16_64 3
		.amdhsa_dx10_clamp 1
		.amdhsa_ieee_mode 1
		.amdhsa_fp16_overflow 0
		.amdhsa_workgroup_processor_mode 1
		.amdhsa_memory_ordered 1
		.amdhsa_forward_progress 1
		.amdhsa_shared_vgpr_count 0
		.amdhsa_exception_fp_ieee_invalid_op 0
		.amdhsa_exception_fp_denorm_src 0
		.amdhsa_exception_fp_ieee_div_zero 0
		.amdhsa_exception_fp_ieee_overflow 0
		.amdhsa_exception_fp_ieee_underflow 0
		.amdhsa_exception_fp_ieee_inexact 0
		.amdhsa_exception_int_div_zero 0
	.end_amdhsa_kernel
	.section	.text._ZN12_GLOBAL__N_127rocblas_gemm_batched_kernelIfLi16ELi16ELi32ELi32ELi8ELi32ELi8ELi8ELi32ELc84ELc67EKDF16_S1_DF16_EEvlllT_PT11_llS4_llS2_PT12_llPT13_lli,"axG",@progbits,_ZN12_GLOBAL__N_127rocblas_gemm_batched_kernelIfLi16ELi16ELi32ELi32ELi8ELi32ELi8ELi8ELi32ELc84ELc67EKDF16_S1_DF16_EEvlllT_PT11_llS4_llS2_PT12_llPT13_lli,comdat
.Lfunc_end380:
	.size	_ZN12_GLOBAL__N_127rocblas_gemm_batched_kernelIfLi16ELi16ELi32ELi32ELi8ELi32ELi8ELi8ELi32ELc84ELc67EKDF16_S1_DF16_EEvlllT_PT11_llS4_llS2_PT12_llPT13_lli, .Lfunc_end380-_ZN12_GLOBAL__N_127rocblas_gemm_batched_kernelIfLi16ELi16ELi32ELi32ELi8ELi32ELi8ELi8ELi32ELc84ELc67EKDF16_S1_DF16_EEvlllT_PT11_llS4_llS2_PT12_llPT13_lli
                                        ; -- End function
	.set _ZN12_GLOBAL__N_127rocblas_gemm_batched_kernelIfLi16ELi16ELi32ELi32ELi8ELi32ELi8ELi8ELi32ELc84ELc67EKDF16_S1_DF16_EEvlllT_PT11_llS4_llS2_PT12_llPT13_lli.num_vgpr, 46
	.set _ZN12_GLOBAL__N_127rocblas_gemm_batched_kernelIfLi16ELi16ELi32ELi32ELi8ELi32ELi8ELi8ELi32ELc84ELc67EKDF16_S1_DF16_EEvlllT_PT11_llS4_llS2_PT12_llPT13_lli.num_agpr, 0
	.set _ZN12_GLOBAL__N_127rocblas_gemm_batched_kernelIfLi16ELi16ELi32ELi32ELi8ELi32ELi8ELi8ELi32ELc84ELc67EKDF16_S1_DF16_EEvlllT_PT11_llS4_llS2_PT12_llPT13_lli.numbered_sgpr, 22
	.set _ZN12_GLOBAL__N_127rocblas_gemm_batched_kernelIfLi16ELi16ELi32ELi32ELi8ELi32ELi8ELi8ELi32ELc84ELc67EKDF16_S1_DF16_EEvlllT_PT11_llS4_llS2_PT12_llPT13_lli.num_named_barrier, 0
	.set _ZN12_GLOBAL__N_127rocblas_gemm_batched_kernelIfLi16ELi16ELi32ELi32ELi8ELi32ELi8ELi8ELi32ELc84ELc67EKDF16_S1_DF16_EEvlllT_PT11_llS4_llS2_PT12_llPT13_lli.private_seg_size, 0
	.set _ZN12_GLOBAL__N_127rocblas_gemm_batched_kernelIfLi16ELi16ELi32ELi32ELi8ELi32ELi8ELi8ELi32ELc84ELc67EKDF16_S1_DF16_EEvlllT_PT11_llS4_llS2_PT12_llPT13_lli.uses_vcc, 1
	.set _ZN12_GLOBAL__N_127rocblas_gemm_batched_kernelIfLi16ELi16ELi32ELi32ELi8ELi32ELi8ELi8ELi32ELc84ELc67EKDF16_S1_DF16_EEvlllT_PT11_llS4_llS2_PT12_llPT13_lli.uses_flat_scratch, 0
	.set _ZN12_GLOBAL__N_127rocblas_gemm_batched_kernelIfLi16ELi16ELi32ELi32ELi8ELi32ELi8ELi8ELi32ELc84ELc67EKDF16_S1_DF16_EEvlllT_PT11_llS4_llS2_PT12_llPT13_lli.has_dyn_sized_stack, 0
	.set _ZN12_GLOBAL__N_127rocblas_gemm_batched_kernelIfLi16ELi16ELi32ELi32ELi8ELi32ELi8ELi8ELi32ELc84ELc67EKDF16_S1_DF16_EEvlllT_PT11_llS4_llS2_PT12_llPT13_lli.has_recursion, 0
	.set _ZN12_GLOBAL__N_127rocblas_gemm_batched_kernelIfLi16ELi16ELi32ELi32ELi8ELi32ELi8ELi8ELi32ELc84ELc67EKDF16_S1_DF16_EEvlllT_PT11_llS4_llS2_PT12_llPT13_lli.has_indirect_call, 0
	.section	.AMDGPU.csdata,"",@progbits
; Kernel info:
; codeLenInByte = 1448
; TotalNumSgprs: 24
; NumVgprs: 46
; ScratchSize: 0
; MemoryBound: 0
; FloatMode: 240
; IeeeMode: 1
; LDSByteSize: 2048 bytes/workgroup (compile time only)
; SGPRBlocks: 0
; VGPRBlocks: 5
; NumSGPRsForWavesPerEU: 24
; NumVGPRsForWavesPerEU: 46
; Occupancy: 16
; WaveLimiterHint : 0
; COMPUTE_PGM_RSRC2:SCRATCH_EN: 0
; COMPUTE_PGM_RSRC2:USER_SGPR: 6
; COMPUTE_PGM_RSRC2:TRAP_HANDLER: 0
; COMPUTE_PGM_RSRC2:TGID_X_EN: 1
; COMPUTE_PGM_RSRC2:TGID_Y_EN: 1
; COMPUTE_PGM_RSRC2:TGID_Z_EN: 1
; COMPUTE_PGM_RSRC2:TIDIG_COMP_CNT: 1
	.section	.text._ZN12_GLOBAL__N_135rocblas_gemm_batched_general_kernelIfLi16ELi16ELi32ELi32ELi8ELi32ELi8ELi8ELi32ELc78ELc78EKDF16_S1_DF16_EEvlllT_PT11_llS4_llS2_PT12_llPT13_lli,"axG",@progbits,_ZN12_GLOBAL__N_135rocblas_gemm_batched_general_kernelIfLi16ELi16ELi32ELi32ELi8ELi32ELi8ELi8ELi32ELc78ELc78EKDF16_S1_DF16_EEvlllT_PT11_llS4_llS2_PT12_llPT13_lli,comdat
	.globl	_ZN12_GLOBAL__N_135rocblas_gemm_batched_general_kernelIfLi16ELi16ELi32ELi32ELi8ELi32ELi8ELi8ELi32ELc78ELc78EKDF16_S1_DF16_EEvlllT_PT11_llS4_llS2_PT12_llPT13_lli ; -- Begin function _ZN12_GLOBAL__N_135rocblas_gemm_batched_general_kernelIfLi16ELi16ELi32ELi32ELi8ELi32ELi8ELi8ELi32ELc78ELc78EKDF16_S1_DF16_EEvlllT_PT11_llS4_llS2_PT12_llPT13_lli
	.p2align	8
	.type	_ZN12_GLOBAL__N_135rocblas_gemm_batched_general_kernelIfLi16ELi16ELi32ELi32ELi8ELi32ELi8ELi8ELi32ELc78ELc78EKDF16_S1_DF16_EEvlllT_PT11_llS4_llS2_PT12_llPT13_lli,@function
_ZN12_GLOBAL__N_135rocblas_gemm_batched_general_kernelIfLi16ELi16ELi32ELi32ELi8ELi32ELi8ELi8ELi32ELc78ELc78EKDF16_S1_DF16_EEvlllT_PT11_llS4_llS2_PT12_llPT13_lli: ; @_ZN12_GLOBAL__N_135rocblas_gemm_batched_general_kernelIfLi16ELi16ELi32ELi32ELi8ELi32ELi8ELi8ELi32ELc78ELc78EKDF16_S1_DF16_EEvlllT_PT11_llS4_llS2_PT12_llPT13_lli
; %bb.0:
	s_clause 0x1
	s_load_dwordx2 s[24:25], s[4:5], 0x10
	s_load_dwordx4 s[20:23], s[4:5], 0x0
	s_mov_b32 s0, s7
	v_mov_b32_e32 v10, 0
	v_mov_b32_e32 v9, 0
	;; [unrolled: 1-line block ×4, first 2 shown]
	s_ashr_i32 s7, s6, 31
	s_ashr_i32 s1, s0, 31
	s_lshl_b64 s[10:11], s[6:7], 5
	s_lshl_b64 s[28:29], s[0:1], 5
	s_waitcnt lgkmcnt(0)
	v_cmp_lt_i64_e64 s2, s[24:25], 1
	s_and_b32 vcc_lo, exec_lo, s2
	s_cbranch_vccnz .LBB381_7
; %bb.1:
	s_clause 0x1
	s_load_dwordx4 s[0:3], s[4:5], 0x40
	s_load_dwordx8 s[12:19], s[4:5], 0x20
	v_lshl_add_u32 v2, v1, 4, v0
	v_mov_b32_e32 v3, s11
	v_and_b32_e32 v6, 7, v0
	s_lshl_b64 s[6:7], s[6:7], 6
	v_mov_b32_e32 v7, 0
	v_lshrrev_b32_e32 v10, 3, v2
	v_lshrrev_b32_e32 v13, 5, v2
	v_and_b32_e32 v18, 31, v2
	v_lshlrev_b32_e32 v14, 2, v6
	v_lshlrev_b32_e32 v11, 2, v0
	v_add_co_u32 v4, s9, v10, s28
	v_add_co_ci_u32_e64 v5, null, 0, s29, s9
	v_or_b32_e32 v2, s10, v18
	v_lshlrev_b32_e32 v15, 2, v18
	v_lshl_or_b32 v10, v10, 5, v14
	v_lshl_add_u32 v12, v1, 5, 0x400
	s_waitcnt lgkmcnt(0)
	v_mul_lo_u32 v19, s1, v4
	v_mad_u64_u32 v[8:9], null, s14, v13, 0
	v_mul_lo_u32 v20, s0, v5
	v_mad_u64_u32 v[16:17], null, s0, v4, 0
	v_cmp_gt_i64_e64 s0, s[20:21], v[2:3]
	v_cmp_gt_i64_e64 s1, s[22:23], v[4:5]
	s_mul_i32 s3, s3, s8
	v_mov_b32_e32 v2, v9
	s_mul_hi_u32 s9, s2, s8
	s_mul_i32 s2, s2, s8
	v_add3_u32 v17, v17, v20, v19
	s_add_i32 s3, s9, s3
	v_mad_u64_u32 v[2:3], null, s15, v13, v[2:3]
	s_lshl_b64 s[2:3], s[2:3], 1
	v_lshlrev_b64 v[3:4], 1, v[16:17]
	s_mul_i32 s17, s17, s8
	s_mul_hi_u32 s9, s16, s8
	v_lshl_or_b32 v14, v13, 7, v15
	v_add_nc_u32_e32 v15, 0x400, v10
	v_mov_b32_e32 v9, v2
	v_add_co_u32 v5, vcc_lo, v3, s2
	v_add_co_ci_u32_e64 v4, null, s3, v4, vcc_lo
	s_add_i32 s3, s9, s17
	s_mul_i32 s2, s16, s8
	v_lshlrev_b64 v[2:3], 1, v[8:9]
	s_lshl_b64 s[2:3], s[2:3], 1
	v_lshlrev_b32_e32 v8, 1, v6
	s_add_u32 s2, s6, s2
	s_addc_u32 s3, s7, s3
	v_lshlrev_b32_e32 v9, 1, v18
	v_add_co_u32 v2, vcc_lo, s2, v2
	v_add_co_ci_u32_e64 v3, null, s3, v3, vcc_lo
	v_add_co_u32 v5, vcc_lo, v5, v8
	v_add_co_ci_u32_e64 v4, null, 0, v4, vcc_lo
	;; [unrolled: 2-line block ×5, first 2 shown]
	v_mov_b32_e32 v8, 0
	v_mov_b32_e32 v9, 0
	;; [unrolled: 1-line block ×3, first 2 shown]
	s_lshl_b64 s[2:3], s[14:15], 4
	s_mov_b64 s[6:7], 0
	s_branch .LBB381_3
.LBB381_2:                              ;   in Loop: Header=BB381_3 Depth=1
	s_or_b32 exec_lo, exec_lo, s9
	ds_write_b32 v15, v17
	s_waitcnt lgkmcnt(0)
	s_barrier
	buffer_gl0_inv
	ds_read_b128 v[16:19], v12
	ds_read2_b32 v[32:33], v11 offset1:16
	ds_read_b128 v[20:23], v12 offset:512
	ds_read2_b32 v[34:35], v11 offset0:32 offset1:48
	ds_read2_b32 v[36:37], v11 offset0:64 offset1:80
	;; [unrolled: 1-line block ×3, first 2 shown]
	ds_read_b128 v[24:27], v12 offset:16
	ds_read2_b32 v[40:41], v11 offset0:128 offset1:144
	ds_read_b128 v[28:31], v12 offset:528
	ds_read2_b32 v[42:43], v11 offset0:160 offset1:176
	s_add_u32 s6, s6, 8
	s_addc_u32 s7, s7, 0
	v_add_co_u32 v2, vcc_lo, v2, 16
	v_cmp_lt_i64_e64 s9, s[6:7], s[24:25]
	v_add_co_ci_u32_e64 v3, null, 0, v3, vcc_lo
	v_add_co_u32 v4, vcc_lo, v4, s2
	v_add_co_ci_u32_e64 v5, null, s3, v5, vcc_lo
	s_waitcnt lgkmcnt(8)
	v_fmac_f32_e32 v10, v32, v16
	v_fmac_f32_e32 v9, v33, v16
	s_waitcnt lgkmcnt(7)
	v_fmac_f32_e32 v8, v32, v20
	v_fmac_f32_e32 v7, v33, v20
	ds_read2_b32 v[32:33], v11 offset0:192 offset1:208
	s_waitcnt lgkmcnt(7)
	v_fmac_f32_e32 v10, v34, v17
	v_fmac_f32_e32 v9, v35, v17
	;; [unrolled: 1-line block ×4, first 2 shown]
	ds_read2_b32 v[16:17], v11 offset0:224 offset1:240
	s_waitcnt lgkmcnt(7)
	v_fmac_f32_e32 v10, v36, v18
	v_fmac_f32_e32 v9, v37, v18
	;; [unrolled: 1-line block ×4, first 2 shown]
	s_and_b32 vcc_lo, exec_lo, s9
	s_waitcnt lgkmcnt(6)
	v_fmac_f32_e32 v10, v38, v19
	v_fmac_f32_e32 v9, v39, v19
	;; [unrolled: 1-line block ×4, first 2 shown]
	s_waitcnt lgkmcnt(0)
	v_fmac_f32_e32 v10, v40, v24
	v_fmac_f32_e32 v9, v41, v24
	;; [unrolled: 1-line block ×4, first 2 shown]
	s_barrier
	v_fmac_f32_e32 v10, v42, v25
	v_fmac_f32_e32 v9, v43, v25
	;; [unrolled: 1-line block ×4, first 2 shown]
	buffer_gl0_inv
	v_fmac_f32_e32 v10, v32, v26
	v_fmac_f32_e32 v9, v33, v26
	;; [unrolled: 1-line block ×8, first 2 shown]
	s_cbranch_vccz .LBB381_7
.LBB381_3:                              ; =>This Inner Loop Header: Depth=1
	v_add_co_u32 v16, s9, v13, s6
	v_add_co_ci_u32_e64 v17, null, 0, s7, s9
	v_cmp_gt_i64_e32 vcc_lo, s[24:25], v[16:17]
	v_mov_b32_e32 v16, 0
	s_and_b32 s12, s0, vcc_lo
	s_and_saveexec_b32 s9, s12
	s_cbranch_execz .LBB381_5
; %bb.4:                                ;   in Loop: Header=BB381_3 Depth=1
	global_load_ushort v16, v[4:5], off
	s_waitcnt vmcnt(0)
	v_cvt_f32_f16_e32 v16, v16
.LBB381_5:                              ;   in Loop: Header=BB381_3 Depth=1
	s_or_b32 exec_lo, exec_lo, s9
	v_add_co_u32 v17, s9, v6, s6
	v_add_co_ci_u32_e64 v18, null, 0, s7, s9
	ds_write_b32 v14, v16
	v_cmp_gt_i64_e32 vcc_lo, s[24:25], v[17:18]
	v_mov_b32_e32 v17, 0
	s_and_b32 s12, vcc_lo, s1
	s_and_saveexec_b32 s9, s12
	s_cbranch_execz .LBB381_2
; %bb.6:                                ;   in Loop: Header=BB381_3 Depth=1
	global_load_ushort v16, v[2:3], off
	s_waitcnt vmcnt(0)
	v_cvt_f32_f16_e32 v17, v16
	s_branch .LBB381_2
.LBB381_7:
	s_clause 0x3
	s_load_dwordx4 s[24:27], s[4:5], 0x78
	s_load_dword s3, s[4:5], 0x50
	s_load_dwordx8 s[12:19], s[4:5], 0x58
	s_load_dword s4, s[4:5], 0x18
	v_add_co_u32 v1, s0, s28, v1
	v_add_co_ci_u32_e64 v2, null, s29, 0, s0
	s_waitcnt lgkmcnt(0)
	s_mul_i32 s1, s27, s8
	s_mul_hi_u32 s2, s26, s8
	s_mul_i32 s0, s26, s8
	s_add_i32 s1, s2, s1
	v_cmp_neq_f32_e64 s2, s3, 0
	s_lshl_b64 s[6:7], s[0:1], 1
	v_cmp_gt_i64_e64 s0, s[22:23], v[1:2]
	s_add_u32 s5, s18, s6
	s_addc_u32 s6, s19, s7
	s_and_b32 vcc_lo, exec_lo, s2
	s_cbranch_vccnz .LBB381_20
; %bb.8:
	s_and_saveexec_b32 s7, s0
	s_cbranch_execz .LBB381_18
; %bb.9:
	v_mul_lo_u32 v5, v2, s24
	v_mul_lo_u32 v6, v1, s25
	v_mad_u64_u32 v[3:4], null, v1, s24, 0
	v_add3_u32 v4, v4, v6, v5
	v_add_co_u32 v5, s1, s10, v0
	v_add_co_ci_u32_e64 v6, null, s11, 0, s1
	v_lshlrev_b64 v[11:12], 1, v[3:4]
	v_cmp_gt_i64_e32 vcc_lo, s[20:21], v[5:6]
	v_lshlrev_b64 v[3:4], 1, v[5:6]
	v_add_co_u32 v11, s1, s5, v11
	v_add_co_ci_u32_e64 v12, null, s6, v12, s1
	s_and_saveexec_b32 s2, vcc_lo
	s_cbranch_execz .LBB381_11
; %bb.10:
	v_add_co_u32 v13, s1, v11, v3
	v_add_co_ci_u32_e64 v14, null, v12, v4, s1
	v_fma_mixlo_f16 v15, s4, v10, 0
	global_store_short v[13:14], v15, off
.LBB381_11:
	s_or_b32 exec_lo, exec_lo, s2
	v_add_co_u32 v5, s1, v5, 16
	v_add_co_ci_u32_e64 v6, null, 0, v6, s1
	v_cmp_gt_i64_e64 s1, s[20:21], v[5:6]
	s_and_saveexec_b32 s9, s1
	s_cbranch_execz .LBB381_13
; %bb.12:
	v_add_co_u32 v5, s2, v11, v3
	v_add_co_ci_u32_e64 v6, null, v12, v4, s2
	v_fma_mixlo_f16 v13, s4, v9, 0
	global_store_short v[5:6], v13, off offset:32
.LBB381_13:
	s_or_b32 exec_lo, exec_lo, s9
	v_add_co_u32 v5, s2, v1, 16
	v_add_co_ci_u32_e64 v6, null, 0, v2, s2
	v_cmp_gt_i64_e64 s2, s[22:23], v[5:6]
	s_and_b32 exec_lo, exec_lo, s2
	s_cbranch_execz .LBB381_18
; %bb.14:
	s_lshl_b64 s[18:19], s[24:25], 5
	v_add_co_u32 v5, s2, v11, s18
	v_add_co_ci_u32_e64 v6, null, s19, v12, s2
	v_add_co_u32 v3, s2, v5, v3
	v_add_co_ci_u32_e64 v4, null, v6, v4, s2
	s_and_saveexec_b32 s2, vcc_lo
	s_cbranch_execz .LBB381_16
; %bb.15:
	v_fma_mixlo_f16 v5, s4, v8, 0
	global_store_short v[3:4], v5, off
.LBB381_16:
	s_or_b32 exec_lo, exec_lo, s2
	s_and_b32 exec_lo, exec_lo, s1
	s_cbranch_execz .LBB381_18
; %bb.17:
	v_fma_mixlo_f16 v5, s4, v7, 0
	global_store_short v[3:4], v5, off offset:32
.LBB381_18:
	s_or_b32 exec_lo, exec_lo, s7
	s_cbranch_execz .LBB381_21
.LBB381_19:
	s_endpgm
.LBB381_20:
.LBB381_21:
	s_and_saveexec_b32 s1, s0
	s_cbranch_execz .LBB381_19
; %bb.22:
	v_mul_lo_u32 v5, v2, s14
	v_mul_lo_u32 v6, v1, s15
	v_mad_u64_u32 v[3:4], null, v1, s14, 0
	v_mul_lo_u32 v13, v2, s24
	v_mul_lo_u32 v14, v1, s25
	v_mad_u64_u32 v[11:12], null, v1, s24, 0
	s_mul_i32 s0, s17, s8
	s_mul_hi_u32 s1, s16, s8
	v_add3_u32 v4, v4, v6, v5
	s_add_i32 s1, s1, s0
	s_mul_i32 s0, s16, s8
	v_add_co_u32 v5, s2, s10, v0
	v_add3_u32 v12, v12, v14, v13
	v_lshlrev_b64 v[3:4], 1, v[3:4]
	s_lshl_b64 s[0:1], s[0:1], 1
	v_add_co_ci_u32_e64 v6, null, s11, 0, s2
	v_lshlrev_b64 v[12:13], 1, v[11:12]
	s_add_u32 s0, s12, s0
	s_addc_u32 s1, s13, s1
	v_add_co_u32 v0, s0, s0, v3
	v_add_co_ci_u32_e64 v11, null, s1, v4, s0
	v_add_co_u32 v12, s0, s5, v12
	v_cmp_gt_i64_e32 vcc_lo, s[20:21], v[5:6]
	v_lshlrev_b64 v[3:4], 1, v[5:6]
	v_add_co_ci_u32_e64 v13, null, s6, v13, s0
	s_and_saveexec_b32 s1, vcc_lo
	s_cbranch_execz .LBB381_24
; %bb.23:
	v_add_co_u32 v14, s0, v0, v3
	v_add_co_ci_u32_e64 v15, null, v11, v4, s0
	global_load_ushort v14, v[14:15], off
	s_waitcnt vmcnt(0)
	v_cvt_f32_f16_e32 v14, v14
	v_mul_f32_e32 v14, s3, v14
	v_fma_mixlo_f16 v10, s4, v10, v14
	v_add_co_u32 v14, s0, v12, v3
	v_add_co_ci_u32_e64 v15, null, v13, v4, s0
	global_store_short v[14:15], v10, off
.LBB381_24:
	s_or_b32 exec_lo, exec_lo, s1
	v_add_co_u32 v5, s0, v5, 16
	v_add_co_ci_u32_e64 v6, null, 0, v6, s0
	v_cmp_gt_i64_e64 s0, s[20:21], v[5:6]
	s_and_saveexec_b32 s2, s0
	s_cbranch_execz .LBB381_26
; %bb.25:
	v_add_co_u32 v5, s1, v0, v3
	v_add_co_ci_u32_e64 v6, null, v11, v4, s1
	global_load_ushort v5, v[5:6], off offset:32
	s_waitcnt vmcnt(0)
	v_cvt_f32_f16_e32 v5, v5
	v_mul_f32_e32 v5, s3, v5
	v_fma_mixlo_f16 v9, s4, v9, v5
	v_add_co_u32 v5, s1, v12, v3
	v_add_co_ci_u32_e64 v6, null, v13, v4, s1
	global_store_short v[5:6], v9, off offset:32
.LBB381_26:
	s_or_b32 exec_lo, exec_lo, s2
	v_add_co_u32 v1, s1, v1, 16
	v_add_co_ci_u32_e64 v2, null, 0, v2, s1
	v_cmp_gt_i64_e64 s1, s[22:23], v[1:2]
	s_and_b32 exec_lo, exec_lo, s1
	s_cbranch_execz .LBB381_19
; %bb.27:
	s_lshl_b64 s[6:7], s[14:15], 5
	v_add_co_u32 v0, s1, v0, s6
	v_add_co_ci_u32_e64 v1, null, s7, v11, s1
	s_lshl_b64 s[6:7], s[24:25], 5
	v_add_co_u32 v2, s1, v12, s6
	v_add_co_ci_u32_e64 v5, null, s7, v13, s1
	v_add_co_u32 v0, s1, v0, v3
	v_add_co_ci_u32_e64 v1, null, v1, v4, s1
	;; [unrolled: 2-line block ×3, first 2 shown]
	s_and_saveexec_b32 s1, vcc_lo
	s_cbranch_execz .LBB381_29
; %bb.28:
	global_load_ushort v4, v[0:1], off
	s_waitcnt vmcnt(0)
	v_cvt_f32_f16_e32 v4, v4
	v_mul_f32_e32 v4, s3, v4
	v_fma_mixlo_f16 v4, s4, v8, v4
	global_store_short v[2:3], v4, off
.LBB381_29:
	s_or_b32 exec_lo, exec_lo, s1
	s_and_b32 exec_lo, exec_lo, s0
	s_cbranch_execz .LBB381_19
; %bb.30:
	global_load_ushort v0, v[0:1], off offset:32
	s_waitcnt vmcnt(0)
	v_cvt_f32_f16_e32 v0, v0
	v_mul_f32_e32 v0, s3, v0
	v_fma_mixlo_f16 v0, s4, v7, v0
	global_store_short v[2:3], v0, off offset:32
	s_endpgm
	.section	.rodata,"a",@progbits
	.p2align	6, 0x0
	.amdhsa_kernel _ZN12_GLOBAL__N_135rocblas_gemm_batched_general_kernelIfLi16ELi16ELi32ELi32ELi8ELi32ELi8ELi8ELi32ELc78ELc78EKDF16_S1_DF16_EEvlllT_PT11_llS4_llS2_PT12_llPT13_lli
		.amdhsa_group_segment_fixed_size 2048
		.amdhsa_private_segment_fixed_size 0
		.amdhsa_kernarg_size 140
		.amdhsa_user_sgpr_count 6
		.amdhsa_user_sgpr_private_segment_buffer 1
		.amdhsa_user_sgpr_dispatch_ptr 0
		.amdhsa_user_sgpr_queue_ptr 0
		.amdhsa_user_sgpr_kernarg_segment_ptr 1
		.amdhsa_user_sgpr_dispatch_id 0
		.amdhsa_user_sgpr_flat_scratch_init 0
		.amdhsa_user_sgpr_private_segment_size 0
		.amdhsa_wavefront_size32 1
		.amdhsa_uses_dynamic_stack 0
		.amdhsa_system_sgpr_private_segment_wavefront_offset 0
		.amdhsa_system_sgpr_workgroup_id_x 1
		.amdhsa_system_sgpr_workgroup_id_y 1
		.amdhsa_system_sgpr_workgroup_id_z 1
		.amdhsa_system_sgpr_workgroup_info 0
		.amdhsa_system_vgpr_workitem_id 1
		.amdhsa_next_free_vgpr 44
		.amdhsa_next_free_sgpr 30
		.amdhsa_reserve_vcc 1
		.amdhsa_reserve_flat_scratch 0
		.amdhsa_float_round_mode_32 0
		.amdhsa_float_round_mode_16_64 0
		.amdhsa_float_denorm_mode_32 3
		.amdhsa_float_denorm_mode_16_64 3
		.amdhsa_dx10_clamp 1
		.amdhsa_ieee_mode 1
		.amdhsa_fp16_overflow 0
		.amdhsa_workgroup_processor_mode 1
		.amdhsa_memory_ordered 1
		.amdhsa_forward_progress 1
		.amdhsa_shared_vgpr_count 0
		.amdhsa_exception_fp_ieee_invalid_op 0
		.amdhsa_exception_fp_denorm_src 0
		.amdhsa_exception_fp_ieee_div_zero 0
		.amdhsa_exception_fp_ieee_overflow 0
		.amdhsa_exception_fp_ieee_underflow 0
		.amdhsa_exception_fp_ieee_inexact 0
		.amdhsa_exception_int_div_zero 0
	.end_amdhsa_kernel
	.section	.text._ZN12_GLOBAL__N_135rocblas_gemm_batched_general_kernelIfLi16ELi16ELi32ELi32ELi8ELi32ELi8ELi8ELi32ELc78ELc78EKDF16_S1_DF16_EEvlllT_PT11_llS4_llS2_PT12_llPT13_lli,"axG",@progbits,_ZN12_GLOBAL__N_135rocblas_gemm_batched_general_kernelIfLi16ELi16ELi32ELi32ELi8ELi32ELi8ELi8ELi32ELc78ELc78EKDF16_S1_DF16_EEvlllT_PT11_llS4_llS2_PT12_llPT13_lli,comdat
.Lfunc_end381:
	.size	_ZN12_GLOBAL__N_135rocblas_gemm_batched_general_kernelIfLi16ELi16ELi32ELi32ELi8ELi32ELi8ELi8ELi32ELc78ELc78EKDF16_S1_DF16_EEvlllT_PT11_llS4_llS2_PT12_llPT13_lli, .Lfunc_end381-_ZN12_GLOBAL__N_135rocblas_gemm_batched_general_kernelIfLi16ELi16ELi32ELi32ELi8ELi32ELi8ELi8ELi32ELc78ELc78EKDF16_S1_DF16_EEvlllT_PT11_llS4_llS2_PT12_llPT13_lli
                                        ; -- End function
	.set _ZN12_GLOBAL__N_135rocblas_gemm_batched_general_kernelIfLi16ELi16ELi32ELi32ELi8ELi32ELi8ELi8ELi32ELc78ELc78EKDF16_S1_DF16_EEvlllT_PT11_llS4_llS2_PT12_llPT13_lli.num_vgpr, 44
	.set _ZN12_GLOBAL__N_135rocblas_gemm_batched_general_kernelIfLi16ELi16ELi32ELi32ELi8ELi32ELi8ELi8ELi32ELc78ELc78EKDF16_S1_DF16_EEvlllT_PT11_llS4_llS2_PT12_llPT13_lli.num_agpr, 0
	.set _ZN12_GLOBAL__N_135rocblas_gemm_batched_general_kernelIfLi16ELi16ELi32ELi32ELi8ELi32ELi8ELi8ELi32ELc78ELc78EKDF16_S1_DF16_EEvlllT_PT11_llS4_llS2_PT12_llPT13_lli.numbered_sgpr, 30
	.set _ZN12_GLOBAL__N_135rocblas_gemm_batched_general_kernelIfLi16ELi16ELi32ELi32ELi8ELi32ELi8ELi8ELi32ELc78ELc78EKDF16_S1_DF16_EEvlllT_PT11_llS4_llS2_PT12_llPT13_lli.num_named_barrier, 0
	.set _ZN12_GLOBAL__N_135rocblas_gemm_batched_general_kernelIfLi16ELi16ELi32ELi32ELi8ELi32ELi8ELi8ELi32ELc78ELc78EKDF16_S1_DF16_EEvlllT_PT11_llS4_llS2_PT12_llPT13_lli.private_seg_size, 0
	.set _ZN12_GLOBAL__N_135rocblas_gemm_batched_general_kernelIfLi16ELi16ELi32ELi32ELi8ELi32ELi8ELi8ELi32ELc78ELc78EKDF16_S1_DF16_EEvlllT_PT11_llS4_llS2_PT12_llPT13_lli.uses_vcc, 1
	.set _ZN12_GLOBAL__N_135rocblas_gemm_batched_general_kernelIfLi16ELi16ELi32ELi32ELi8ELi32ELi8ELi8ELi32ELc78ELc78EKDF16_S1_DF16_EEvlllT_PT11_llS4_llS2_PT12_llPT13_lli.uses_flat_scratch, 0
	.set _ZN12_GLOBAL__N_135rocblas_gemm_batched_general_kernelIfLi16ELi16ELi32ELi32ELi8ELi32ELi8ELi8ELi32ELc78ELc78EKDF16_S1_DF16_EEvlllT_PT11_llS4_llS2_PT12_llPT13_lli.has_dyn_sized_stack, 0
	.set _ZN12_GLOBAL__N_135rocblas_gemm_batched_general_kernelIfLi16ELi16ELi32ELi32ELi8ELi32ELi8ELi8ELi32ELc78ELc78EKDF16_S1_DF16_EEvlllT_PT11_llS4_llS2_PT12_llPT13_lli.has_recursion, 0
	.set _ZN12_GLOBAL__N_135rocblas_gemm_batched_general_kernelIfLi16ELi16ELi32ELi32ELi8ELi32ELi8ELi8ELi32ELc78ELc78EKDF16_S1_DF16_EEvlllT_PT11_llS4_llS2_PT12_llPT13_lli.has_indirect_call, 0
	.section	.AMDGPU.csdata,"",@progbits
; Kernel info:
; codeLenInByte = 1936
; TotalNumSgprs: 32
; NumVgprs: 44
; ScratchSize: 0
; MemoryBound: 0
; FloatMode: 240
; IeeeMode: 1
; LDSByteSize: 2048 bytes/workgroup (compile time only)
; SGPRBlocks: 0
; VGPRBlocks: 5
; NumSGPRsForWavesPerEU: 32
; NumVGPRsForWavesPerEU: 44
; Occupancy: 16
; WaveLimiterHint : 0
; COMPUTE_PGM_RSRC2:SCRATCH_EN: 0
; COMPUTE_PGM_RSRC2:USER_SGPR: 6
; COMPUTE_PGM_RSRC2:TRAP_HANDLER: 0
; COMPUTE_PGM_RSRC2:TGID_X_EN: 1
; COMPUTE_PGM_RSRC2:TGID_Y_EN: 1
; COMPUTE_PGM_RSRC2:TGID_Z_EN: 1
; COMPUTE_PGM_RSRC2:TIDIG_COMP_CNT: 1
	.section	.text._ZN12_GLOBAL__N_135rocblas_gemm_batched_general_kernelIfLi16ELi16ELi32ELi32ELi8ELi32ELi8ELi8ELi32ELc84ELc78EKDF16_S1_DF16_EEvlllT_PT11_llS4_llS2_PT12_llPT13_lli,"axG",@progbits,_ZN12_GLOBAL__N_135rocblas_gemm_batched_general_kernelIfLi16ELi16ELi32ELi32ELi8ELi32ELi8ELi8ELi32ELc84ELc78EKDF16_S1_DF16_EEvlllT_PT11_llS4_llS2_PT12_llPT13_lli,comdat
	.globl	_ZN12_GLOBAL__N_135rocblas_gemm_batched_general_kernelIfLi16ELi16ELi32ELi32ELi8ELi32ELi8ELi8ELi32ELc84ELc78EKDF16_S1_DF16_EEvlllT_PT11_llS4_llS2_PT12_llPT13_lli ; -- Begin function _ZN12_GLOBAL__N_135rocblas_gemm_batched_general_kernelIfLi16ELi16ELi32ELi32ELi8ELi32ELi8ELi8ELi32ELc84ELc78EKDF16_S1_DF16_EEvlllT_PT11_llS4_llS2_PT12_llPT13_lli
	.p2align	8
	.type	_ZN12_GLOBAL__N_135rocblas_gemm_batched_general_kernelIfLi16ELi16ELi32ELi32ELi8ELi32ELi8ELi8ELi32ELc84ELc78EKDF16_S1_DF16_EEvlllT_PT11_llS4_llS2_PT12_llPT13_lli,@function
_ZN12_GLOBAL__N_135rocblas_gemm_batched_general_kernelIfLi16ELi16ELi32ELi32ELi8ELi32ELi8ELi8ELi32ELc84ELc78EKDF16_S1_DF16_EEvlllT_PT11_llS4_llS2_PT12_llPT13_lli: ; @_ZN12_GLOBAL__N_135rocblas_gemm_batched_general_kernelIfLi16ELi16ELi32ELi32ELi8ELi32ELi8ELi8ELi32ELc84ELc78EKDF16_S1_DF16_EEvlllT_PT11_llS4_llS2_PT12_llPT13_lli
; %bb.0:
	s_clause 0x1
	s_load_dwordx2 s[10:11], s[4:5], 0x10
	s_load_dwordx4 s[20:23], s[4:5], 0x0
	s_mov_b32 s0, s7
	v_mov_b32_e32 v10, 0
	v_mov_b32_e32 v9, 0
	;; [unrolled: 1-line block ×4, first 2 shown]
	s_ashr_i32 s7, s6, 31
	s_ashr_i32 s1, s0, 31
	s_lshl_b64 s[6:7], s[6:7], 5
	s_waitcnt lgkmcnt(0)
	v_cmp_lt_i64_e64 s2, s[10:11], 1
	s_and_b32 vcc_lo, exec_lo, s2
	s_lshl_b64 s[2:3], s[0:1], 5
	s_cbranch_vccnz .LBB382_7
; %bb.1:
	s_clause 0x1
	s_load_dwordx4 s[24:27], s[4:5], 0x40
	s_load_dwordx8 s[12:19], s[4:5], 0x20
	v_lshl_add_u32 v2, v1, 4, v0
	v_and_b32_e32 v6, 7, v0
	v_mov_b32_e32 v3, s7
	v_mov_b32_e32 v7, 0
	v_lshlrev_b32_e32 v14, 2, v0
	v_lshrrev_b32_e32 v9, 3, v2
	v_and_b32_e32 v8, 31, v2
	v_lshrrev_b32_e32 v11, 5, v2
	v_lshlrev_b32_e32 v13, 2, v6
	v_lshl_add_u32 v15, v1, 5, 0x400
	v_add_co_u32 v4, s0, v9, s2
	v_or_b32_e32 v2, s6, v8
	v_lshlrev_b32_e32 v10, 2, v8
	v_add_co_ci_u32_e64 v5, null, 0, s3, s0
	v_add_co_u32 v8, s9, s6, v8
	v_cmp_gt_i64_e64 s0, s[20:21], v[2:3]
	v_lshl_or_b32 v12, v11, 7, v10
	v_cmp_gt_i64_e64 s1, s[22:23], v[4:5]
	s_waitcnt lgkmcnt(0)
	v_mul_lo_u32 v10, s25, v4
	v_mul_lo_u32 v5, s24, v5
	v_mad_u64_u32 v[2:3], null, s24, v4, 0
	v_lshl_or_b32 v4, v9, 5, v13
	v_add_co_ci_u32_e64 v9, null, s7, 0, s9
	s_mul_i32 s9, s27, s8
	v_add_nc_u32_e32 v13, 0x400, v4
	v_add3_u32 v3, v3, v5, v10
	v_mul_lo_u32 v10, s15, v8
	v_mul_lo_u32 v9, s14, v9
	v_mad_u64_u32 v[4:5], null, s14, v8, 0
	s_mul_hi_u32 s14, s26, s8
	v_lshlrev_b64 v[2:3], 1, v[2:3]
	s_add_i32 s15, s14, s9
	s_mul_i32 s14, s26, s8
	s_mul_i32 s9, s17, s8
	s_lshl_b64 s[14:15], s[14:15], 1
	v_add3_u32 v5, v5, v9, v10
	v_add_co_u32 v8, vcc_lo, v2, s14
	v_add_co_ci_u32_e64 v9, null, s15, v3, vcc_lo
	s_mul_hi_u32 s14, s16, s8
	v_lshlrev_b64 v[2:3], 1, v[4:5]
	s_add_i32 s15, s14, s9
	s_mul_i32 s14, s16, s8
	v_lshlrev_b32_e32 v4, 1, v6
	s_lshl_b64 s[14:15], s[14:15], 1
	v_lshlrev_b32_e32 v5, 1, v11
	v_add_co_u32 v2, vcc_lo, v2, s14
	v_add_co_ci_u32_e64 v3, null, s15, v3, vcc_lo
	v_add_co_u32 v4, vcc_lo, v8, v4
	v_add_co_ci_u32_e64 v8, null, 0, v9, vcc_lo
	;; [unrolled: 2-line block ×5, first 2 shown]
	v_mov_b32_e32 v8, 0
	v_mov_b32_e32 v9, 0
	;; [unrolled: 1-line block ×3, first 2 shown]
	s_mov_b64 s[12:13], 0
	s_branch .LBB382_3
.LBB382_2:                              ;   in Loop: Header=BB382_3 Depth=1
	s_or_b32 exec_lo, exec_lo, s9
	ds_write_b32 v13, v17
	s_waitcnt lgkmcnt(0)
	s_barrier
	buffer_gl0_inv
	ds_read_b128 v[16:19], v15
	ds_read2_b32 v[32:33], v14 offset1:16
	ds_read_b128 v[20:23], v15 offset:512
	ds_read2_b32 v[34:35], v14 offset0:32 offset1:48
	ds_read2_b32 v[36:37], v14 offset0:64 offset1:80
	;; [unrolled: 1-line block ×3, first 2 shown]
	ds_read_b128 v[24:27], v15 offset:16
	ds_read2_b32 v[40:41], v14 offset0:128 offset1:144
	ds_read_b128 v[28:31], v15 offset:528
	ds_read2_b32 v[42:43], v14 offset0:160 offset1:176
	s_add_u32 s12, s12, 8
	s_addc_u32 s13, s13, 0
	v_add_co_u32 v2, vcc_lo, v2, 16
	v_cmp_lt_i64_e64 s9, s[12:13], s[10:11]
	v_add_co_ci_u32_e64 v3, null, 0, v3, vcc_lo
	v_add_co_u32 v4, vcc_lo, v4, 16
	v_add_co_ci_u32_e64 v5, null, 0, v5, vcc_lo
	s_waitcnt lgkmcnt(8)
	v_fmac_f32_e32 v10, v32, v16
	v_fmac_f32_e32 v9, v33, v16
	s_waitcnt lgkmcnt(7)
	v_fmac_f32_e32 v8, v32, v20
	v_fmac_f32_e32 v7, v33, v20
	ds_read2_b32 v[32:33], v14 offset0:192 offset1:208
	s_waitcnt lgkmcnt(7)
	v_fmac_f32_e32 v10, v34, v17
	v_fmac_f32_e32 v9, v35, v17
	;; [unrolled: 1-line block ×4, first 2 shown]
	ds_read2_b32 v[16:17], v14 offset0:224 offset1:240
	s_waitcnt lgkmcnt(7)
	v_fmac_f32_e32 v10, v36, v18
	v_fmac_f32_e32 v9, v37, v18
	;; [unrolled: 1-line block ×4, first 2 shown]
	s_and_b32 vcc_lo, exec_lo, s9
	s_waitcnt lgkmcnt(6)
	v_fmac_f32_e32 v10, v38, v19
	v_fmac_f32_e32 v9, v39, v19
	;; [unrolled: 1-line block ×4, first 2 shown]
	s_waitcnt lgkmcnt(0)
	v_fmac_f32_e32 v10, v40, v24
	v_fmac_f32_e32 v9, v41, v24
	;; [unrolled: 1-line block ×4, first 2 shown]
	s_barrier
	v_fmac_f32_e32 v10, v42, v25
	v_fmac_f32_e32 v9, v43, v25
	;; [unrolled: 1-line block ×4, first 2 shown]
	buffer_gl0_inv
	v_fmac_f32_e32 v10, v32, v26
	v_fmac_f32_e32 v9, v33, v26
	;; [unrolled: 1-line block ×8, first 2 shown]
	s_cbranch_vccz .LBB382_7
.LBB382_3:                              ; =>This Inner Loop Header: Depth=1
	v_add_co_u32 v16, s9, v11, s12
	v_add_co_ci_u32_e64 v17, null, 0, s13, s9
	v_cmp_gt_i64_e32 vcc_lo, s[10:11], v[16:17]
	v_mov_b32_e32 v16, 0
	s_and_b32 s14, s0, vcc_lo
	s_and_saveexec_b32 s9, s14
	s_cbranch_execz .LBB382_5
; %bb.4:                                ;   in Loop: Header=BB382_3 Depth=1
	global_load_ushort v16, v[4:5], off
	s_waitcnt vmcnt(0)
	v_cvt_f32_f16_e32 v16, v16
.LBB382_5:                              ;   in Loop: Header=BB382_3 Depth=1
	s_or_b32 exec_lo, exec_lo, s9
	v_add_co_u32 v17, s9, v6, s12
	v_add_co_ci_u32_e64 v18, null, 0, s13, s9
	ds_write_b32 v12, v16
	v_cmp_gt_i64_e32 vcc_lo, s[10:11], v[17:18]
	v_mov_b32_e32 v17, 0
	s_and_b32 s14, vcc_lo, s1
	s_and_saveexec_b32 s9, s14
	s_cbranch_execz .LBB382_2
; %bb.6:                                ;   in Loop: Header=BB382_3 Depth=1
	global_load_ushort v16, v[2:3], off
	s_waitcnt vmcnt(0)
	v_cvt_f32_f16_e32 v17, v16
	s_branch .LBB382_2
.LBB382_7:
	s_clause 0x3
	s_load_dwordx4 s[24:27], s[4:5], 0x78
	s_load_dword s9, s[4:5], 0x50
	s_load_dwordx8 s[12:19], s[4:5], 0x58
	s_load_dword s4, s[4:5], 0x18
	v_add_co_u32 v1, s0, s2, v1
	v_add_co_ci_u32_e64 v2, null, s3, 0, s0
	s_waitcnt lgkmcnt(0)
	s_mul_i32 s1, s27, s8
	s_mul_hi_u32 s2, s26, s8
	s_mul_i32 s0, s26, s8
	s_add_i32 s1, s2, s1
	v_cmp_neq_f32_e64 s2, s9, 0
	s_lshl_b64 s[10:11], s[0:1], 1
	v_cmp_gt_i64_e64 s0, s[22:23], v[1:2]
	s_add_u32 s3, s18, s10
	s_addc_u32 s5, s19, s11
	s_and_b32 vcc_lo, exec_lo, s2
	s_cbranch_vccnz .LBB382_20
; %bb.8:
	s_and_saveexec_b32 s10, s0
	s_cbranch_execz .LBB382_18
; %bb.9:
	v_mul_lo_u32 v5, v2, s24
	v_mul_lo_u32 v6, v1, s25
	v_mad_u64_u32 v[3:4], null, v1, s24, 0
	v_add3_u32 v4, v4, v6, v5
	v_add_co_u32 v5, s1, s6, v0
	v_add_co_ci_u32_e64 v6, null, s7, 0, s1
	v_lshlrev_b64 v[11:12], 1, v[3:4]
	v_cmp_gt_i64_e32 vcc_lo, s[20:21], v[5:6]
	v_lshlrev_b64 v[3:4], 1, v[5:6]
	v_add_co_u32 v11, s1, s3, v11
	v_add_co_ci_u32_e64 v12, null, s5, v12, s1
	s_and_saveexec_b32 s2, vcc_lo
	s_cbranch_execz .LBB382_11
; %bb.10:
	v_add_co_u32 v13, s1, v11, v3
	v_add_co_ci_u32_e64 v14, null, v12, v4, s1
	v_fma_mixlo_f16 v15, s4, v10, 0
	global_store_short v[13:14], v15, off
.LBB382_11:
	s_or_b32 exec_lo, exec_lo, s2
	v_add_co_u32 v5, s1, v5, 16
	v_add_co_ci_u32_e64 v6, null, 0, v6, s1
	v_cmp_gt_i64_e64 s1, s[20:21], v[5:6]
	s_and_saveexec_b32 s11, s1
	s_cbranch_execz .LBB382_13
; %bb.12:
	v_add_co_u32 v5, s2, v11, v3
	v_add_co_ci_u32_e64 v6, null, v12, v4, s2
	v_fma_mixlo_f16 v13, s4, v9, 0
	global_store_short v[5:6], v13, off offset:32
.LBB382_13:
	s_or_b32 exec_lo, exec_lo, s11
	v_add_co_u32 v5, s2, v1, 16
	v_add_co_ci_u32_e64 v6, null, 0, v2, s2
	v_cmp_gt_i64_e64 s2, s[22:23], v[5:6]
	s_and_b32 exec_lo, exec_lo, s2
	s_cbranch_execz .LBB382_18
; %bb.14:
	s_lshl_b64 s[18:19], s[24:25], 5
	v_add_co_u32 v5, s2, v11, s18
	v_add_co_ci_u32_e64 v6, null, s19, v12, s2
	v_add_co_u32 v3, s2, v5, v3
	v_add_co_ci_u32_e64 v4, null, v6, v4, s2
	s_and_saveexec_b32 s2, vcc_lo
	s_cbranch_execz .LBB382_16
; %bb.15:
	v_fma_mixlo_f16 v5, s4, v8, 0
	global_store_short v[3:4], v5, off
.LBB382_16:
	s_or_b32 exec_lo, exec_lo, s2
	s_and_b32 exec_lo, exec_lo, s1
	s_cbranch_execz .LBB382_18
; %bb.17:
	v_fma_mixlo_f16 v5, s4, v7, 0
	global_store_short v[3:4], v5, off offset:32
.LBB382_18:
	s_or_b32 exec_lo, exec_lo, s10
	s_cbranch_execz .LBB382_21
.LBB382_19:
	s_endpgm
.LBB382_20:
.LBB382_21:
	s_and_saveexec_b32 s1, s0
	s_cbranch_execz .LBB382_19
; %bb.22:
	v_mul_lo_u32 v5, v2, s14
	v_mul_lo_u32 v6, v1, s15
	v_mad_u64_u32 v[3:4], null, v1, s14, 0
	v_mul_lo_u32 v13, v2, s24
	v_mul_lo_u32 v14, v1, s25
	v_mad_u64_u32 v[11:12], null, v1, s24, 0
	s_mul_i32 s0, s17, s8
	s_mul_hi_u32 s1, s16, s8
	v_add3_u32 v4, v4, v6, v5
	s_add_i32 s1, s1, s0
	s_mul_i32 s0, s16, s8
	v_add_co_u32 v5, s2, s6, v0
	v_add3_u32 v12, v12, v14, v13
	v_lshlrev_b64 v[3:4], 1, v[3:4]
	s_lshl_b64 s[0:1], s[0:1], 1
	v_add_co_ci_u32_e64 v6, null, s7, 0, s2
	v_lshlrev_b64 v[12:13], 1, v[11:12]
	s_add_u32 s0, s12, s0
	s_addc_u32 s1, s13, s1
	v_add_co_u32 v0, s0, s0, v3
	v_add_co_ci_u32_e64 v11, null, s1, v4, s0
	v_add_co_u32 v12, s0, s3, v12
	v_cmp_gt_i64_e32 vcc_lo, s[20:21], v[5:6]
	v_lshlrev_b64 v[3:4], 1, v[5:6]
	v_add_co_ci_u32_e64 v13, null, s5, v13, s0
	s_and_saveexec_b32 s1, vcc_lo
	s_cbranch_execz .LBB382_24
; %bb.23:
	v_add_co_u32 v14, s0, v0, v3
	v_add_co_ci_u32_e64 v15, null, v11, v4, s0
	global_load_ushort v14, v[14:15], off
	s_waitcnt vmcnt(0)
	v_cvt_f32_f16_e32 v14, v14
	v_mul_f32_e32 v14, s9, v14
	v_fma_mixlo_f16 v10, s4, v10, v14
	v_add_co_u32 v14, s0, v12, v3
	v_add_co_ci_u32_e64 v15, null, v13, v4, s0
	global_store_short v[14:15], v10, off
.LBB382_24:
	s_or_b32 exec_lo, exec_lo, s1
	v_add_co_u32 v5, s0, v5, 16
	v_add_co_ci_u32_e64 v6, null, 0, v6, s0
	v_cmp_gt_i64_e64 s0, s[20:21], v[5:6]
	s_and_saveexec_b32 s2, s0
	s_cbranch_execz .LBB382_26
; %bb.25:
	v_add_co_u32 v5, s1, v0, v3
	v_add_co_ci_u32_e64 v6, null, v11, v4, s1
	global_load_ushort v5, v[5:6], off offset:32
	s_waitcnt vmcnt(0)
	v_cvt_f32_f16_e32 v5, v5
	v_mul_f32_e32 v5, s9, v5
	v_fma_mixlo_f16 v9, s4, v9, v5
	v_add_co_u32 v5, s1, v12, v3
	v_add_co_ci_u32_e64 v6, null, v13, v4, s1
	global_store_short v[5:6], v9, off offset:32
.LBB382_26:
	s_or_b32 exec_lo, exec_lo, s2
	v_add_co_u32 v1, s1, v1, 16
	v_add_co_ci_u32_e64 v2, null, 0, v2, s1
	v_cmp_gt_i64_e64 s1, s[22:23], v[1:2]
	s_and_b32 exec_lo, exec_lo, s1
	s_cbranch_execz .LBB382_19
; %bb.27:
	s_lshl_b64 s[2:3], s[14:15], 5
	v_add_co_u32 v0, s1, v0, s2
	v_add_co_ci_u32_e64 v1, null, s3, v11, s1
	s_lshl_b64 s[2:3], s[24:25], 5
	v_add_co_u32 v2, s1, v12, s2
	v_add_co_ci_u32_e64 v5, null, s3, v13, s1
	v_add_co_u32 v0, s1, v0, v3
	v_add_co_ci_u32_e64 v1, null, v1, v4, s1
	;; [unrolled: 2-line block ×3, first 2 shown]
	s_and_saveexec_b32 s1, vcc_lo
	s_cbranch_execz .LBB382_29
; %bb.28:
	global_load_ushort v4, v[0:1], off
	s_waitcnt vmcnt(0)
	v_cvt_f32_f16_e32 v4, v4
	v_mul_f32_e32 v4, s9, v4
	v_fma_mixlo_f16 v4, s4, v8, v4
	global_store_short v[2:3], v4, off
.LBB382_29:
	s_or_b32 exec_lo, exec_lo, s1
	s_and_b32 exec_lo, exec_lo, s0
	s_cbranch_execz .LBB382_19
; %bb.30:
	global_load_ushort v0, v[0:1], off offset:32
	s_waitcnt vmcnt(0)
	v_cvt_f32_f16_e32 v0, v0
	v_mul_f32_e32 v0, s9, v0
	v_fma_mixlo_f16 v0, s4, v7, v0
	global_store_short v[2:3], v0, off offset:32
	s_endpgm
	.section	.rodata,"a",@progbits
	.p2align	6, 0x0
	.amdhsa_kernel _ZN12_GLOBAL__N_135rocblas_gemm_batched_general_kernelIfLi16ELi16ELi32ELi32ELi8ELi32ELi8ELi8ELi32ELc84ELc78EKDF16_S1_DF16_EEvlllT_PT11_llS4_llS2_PT12_llPT13_lli
		.amdhsa_group_segment_fixed_size 2048
		.amdhsa_private_segment_fixed_size 0
		.amdhsa_kernarg_size 140
		.amdhsa_user_sgpr_count 6
		.amdhsa_user_sgpr_private_segment_buffer 1
		.amdhsa_user_sgpr_dispatch_ptr 0
		.amdhsa_user_sgpr_queue_ptr 0
		.amdhsa_user_sgpr_kernarg_segment_ptr 1
		.amdhsa_user_sgpr_dispatch_id 0
		.amdhsa_user_sgpr_flat_scratch_init 0
		.amdhsa_user_sgpr_private_segment_size 0
		.amdhsa_wavefront_size32 1
		.amdhsa_uses_dynamic_stack 0
		.amdhsa_system_sgpr_private_segment_wavefront_offset 0
		.amdhsa_system_sgpr_workgroup_id_x 1
		.amdhsa_system_sgpr_workgroup_id_y 1
		.amdhsa_system_sgpr_workgroup_id_z 1
		.amdhsa_system_sgpr_workgroup_info 0
		.amdhsa_system_vgpr_workitem_id 1
		.amdhsa_next_free_vgpr 44
		.amdhsa_next_free_sgpr 28
		.amdhsa_reserve_vcc 1
		.amdhsa_reserve_flat_scratch 0
		.amdhsa_float_round_mode_32 0
		.amdhsa_float_round_mode_16_64 0
		.amdhsa_float_denorm_mode_32 3
		.amdhsa_float_denorm_mode_16_64 3
		.amdhsa_dx10_clamp 1
		.amdhsa_ieee_mode 1
		.amdhsa_fp16_overflow 0
		.amdhsa_workgroup_processor_mode 1
		.amdhsa_memory_ordered 1
		.amdhsa_forward_progress 1
		.amdhsa_shared_vgpr_count 0
		.amdhsa_exception_fp_ieee_invalid_op 0
		.amdhsa_exception_fp_denorm_src 0
		.amdhsa_exception_fp_ieee_div_zero 0
		.amdhsa_exception_fp_ieee_overflow 0
		.amdhsa_exception_fp_ieee_underflow 0
		.amdhsa_exception_fp_ieee_inexact 0
		.amdhsa_exception_int_div_zero 0
	.end_amdhsa_kernel
	.section	.text._ZN12_GLOBAL__N_135rocblas_gemm_batched_general_kernelIfLi16ELi16ELi32ELi32ELi8ELi32ELi8ELi8ELi32ELc84ELc78EKDF16_S1_DF16_EEvlllT_PT11_llS4_llS2_PT12_llPT13_lli,"axG",@progbits,_ZN12_GLOBAL__N_135rocblas_gemm_batched_general_kernelIfLi16ELi16ELi32ELi32ELi8ELi32ELi8ELi8ELi32ELc84ELc78EKDF16_S1_DF16_EEvlllT_PT11_llS4_llS2_PT12_llPT13_lli,comdat
.Lfunc_end382:
	.size	_ZN12_GLOBAL__N_135rocblas_gemm_batched_general_kernelIfLi16ELi16ELi32ELi32ELi8ELi32ELi8ELi8ELi32ELc84ELc78EKDF16_S1_DF16_EEvlllT_PT11_llS4_llS2_PT12_llPT13_lli, .Lfunc_end382-_ZN12_GLOBAL__N_135rocblas_gemm_batched_general_kernelIfLi16ELi16ELi32ELi32ELi8ELi32ELi8ELi8ELi32ELc84ELc78EKDF16_S1_DF16_EEvlllT_PT11_llS4_llS2_PT12_llPT13_lli
                                        ; -- End function
	.set _ZN12_GLOBAL__N_135rocblas_gemm_batched_general_kernelIfLi16ELi16ELi32ELi32ELi8ELi32ELi8ELi8ELi32ELc84ELc78EKDF16_S1_DF16_EEvlllT_PT11_llS4_llS2_PT12_llPT13_lli.num_vgpr, 44
	.set _ZN12_GLOBAL__N_135rocblas_gemm_batched_general_kernelIfLi16ELi16ELi32ELi32ELi8ELi32ELi8ELi8ELi32ELc84ELc78EKDF16_S1_DF16_EEvlllT_PT11_llS4_llS2_PT12_llPT13_lli.num_agpr, 0
	.set _ZN12_GLOBAL__N_135rocblas_gemm_batched_general_kernelIfLi16ELi16ELi32ELi32ELi8ELi32ELi8ELi8ELi32ELc84ELc78EKDF16_S1_DF16_EEvlllT_PT11_llS4_llS2_PT12_llPT13_lli.numbered_sgpr, 28
	.set _ZN12_GLOBAL__N_135rocblas_gemm_batched_general_kernelIfLi16ELi16ELi32ELi32ELi8ELi32ELi8ELi8ELi32ELc84ELc78EKDF16_S1_DF16_EEvlllT_PT11_llS4_llS2_PT12_llPT13_lli.num_named_barrier, 0
	.set _ZN12_GLOBAL__N_135rocblas_gemm_batched_general_kernelIfLi16ELi16ELi32ELi32ELi8ELi32ELi8ELi8ELi32ELc84ELc78EKDF16_S1_DF16_EEvlllT_PT11_llS4_llS2_PT12_llPT13_lli.private_seg_size, 0
	.set _ZN12_GLOBAL__N_135rocblas_gemm_batched_general_kernelIfLi16ELi16ELi32ELi32ELi8ELi32ELi8ELi8ELi32ELc84ELc78EKDF16_S1_DF16_EEvlllT_PT11_llS4_llS2_PT12_llPT13_lli.uses_vcc, 1
	.set _ZN12_GLOBAL__N_135rocblas_gemm_batched_general_kernelIfLi16ELi16ELi32ELi32ELi8ELi32ELi8ELi8ELi32ELc84ELc78EKDF16_S1_DF16_EEvlllT_PT11_llS4_llS2_PT12_llPT13_lli.uses_flat_scratch, 0
	.set _ZN12_GLOBAL__N_135rocblas_gemm_batched_general_kernelIfLi16ELi16ELi32ELi32ELi8ELi32ELi8ELi8ELi32ELc84ELc78EKDF16_S1_DF16_EEvlllT_PT11_llS4_llS2_PT12_llPT13_lli.has_dyn_sized_stack, 0
	.set _ZN12_GLOBAL__N_135rocblas_gemm_batched_general_kernelIfLi16ELi16ELi32ELi32ELi8ELi32ELi8ELi8ELi32ELc84ELc78EKDF16_S1_DF16_EEvlllT_PT11_llS4_llS2_PT12_llPT13_lli.has_recursion, 0
	.set _ZN12_GLOBAL__N_135rocblas_gemm_batched_general_kernelIfLi16ELi16ELi32ELi32ELi8ELi32ELi8ELi8ELi32ELc84ELc78EKDF16_S1_DF16_EEvlllT_PT11_llS4_llS2_PT12_llPT13_lli.has_indirect_call, 0
	.section	.AMDGPU.csdata,"",@progbits
; Kernel info:
; codeLenInByte = 1944
; TotalNumSgprs: 30
; NumVgprs: 44
; ScratchSize: 0
; MemoryBound: 0
; FloatMode: 240
; IeeeMode: 1
; LDSByteSize: 2048 bytes/workgroup (compile time only)
; SGPRBlocks: 0
; VGPRBlocks: 5
; NumSGPRsForWavesPerEU: 30
; NumVGPRsForWavesPerEU: 44
; Occupancy: 16
; WaveLimiterHint : 0
; COMPUTE_PGM_RSRC2:SCRATCH_EN: 0
; COMPUTE_PGM_RSRC2:USER_SGPR: 6
; COMPUTE_PGM_RSRC2:TRAP_HANDLER: 0
; COMPUTE_PGM_RSRC2:TGID_X_EN: 1
; COMPUTE_PGM_RSRC2:TGID_Y_EN: 1
; COMPUTE_PGM_RSRC2:TGID_Z_EN: 1
; COMPUTE_PGM_RSRC2:TIDIG_COMP_CNT: 1
	.section	.text._ZN12_GLOBAL__N_135rocblas_gemm_batched_general_kernelIfLi16ELi16ELi32ELi32ELi8ELi32ELi8ELi8ELi32ELc78ELc84EKDF16_S1_DF16_EEvlllT_PT11_llS4_llS2_PT12_llPT13_lli,"axG",@progbits,_ZN12_GLOBAL__N_135rocblas_gemm_batched_general_kernelIfLi16ELi16ELi32ELi32ELi8ELi32ELi8ELi8ELi32ELc78ELc84EKDF16_S1_DF16_EEvlllT_PT11_llS4_llS2_PT12_llPT13_lli,comdat
	.globl	_ZN12_GLOBAL__N_135rocblas_gemm_batched_general_kernelIfLi16ELi16ELi32ELi32ELi8ELi32ELi8ELi8ELi32ELc78ELc84EKDF16_S1_DF16_EEvlllT_PT11_llS4_llS2_PT12_llPT13_lli ; -- Begin function _ZN12_GLOBAL__N_135rocblas_gemm_batched_general_kernelIfLi16ELi16ELi32ELi32ELi8ELi32ELi8ELi8ELi32ELc78ELc84EKDF16_S1_DF16_EEvlllT_PT11_llS4_llS2_PT12_llPT13_lli
	.p2align	8
	.type	_ZN12_GLOBAL__N_135rocblas_gemm_batched_general_kernelIfLi16ELi16ELi32ELi32ELi8ELi32ELi8ELi8ELi32ELc78ELc84EKDF16_S1_DF16_EEvlllT_PT11_llS4_llS2_PT12_llPT13_lli,@function
_ZN12_GLOBAL__N_135rocblas_gemm_batched_general_kernelIfLi16ELi16ELi32ELi32ELi8ELi32ELi8ELi8ELi32ELc78ELc84EKDF16_S1_DF16_EEvlllT_PT11_llS4_llS2_PT12_llPT13_lli: ; @_ZN12_GLOBAL__N_135rocblas_gemm_batched_general_kernelIfLi16ELi16ELi32ELi32ELi8ELi32ELi8ELi8ELi32ELc78ELc84EKDF16_S1_DF16_EEvlllT_PT11_llS4_llS2_PT12_llPT13_lli
; %bb.0:
	s_clause 0x1
	s_load_dwordx2 s[28:29], s[4:5], 0x10
	s_load_dwordx4 s[20:23], s[4:5], 0x0
	s_mov_b32 s0, s7
	v_mov_b32_e32 v10, 0
	v_mov_b32_e32 v9, 0
	;; [unrolled: 1-line block ×4, first 2 shown]
	s_ashr_i32 s7, s6, 31
	s_ashr_i32 s1, s0, 31
	s_lshl_b64 s[10:11], s[6:7], 5
	s_waitcnt lgkmcnt(0)
	v_cmp_lt_i64_e64 s2, s[28:29], 1
	s_and_b32 vcc_lo, exec_lo, s2
	s_lshl_b64 s[2:3], s[0:1], 5
	s_cbranch_vccnz .LBB383_7
; %bb.1:
	s_clause 0x1
	s_load_dwordx4 s[24:27], s[4:5], 0x40
	s_load_dwordx8 s[12:19], s[4:5], 0x20
	v_lshl_add_u32 v2, v1, 4, v0
	v_and_b32_e32 v6, 7, v0
	v_mov_b32_e32 v3, s11
	s_lshl_b64 s[30:31], s[0:1], 6
	v_mov_b32_e32 v7, 0
	v_and_b32_e32 v10, 31, v2
	v_lshrrev_b32_e32 v14, 3, v2
	v_lshrrev_b32_e32 v13, 5, v2
	v_lshlrev_b32_e32 v15, 2, v6
	v_lshlrev_b32_e32 v11, 2, v0
	v_or_b32_e32 v2, s10, v10
	v_lshlrev_b32_e32 v16, 2, v10
	v_add_co_u32 v8, s0, v14, s2
	v_add_co_ci_u32_e64 v9, null, 0, s3, s0
	v_lshl_or_b32 v15, v14, 5, v15
	v_lshlrev_b32_e32 v18, 1, v14
	s_waitcnt lgkmcnt(0)
	v_mad_u64_u32 v[4:5], null, s24, v6, 0
	v_cmp_gt_i64_e64 s0, s[20:21], v[2:3]
	v_lshl_or_b32 v14, v13, 7, v16
	v_mad_u64_u32 v[16:17], null, s14, v13, 0
	s_mul_i32 s9, s27, s8
	s_mul_hi_u32 s27, s26, s8
	v_mov_b32_e32 v2, v5
	s_mul_i32 s26, s26, s8
	s_add_i32 s27, s27, s9
	s_mul_i32 s17, s17, s8
	s_lshl_b64 s[26:27], s[26:27], 1
	v_mad_u64_u32 v[2:3], null, s25, v6, v[2:3]
	v_mov_b32_e32 v3, v17
	s_mul_hi_u32 s33, s16, s8
	s_add_u32 s9, s30, s26
	s_mul_i32 s16, s16, s8
	s_addc_u32 s26, s31, s27
	s_add_i32 s17, s33, s17
	v_mov_b32_e32 v5, v2
	v_mad_u64_u32 v[2:3], null, s15, v13, v[3:4]
	s_lshl_b64 s[16:17], s[16:17], 1
	v_cmp_gt_i64_e64 s1, s[22:23], v[8:9]
	v_lshlrev_b64 v[3:4], 1, v[4:5]
	v_lshlrev_b32_e32 v8, 1, v10
	v_lshl_add_u32 v12, v1, 5, 0x400
	v_add_nc_u32_e32 v15, 0x400, v15
	v_mov_b32_e32 v17, v2
	v_mov_b32_e32 v10, 0
	v_add_co_u32 v5, vcc_lo, s9, v3
	v_add_co_ci_u32_e64 v4, null, s26, v4, vcc_lo
	v_lshlrev_b64 v[2:3], 1, v[16:17]
	s_lshl_b64 s[26:27], s[6:7], 6
	s_lshl_b64 s[6:7], s[24:25], 4
	s_add_u32 s9, s26, s16
	s_addc_u32 s16, s27, s17
	v_add_co_u32 v2, vcc_lo, s9, v2
	v_add_co_ci_u32_e64 v3, null, s16, v3, vcc_lo
	v_add_co_u32 v5, vcc_lo, v5, v18
	v_add_co_ci_u32_e64 v4, null, 0, v4, vcc_lo
	;; [unrolled: 2-line block ×5, first 2 shown]
	v_mov_b32_e32 v8, 0
	v_mov_b32_e32 v9, 0
	s_lshl_b64 s[12:13], s[14:15], 4
	s_mov_b64 s[14:15], 0
	s_branch .LBB383_3
.LBB383_2:                              ;   in Loop: Header=BB383_3 Depth=1
	s_or_b32 exec_lo, exec_lo, s9
	ds_write_b32 v15, v17
	s_waitcnt lgkmcnt(0)
	s_barrier
	buffer_gl0_inv
	ds_read_b128 v[16:19], v12
	ds_read2_b32 v[32:33], v11 offset1:16
	ds_read_b128 v[20:23], v12 offset:512
	ds_read2_b32 v[34:35], v11 offset0:32 offset1:48
	ds_read2_b32 v[36:37], v11 offset0:64 offset1:80
	;; [unrolled: 1-line block ×3, first 2 shown]
	ds_read_b128 v[24:27], v12 offset:16
	ds_read2_b32 v[40:41], v11 offset0:128 offset1:144
	ds_read_b128 v[28:31], v12 offset:528
	ds_read2_b32 v[42:43], v11 offset0:160 offset1:176
	s_add_u32 s14, s14, 8
	s_addc_u32 s15, s15, 0
	v_add_co_u32 v2, vcc_lo, v2, s6
	v_cmp_lt_i64_e64 s9, s[14:15], s[28:29]
	v_add_co_ci_u32_e64 v3, null, s7, v3, vcc_lo
	v_add_co_u32 v4, vcc_lo, v4, s12
	v_add_co_ci_u32_e64 v5, null, s13, v5, vcc_lo
	s_waitcnt lgkmcnt(8)
	v_fmac_f32_e32 v10, v32, v16
	v_fmac_f32_e32 v9, v33, v16
	s_waitcnt lgkmcnt(7)
	v_fmac_f32_e32 v8, v32, v20
	v_fmac_f32_e32 v7, v33, v20
	ds_read2_b32 v[32:33], v11 offset0:192 offset1:208
	s_waitcnt lgkmcnt(7)
	v_fmac_f32_e32 v10, v34, v17
	v_fmac_f32_e32 v9, v35, v17
	;; [unrolled: 1-line block ×4, first 2 shown]
	ds_read2_b32 v[16:17], v11 offset0:224 offset1:240
	s_waitcnt lgkmcnt(7)
	v_fmac_f32_e32 v10, v36, v18
	v_fmac_f32_e32 v9, v37, v18
	v_fmac_f32_e32 v8, v36, v22
	v_fmac_f32_e32 v7, v37, v22
	s_and_b32 vcc_lo, exec_lo, s9
	s_waitcnt lgkmcnt(6)
	v_fmac_f32_e32 v10, v38, v19
	v_fmac_f32_e32 v9, v39, v19
	v_fmac_f32_e32 v8, v38, v23
	v_fmac_f32_e32 v7, v39, v23
	s_waitcnt lgkmcnt(0)
	v_fmac_f32_e32 v10, v40, v24
	v_fmac_f32_e32 v9, v41, v24
	;; [unrolled: 1-line block ×4, first 2 shown]
	s_barrier
	v_fmac_f32_e32 v10, v42, v25
	v_fmac_f32_e32 v9, v43, v25
	;; [unrolled: 1-line block ×4, first 2 shown]
	buffer_gl0_inv
	v_fmac_f32_e32 v10, v32, v26
	v_fmac_f32_e32 v9, v33, v26
	;; [unrolled: 1-line block ×8, first 2 shown]
	s_cbranch_vccz .LBB383_7
.LBB383_3:                              ; =>This Inner Loop Header: Depth=1
	v_add_co_u32 v16, s9, v13, s14
	v_add_co_ci_u32_e64 v17, null, 0, s15, s9
	v_cmp_gt_i64_e32 vcc_lo, s[28:29], v[16:17]
	v_mov_b32_e32 v16, 0
	s_and_b32 s16, s0, vcc_lo
	s_and_saveexec_b32 s9, s16
	s_cbranch_execz .LBB383_5
; %bb.4:                                ;   in Loop: Header=BB383_3 Depth=1
	global_load_ushort v16, v[4:5], off
	s_waitcnt vmcnt(0)
	v_cvt_f32_f16_e32 v16, v16
.LBB383_5:                              ;   in Loop: Header=BB383_3 Depth=1
	s_or_b32 exec_lo, exec_lo, s9
	v_add_co_u32 v17, s9, v6, s14
	v_add_co_ci_u32_e64 v18, null, 0, s15, s9
	ds_write_b32 v14, v16
	v_cmp_gt_i64_e32 vcc_lo, s[28:29], v[17:18]
	v_mov_b32_e32 v17, 0
	s_and_b32 s16, vcc_lo, s1
	s_and_saveexec_b32 s9, s16
	s_cbranch_execz .LBB383_2
; %bb.6:                                ;   in Loop: Header=BB383_3 Depth=1
	global_load_ushort v16, v[2:3], off
	s_waitcnt vmcnt(0)
	v_cvt_f32_f16_e32 v17, v16
	s_branch .LBB383_2
.LBB383_7:
	s_clause 0x3
	s_load_dwordx4 s[24:27], s[4:5], 0x78
	s_load_dword s6, s[4:5], 0x50
	s_load_dwordx8 s[12:19], s[4:5], 0x58
	s_load_dword s4, s[4:5], 0x18
	v_add_co_u32 v1, s0, s2, v1
	v_add_co_ci_u32_e64 v2, null, s3, 0, s0
	s_waitcnt lgkmcnt(0)
	s_mul_i32 s1, s27, s8
	s_mul_hi_u32 s2, s26, s8
	s_mul_i32 s0, s26, s8
	s_add_i32 s1, s2, s1
	v_cmp_neq_f32_e64 s2, s6, 0
	s_lshl_b64 s[26:27], s[0:1], 1
	v_cmp_gt_i64_e64 s0, s[22:23], v[1:2]
	s_add_u32 s3, s18, s26
	s_addc_u32 s5, s19, s27
	s_and_b32 vcc_lo, exec_lo, s2
	s_cbranch_vccnz .LBB383_20
; %bb.8:
	s_and_saveexec_b32 s7, s0
	s_cbranch_execz .LBB383_18
; %bb.9:
	v_mul_lo_u32 v5, v2, s24
	v_mul_lo_u32 v6, v1, s25
	v_mad_u64_u32 v[3:4], null, v1, s24, 0
	v_add3_u32 v4, v4, v6, v5
	v_add_co_u32 v5, s1, s10, v0
	v_add_co_ci_u32_e64 v6, null, s11, 0, s1
	v_lshlrev_b64 v[11:12], 1, v[3:4]
	v_cmp_gt_i64_e32 vcc_lo, s[20:21], v[5:6]
	v_lshlrev_b64 v[3:4], 1, v[5:6]
	v_add_co_u32 v11, s1, s3, v11
	v_add_co_ci_u32_e64 v12, null, s5, v12, s1
	s_and_saveexec_b32 s2, vcc_lo
	s_cbranch_execz .LBB383_11
; %bb.10:
	v_add_co_u32 v13, s1, v11, v3
	v_add_co_ci_u32_e64 v14, null, v12, v4, s1
	v_fma_mixlo_f16 v15, s4, v10, 0
	global_store_short v[13:14], v15, off
.LBB383_11:
	s_or_b32 exec_lo, exec_lo, s2
	v_add_co_u32 v5, s1, v5, 16
	v_add_co_ci_u32_e64 v6, null, 0, v6, s1
	v_cmp_gt_i64_e64 s1, s[20:21], v[5:6]
	s_and_saveexec_b32 s9, s1
	s_cbranch_execz .LBB383_13
; %bb.12:
	v_add_co_u32 v5, s2, v11, v3
	v_add_co_ci_u32_e64 v6, null, v12, v4, s2
	v_fma_mixlo_f16 v13, s4, v9, 0
	global_store_short v[5:6], v13, off offset:32
.LBB383_13:
	s_or_b32 exec_lo, exec_lo, s9
	v_add_co_u32 v5, s2, v1, 16
	v_add_co_ci_u32_e64 v6, null, 0, v2, s2
	v_cmp_gt_i64_e64 s2, s[22:23], v[5:6]
	s_and_b32 exec_lo, exec_lo, s2
	s_cbranch_execz .LBB383_18
; %bb.14:
	s_lshl_b64 s[18:19], s[24:25], 5
	v_add_co_u32 v5, s2, v11, s18
	v_add_co_ci_u32_e64 v6, null, s19, v12, s2
	v_add_co_u32 v3, s2, v5, v3
	v_add_co_ci_u32_e64 v4, null, v6, v4, s2
	s_and_saveexec_b32 s2, vcc_lo
	s_cbranch_execz .LBB383_16
; %bb.15:
	v_fma_mixlo_f16 v5, s4, v8, 0
	global_store_short v[3:4], v5, off
.LBB383_16:
	s_or_b32 exec_lo, exec_lo, s2
	s_and_b32 exec_lo, exec_lo, s1
	s_cbranch_execz .LBB383_18
; %bb.17:
	v_fma_mixlo_f16 v5, s4, v7, 0
	global_store_short v[3:4], v5, off offset:32
.LBB383_18:
	s_or_b32 exec_lo, exec_lo, s7
	s_cbranch_execz .LBB383_21
.LBB383_19:
	s_endpgm
.LBB383_20:
.LBB383_21:
	s_and_saveexec_b32 s1, s0
	s_cbranch_execz .LBB383_19
; %bb.22:
	v_mul_lo_u32 v5, v2, s14
	v_mul_lo_u32 v6, v1, s15
	v_mad_u64_u32 v[3:4], null, v1, s14, 0
	v_mul_lo_u32 v13, v2, s24
	v_mul_lo_u32 v14, v1, s25
	v_mad_u64_u32 v[11:12], null, v1, s24, 0
	s_mul_i32 s0, s17, s8
	s_mul_hi_u32 s1, s16, s8
	v_add3_u32 v4, v4, v6, v5
	s_add_i32 s1, s1, s0
	s_mul_i32 s0, s16, s8
	v_add_co_u32 v5, s2, s10, v0
	v_add3_u32 v12, v12, v14, v13
	v_lshlrev_b64 v[3:4], 1, v[3:4]
	s_lshl_b64 s[0:1], s[0:1], 1
	v_add_co_ci_u32_e64 v6, null, s11, 0, s2
	v_lshlrev_b64 v[12:13], 1, v[11:12]
	s_add_u32 s0, s12, s0
	s_addc_u32 s1, s13, s1
	v_add_co_u32 v0, s0, s0, v3
	v_add_co_ci_u32_e64 v11, null, s1, v4, s0
	v_add_co_u32 v12, s0, s3, v12
	v_cmp_gt_i64_e32 vcc_lo, s[20:21], v[5:6]
	v_lshlrev_b64 v[3:4], 1, v[5:6]
	v_add_co_ci_u32_e64 v13, null, s5, v13, s0
	s_and_saveexec_b32 s1, vcc_lo
	s_cbranch_execz .LBB383_24
; %bb.23:
	v_add_co_u32 v14, s0, v0, v3
	v_add_co_ci_u32_e64 v15, null, v11, v4, s0
	global_load_ushort v14, v[14:15], off
	s_waitcnt vmcnt(0)
	v_cvt_f32_f16_e32 v14, v14
	v_mul_f32_e32 v14, s6, v14
	v_fma_mixlo_f16 v10, s4, v10, v14
	v_add_co_u32 v14, s0, v12, v3
	v_add_co_ci_u32_e64 v15, null, v13, v4, s0
	global_store_short v[14:15], v10, off
.LBB383_24:
	s_or_b32 exec_lo, exec_lo, s1
	v_add_co_u32 v5, s0, v5, 16
	v_add_co_ci_u32_e64 v6, null, 0, v6, s0
	v_cmp_gt_i64_e64 s0, s[20:21], v[5:6]
	s_and_saveexec_b32 s2, s0
	s_cbranch_execz .LBB383_26
; %bb.25:
	v_add_co_u32 v5, s1, v0, v3
	v_add_co_ci_u32_e64 v6, null, v11, v4, s1
	global_load_ushort v5, v[5:6], off offset:32
	s_waitcnt vmcnt(0)
	v_cvt_f32_f16_e32 v5, v5
	v_mul_f32_e32 v5, s6, v5
	v_fma_mixlo_f16 v9, s4, v9, v5
	v_add_co_u32 v5, s1, v12, v3
	v_add_co_ci_u32_e64 v6, null, v13, v4, s1
	global_store_short v[5:6], v9, off offset:32
.LBB383_26:
	s_or_b32 exec_lo, exec_lo, s2
	v_add_co_u32 v1, s1, v1, 16
	v_add_co_ci_u32_e64 v2, null, 0, v2, s1
	v_cmp_gt_i64_e64 s1, s[22:23], v[1:2]
	s_and_b32 exec_lo, exec_lo, s1
	s_cbranch_execz .LBB383_19
; %bb.27:
	s_lshl_b64 s[2:3], s[14:15], 5
	v_add_co_u32 v0, s1, v0, s2
	v_add_co_ci_u32_e64 v1, null, s3, v11, s1
	s_lshl_b64 s[2:3], s[24:25], 5
	v_add_co_u32 v2, s1, v12, s2
	v_add_co_ci_u32_e64 v5, null, s3, v13, s1
	v_add_co_u32 v0, s1, v0, v3
	v_add_co_ci_u32_e64 v1, null, v1, v4, s1
	;; [unrolled: 2-line block ×3, first 2 shown]
	s_and_saveexec_b32 s1, vcc_lo
	s_cbranch_execz .LBB383_29
; %bb.28:
	global_load_ushort v4, v[0:1], off
	s_waitcnt vmcnt(0)
	v_cvt_f32_f16_e32 v4, v4
	v_mul_f32_e32 v4, s6, v4
	v_fma_mixlo_f16 v4, s4, v8, v4
	global_store_short v[2:3], v4, off
.LBB383_29:
	s_or_b32 exec_lo, exec_lo, s1
	s_and_b32 exec_lo, exec_lo, s0
	s_cbranch_execz .LBB383_19
; %bb.30:
	global_load_ushort v0, v[0:1], off offset:32
	s_waitcnt vmcnt(0)
	v_cvt_f32_f16_e32 v0, v0
	v_mul_f32_e32 v0, s6, v0
	v_fma_mixlo_f16 v0, s4, v7, v0
	global_store_short v[2:3], v0, off offset:32
	s_endpgm
	.section	.rodata,"a",@progbits
	.p2align	6, 0x0
	.amdhsa_kernel _ZN12_GLOBAL__N_135rocblas_gemm_batched_general_kernelIfLi16ELi16ELi32ELi32ELi8ELi32ELi8ELi8ELi32ELc78ELc84EKDF16_S1_DF16_EEvlllT_PT11_llS4_llS2_PT12_llPT13_lli
		.amdhsa_group_segment_fixed_size 2048
		.amdhsa_private_segment_fixed_size 0
		.amdhsa_kernarg_size 140
		.amdhsa_user_sgpr_count 6
		.amdhsa_user_sgpr_private_segment_buffer 1
		.amdhsa_user_sgpr_dispatch_ptr 0
		.amdhsa_user_sgpr_queue_ptr 0
		.amdhsa_user_sgpr_kernarg_segment_ptr 1
		.amdhsa_user_sgpr_dispatch_id 0
		.amdhsa_user_sgpr_flat_scratch_init 0
		.amdhsa_user_sgpr_private_segment_size 0
		.amdhsa_wavefront_size32 1
		.amdhsa_uses_dynamic_stack 0
		.amdhsa_system_sgpr_private_segment_wavefront_offset 0
		.amdhsa_system_sgpr_workgroup_id_x 1
		.amdhsa_system_sgpr_workgroup_id_y 1
		.amdhsa_system_sgpr_workgroup_id_z 1
		.amdhsa_system_sgpr_workgroup_info 0
		.amdhsa_system_vgpr_workitem_id 1
		.amdhsa_next_free_vgpr 44
		.amdhsa_next_free_sgpr 34
		.amdhsa_reserve_vcc 1
		.amdhsa_reserve_flat_scratch 0
		.amdhsa_float_round_mode_32 0
		.amdhsa_float_round_mode_16_64 0
		.amdhsa_float_denorm_mode_32 3
		.amdhsa_float_denorm_mode_16_64 3
		.amdhsa_dx10_clamp 1
		.amdhsa_ieee_mode 1
		.amdhsa_fp16_overflow 0
		.amdhsa_workgroup_processor_mode 1
		.amdhsa_memory_ordered 1
		.amdhsa_forward_progress 1
		.amdhsa_shared_vgpr_count 0
		.amdhsa_exception_fp_ieee_invalid_op 0
		.amdhsa_exception_fp_denorm_src 0
		.amdhsa_exception_fp_ieee_div_zero 0
		.amdhsa_exception_fp_ieee_overflow 0
		.amdhsa_exception_fp_ieee_underflow 0
		.amdhsa_exception_fp_ieee_inexact 0
		.amdhsa_exception_int_div_zero 0
	.end_amdhsa_kernel
	.section	.text._ZN12_GLOBAL__N_135rocblas_gemm_batched_general_kernelIfLi16ELi16ELi32ELi32ELi8ELi32ELi8ELi8ELi32ELc78ELc84EKDF16_S1_DF16_EEvlllT_PT11_llS4_llS2_PT12_llPT13_lli,"axG",@progbits,_ZN12_GLOBAL__N_135rocblas_gemm_batched_general_kernelIfLi16ELi16ELi32ELi32ELi8ELi32ELi8ELi8ELi32ELc78ELc84EKDF16_S1_DF16_EEvlllT_PT11_llS4_llS2_PT12_llPT13_lli,comdat
.Lfunc_end383:
	.size	_ZN12_GLOBAL__N_135rocblas_gemm_batched_general_kernelIfLi16ELi16ELi32ELi32ELi8ELi32ELi8ELi8ELi32ELc78ELc84EKDF16_S1_DF16_EEvlllT_PT11_llS4_llS2_PT12_llPT13_lli, .Lfunc_end383-_ZN12_GLOBAL__N_135rocblas_gemm_batched_general_kernelIfLi16ELi16ELi32ELi32ELi8ELi32ELi8ELi8ELi32ELc78ELc84EKDF16_S1_DF16_EEvlllT_PT11_llS4_llS2_PT12_llPT13_lli
                                        ; -- End function
	.set _ZN12_GLOBAL__N_135rocblas_gemm_batched_general_kernelIfLi16ELi16ELi32ELi32ELi8ELi32ELi8ELi8ELi32ELc78ELc84EKDF16_S1_DF16_EEvlllT_PT11_llS4_llS2_PT12_llPT13_lli.num_vgpr, 44
	.set _ZN12_GLOBAL__N_135rocblas_gemm_batched_general_kernelIfLi16ELi16ELi32ELi32ELi8ELi32ELi8ELi8ELi32ELc78ELc84EKDF16_S1_DF16_EEvlllT_PT11_llS4_llS2_PT12_llPT13_lli.num_agpr, 0
	.set _ZN12_GLOBAL__N_135rocblas_gemm_batched_general_kernelIfLi16ELi16ELi32ELi32ELi8ELi32ELi8ELi8ELi32ELc78ELc84EKDF16_S1_DF16_EEvlllT_PT11_llS4_llS2_PT12_llPT13_lli.numbered_sgpr, 34
	.set _ZN12_GLOBAL__N_135rocblas_gemm_batched_general_kernelIfLi16ELi16ELi32ELi32ELi8ELi32ELi8ELi8ELi32ELc78ELc84EKDF16_S1_DF16_EEvlllT_PT11_llS4_llS2_PT12_llPT13_lli.num_named_barrier, 0
	.set _ZN12_GLOBAL__N_135rocblas_gemm_batched_general_kernelIfLi16ELi16ELi32ELi32ELi8ELi32ELi8ELi8ELi32ELc78ELc84EKDF16_S1_DF16_EEvlllT_PT11_llS4_llS2_PT12_llPT13_lli.private_seg_size, 0
	.set _ZN12_GLOBAL__N_135rocblas_gemm_batched_general_kernelIfLi16ELi16ELi32ELi32ELi8ELi32ELi8ELi8ELi32ELc78ELc84EKDF16_S1_DF16_EEvlllT_PT11_llS4_llS2_PT12_llPT13_lli.uses_vcc, 1
	.set _ZN12_GLOBAL__N_135rocblas_gemm_batched_general_kernelIfLi16ELi16ELi32ELi32ELi8ELi32ELi8ELi8ELi32ELc78ELc84EKDF16_S1_DF16_EEvlllT_PT11_llS4_llS2_PT12_llPT13_lli.uses_flat_scratch, 0
	.set _ZN12_GLOBAL__N_135rocblas_gemm_batched_general_kernelIfLi16ELi16ELi32ELi32ELi8ELi32ELi8ELi8ELi32ELc78ELc84EKDF16_S1_DF16_EEvlllT_PT11_llS4_llS2_PT12_llPT13_lli.has_dyn_sized_stack, 0
	.set _ZN12_GLOBAL__N_135rocblas_gemm_batched_general_kernelIfLi16ELi16ELi32ELi32ELi8ELi32ELi8ELi8ELi32ELc78ELc84EKDF16_S1_DF16_EEvlllT_PT11_llS4_llS2_PT12_llPT13_lli.has_recursion, 0
	.set _ZN12_GLOBAL__N_135rocblas_gemm_batched_general_kernelIfLi16ELi16ELi32ELi32ELi8ELi32ELi8ELi8ELi32ELc78ELc84EKDF16_S1_DF16_EEvlllT_PT11_llS4_llS2_PT12_llPT13_lli.has_indirect_call, 0
	.section	.AMDGPU.csdata,"",@progbits
; Kernel info:
; codeLenInByte = 1944
; TotalNumSgprs: 36
; NumVgprs: 44
; ScratchSize: 0
; MemoryBound: 0
; FloatMode: 240
; IeeeMode: 1
; LDSByteSize: 2048 bytes/workgroup (compile time only)
; SGPRBlocks: 0
; VGPRBlocks: 5
; NumSGPRsForWavesPerEU: 36
; NumVGPRsForWavesPerEU: 44
; Occupancy: 16
; WaveLimiterHint : 0
; COMPUTE_PGM_RSRC2:SCRATCH_EN: 0
; COMPUTE_PGM_RSRC2:USER_SGPR: 6
; COMPUTE_PGM_RSRC2:TRAP_HANDLER: 0
; COMPUTE_PGM_RSRC2:TGID_X_EN: 1
; COMPUTE_PGM_RSRC2:TGID_Y_EN: 1
; COMPUTE_PGM_RSRC2:TGID_Z_EN: 1
; COMPUTE_PGM_RSRC2:TIDIG_COMP_CNT: 1
	.section	.text._ZN12_GLOBAL__N_135rocblas_gemm_batched_general_kernelIfLi16ELi16ELi32ELi32ELi8ELi32ELi8ELi8ELi32ELc84ELc84EKDF16_S1_DF16_EEvlllT_PT11_llS4_llS2_PT12_llPT13_lli,"axG",@progbits,_ZN12_GLOBAL__N_135rocblas_gemm_batched_general_kernelIfLi16ELi16ELi32ELi32ELi8ELi32ELi8ELi8ELi32ELc84ELc84EKDF16_S1_DF16_EEvlllT_PT11_llS4_llS2_PT12_llPT13_lli,comdat
	.globl	_ZN12_GLOBAL__N_135rocblas_gemm_batched_general_kernelIfLi16ELi16ELi32ELi32ELi8ELi32ELi8ELi8ELi32ELc84ELc84EKDF16_S1_DF16_EEvlllT_PT11_llS4_llS2_PT12_llPT13_lli ; -- Begin function _ZN12_GLOBAL__N_135rocblas_gemm_batched_general_kernelIfLi16ELi16ELi32ELi32ELi8ELi32ELi8ELi8ELi32ELc84ELc84EKDF16_S1_DF16_EEvlllT_PT11_llS4_llS2_PT12_llPT13_lli
	.p2align	8
	.type	_ZN12_GLOBAL__N_135rocblas_gemm_batched_general_kernelIfLi16ELi16ELi32ELi32ELi8ELi32ELi8ELi8ELi32ELc84ELc84EKDF16_S1_DF16_EEvlllT_PT11_llS4_llS2_PT12_llPT13_lli,@function
_ZN12_GLOBAL__N_135rocblas_gemm_batched_general_kernelIfLi16ELi16ELi32ELi32ELi8ELi32ELi8ELi8ELi32ELc84ELc84EKDF16_S1_DF16_EEvlllT_PT11_llS4_llS2_PT12_llPT13_lli: ; @_ZN12_GLOBAL__N_135rocblas_gemm_batched_general_kernelIfLi16ELi16ELi32ELi32ELi8ELi32ELi8ELi8ELi32ELc84ELc84EKDF16_S1_DF16_EEvlllT_PT11_llS4_llS2_PT12_llPT13_lli
; %bb.0:
	s_clause 0x1
	s_load_dwordx2 s[10:11], s[4:5], 0x10
	s_load_dwordx4 s[20:23], s[4:5], 0x0
	s_mov_b32 s0, s7
	v_mov_b32_e32 v10, 0
	v_mov_b32_e32 v9, 0
	;; [unrolled: 1-line block ×4, first 2 shown]
	s_ashr_i32 s7, s6, 31
	s_ashr_i32 s1, s0, 31
	s_lshl_b64 s[6:7], s[6:7], 5
	s_waitcnt lgkmcnt(0)
	v_cmp_lt_i64_e64 s2, s[10:11], 1
	s_and_b32 vcc_lo, exec_lo, s2
	s_lshl_b64 s[2:3], s[0:1], 5
	s_cbranch_vccnz .LBB384_7
; %bb.1:
	s_clause 0x1
	s_load_dwordx4 s[24:27], s[4:5], 0x40
	s_load_dwordx8 s[12:19], s[4:5], 0x20
	v_lshl_add_u32 v2, v1, 4, v0
	v_and_b32_e32 v6, 7, v0
	v_mov_b32_e32 v3, s7
	s_lshl_b64 s[28:29], s[0:1], 6
	v_mov_b32_e32 v7, 0
	v_and_b32_e32 v14, 31, v2
	v_lshrrev_b32_e32 v10, 3, v2
	v_lshrrev_b32_e32 v13, 5, v2
	v_lshlrev_b32_e32 v15, 2, v6
	v_lshlrev_b32_e32 v11, 2, v0
	v_or_b32_e32 v2, s6, v14
	v_add_co_u32 v8, s0, v10, s2
	v_add_co_ci_u32_e64 v9, null, 0, s3, s0
	v_add_co_u32 v17, s0, s6, v14
	v_add_co_ci_u32_e64 v18, null, s7, 0, s0
	s_waitcnt lgkmcnt(0)
	v_mad_u64_u32 v[4:5], null, s24, v6, 0
	v_cmp_gt_i64_e64 s0, s[20:21], v[2:3]
	v_cmp_gt_i64_e64 s1, s[22:23], v[8:9]
	v_mul_lo_u32 v8, s15, v17
	v_mul_lo_u32 v9, s14, v18
	s_mul_i32 s9, s27, s8
	s_mul_hi_u32 s27, s26, s8
	v_mad_u64_u32 v[2:3], null, s25, v6, v[5:6]
	s_mul_i32 s26, s26, s8
	s_add_i32 s27, s27, s9
	s_mul_i32 s9, s17, s8
	s_mul_hi_u32 s17, s16, s8
	v_lshlrev_b32_e32 v16, 2, v14
	v_lshl_or_b32 v15, v10, 5, v15
	v_mov_b32_e32 v5, v2
	v_mad_u64_u32 v[2:3], null, s14, v17, 0
	s_lshl_b64 s[14:15], s[26:27], 1
	v_lshl_add_u32 v12, v1, 5, 0x400
	v_lshlrev_b64 v[4:5], 1, v[4:5]
	s_add_u32 s14, s28, s14
	s_addc_u32 s15, s29, s15
	v_lshl_or_b32 v14, v13, 7, v16
	v_add3_u32 v3, v3, v9, v8
	v_lshlrev_b32_e32 v8, 1, v10
	v_add_co_u32 v4, vcc_lo, s14, v4
	v_add_co_ci_u32_e64 v5, null, s15, v5, vcc_lo
	v_lshlrev_b64 v[2:3], 1, v[2:3]
	s_add_i32 s15, s17, s9
	s_mul_i32 s14, s16, s8
	v_lshlrev_b32_e32 v9, 1, v13
	s_lshl_b64 s[14:15], s[14:15], 1
	v_add_nc_u32_e32 v15, 0x400, v15
	v_add_co_u32 v2, vcc_lo, v2, s14
	v_add_co_ci_u32_e64 v3, null, s15, v3, vcc_lo
	v_add_co_u32 v4, vcc_lo, v4, v8
	v_add_co_ci_u32_e64 v5, null, 0, v5, vcc_lo
	;; [unrolled: 2-line block ×5, first 2 shown]
	v_mov_b32_e32 v8, 0
	v_mov_b32_e32 v9, 0
	;; [unrolled: 1-line block ×3, first 2 shown]
	s_lshl_b64 s[12:13], s[24:25], 4
	s_mov_b64 s[14:15], 0
	s_branch .LBB384_3
.LBB384_2:                              ;   in Loop: Header=BB384_3 Depth=1
	s_or_b32 exec_lo, exec_lo, s9
	ds_write_b32 v15, v17
	s_waitcnt lgkmcnt(0)
	s_barrier
	buffer_gl0_inv
	ds_read_b128 v[16:19], v12
	ds_read2_b32 v[32:33], v11 offset1:16
	ds_read_b128 v[20:23], v12 offset:512
	ds_read2_b32 v[34:35], v11 offset0:32 offset1:48
	ds_read2_b32 v[36:37], v11 offset0:64 offset1:80
	;; [unrolled: 1-line block ×3, first 2 shown]
	ds_read_b128 v[24:27], v12 offset:16
	ds_read2_b32 v[40:41], v11 offset0:128 offset1:144
	ds_read_b128 v[28:31], v12 offset:528
	ds_read2_b32 v[42:43], v11 offset0:160 offset1:176
	s_add_u32 s14, s14, 8
	s_addc_u32 s15, s15, 0
	v_add_co_u32 v2, vcc_lo, v2, s12
	v_cmp_lt_i64_e64 s9, s[14:15], s[10:11]
	v_add_co_ci_u32_e64 v3, null, s13, v3, vcc_lo
	v_add_co_u32 v4, vcc_lo, v4, 16
	v_add_co_ci_u32_e64 v5, null, 0, v5, vcc_lo
	s_waitcnt lgkmcnt(8)
	v_fmac_f32_e32 v10, v32, v16
	v_fmac_f32_e32 v9, v33, v16
	s_waitcnt lgkmcnt(7)
	v_fmac_f32_e32 v8, v32, v20
	v_fmac_f32_e32 v7, v33, v20
	ds_read2_b32 v[32:33], v11 offset0:192 offset1:208
	s_waitcnt lgkmcnt(7)
	v_fmac_f32_e32 v10, v34, v17
	v_fmac_f32_e32 v9, v35, v17
	;; [unrolled: 1-line block ×4, first 2 shown]
	ds_read2_b32 v[16:17], v11 offset0:224 offset1:240
	s_waitcnt lgkmcnt(7)
	v_fmac_f32_e32 v10, v36, v18
	v_fmac_f32_e32 v9, v37, v18
	;; [unrolled: 1-line block ×4, first 2 shown]
	s_and_b32 vcc_lo, exec_lo, s9
	s_waitcnt lgkmcnt(6)
	v_fmac_f32_e32 v10, v38, v19
	v_fmac_f32_e32 v9, v39, v19
	;; [unrolled: 1-line block ×4, first 2 shown]
	s_waitcnt lgkmcnt(0)
	v_fmac_f32_e32 v10, v40, v24
	v_fmac_f32_e32 v9, v41, v24
	;; [unrolled: 1-line block ×4, first 2 shown]
	s_barrier
	v_fmac_f32_e32 v10, v42, v25
	v_fmac_f32_e32 v9, v43, v25
	;; [unrolled: 1-line block ×4, first 2 shown]
	buffer_gl0_inv
	v_fmac_f32_e32 v10, v32, v26
	v_fmac_f32_e32 v9, v33, v26
	;; [unrolled: 1-line block ×8, first 2 shown]
	s_cbranch_vccz .LBB384_7
.LBB384_3:                              ; =>This Inner Loop Header: Depth=1
	v_add_co_u32 v16, s9, v13, s14
	v_add_co_ci_u32_e64 v17, null, 0, s15, s9
	v_cmp_gt_i64_e32 vcc_lo, s[10:11], v[16:17]
	v_mov_b32_e32 v16, 0
	s_and_b32 s16, s0, vcc_lo
	s_and_saveexec_b32 s9, s16
	s_cbranch_execz .LBB384_5
; %bb.4:                                ;   in Loop: Header=BB384_3 Depth=1
	global_load_ushort v16, v[4:5], off
	s_waitcnt vmcnt(0)
	v_cvt_f32_f16_e32 v16, v16
.LBB384_5:                              ;   in Loop: Header=BB384_3 Depth=1
	s_or_b32 exec_lo, exec_lo, s9
	v_add_co_u32 v17, s9, v6, s14
	v_add_co_ci_u32_e64 v18, null, 0, s15, s9
	ds_write_b32 v14, v16
	v_cmp_gt_i64_e32 vcc_lo, s[10:11], v[17:18]
	v_mov_b32_e32 v17, 0
	s_and_b32 s16, vcc_lo, s1
	s_and_saveexec_b32 s9, s16
	s_cbranch_execz .LBB384_2
; %bb.6:                                ;   in Loop: Header=BB384_3 Depth=1
	global_load_ushort v16, v[2:3], off
	s_waitcnt vmcnt(0)
	v_cvt_f32_f16_e32 v17, v16
	s_branch .LBB384_2
.LBB384_7:
	s_clause 0x3
	s_load_dwordx4 s[24:27], s[4:5], 0x78
	s_load_dword s9, s[4:5], 0x50
	s_load_dwordx8 s[12:19], s[4:5], 0x58
	s_load_dword s4, s[4:5], 0x18
	v_add_co_u32 v1, s0, s2, v1
	v_add_co_ci_u32_e64 v2, null, s3, 0, s0
	s_waitcnt lgkmcnt(0)
	s_mul_i32 s1, s27, s8
	s_mul_hi_u32 s2, s26, s8
	s_mul_i32 s0, s26, s8
	s_add_i32 s1, s2, s1
	v_cmp_neq_f32_e64 s2, s9, 0
	s_lshl_b64 s[10:11], s[0:1], 1
	v_cmp_gt_i64_e64 s0, s[22:23], v[1:2]
	s_add_u32 s3, s18, s10
	s_addc_u32 s5, s19, s11
	s_and_b32 vcc_lo, exec_lo, s2
	s_cbranch_vccnz .LBB384_20
; %bb.8:
	s_and_saveexec_b32 s10, s0
	s_cbranch_execz .LBB384_18
; %bb.9:
	v_mul_lo_u32 v5, v2, s24
	v_mul_lo_u32 v6, v1, s25
	v_mad_u64_u32 v[3:4], null, v1, s24, 0
	v_add3_u32 v4, v4, v6, v5
	v_add_co_u32 v5, s1, s6, v0
	v_add_co_ci_u32_e64 v6, null, s7, 0, s1
	v_lshlrev_b64 v[11:12], 1, v[3:4]
	v_cmp_gt_i64_e32 vcc_lo, s[20:21], v[5:6]
	v_lshlrev_b64 v[3:4], 1, v[5:6]
	v_add_co_u32 v11, s1, s3, v11
	v_add_co_ci_u32_e64 v12, null, s5, v12, s1
	s_and_saveexec_b32 s2, vcc_lo
	s_cbranch_execz .LBB384_11
; %bb.10:
	v_add_co_u32 v13, s1, v11, v3
	v_add_co_ci_u32_e64 v14, null, v12, v4, s1
	v_fma_mixlo_f16 v15, s4, v10, 0
	global_store_short v[13:14], v15, off
.LBB384_11:
	s_or_b32 exec_lo, exec_lo, s2
	v_add_co_u32 v5, s1, v5, 16
	v_add_co_ci_u32_e64 v6, null, 0, v6, s1
	v_cmp_gt_i64_e64 s1, s[20:21], v[5:6]
	s_and_saveexec_b32 s11, s1
	s_cbranch_execz .LBB384_13
; %bb.12:
	v_add_co_u32 v5, s2, v11, v3
	v_add_co_ci_u32_e64 v6, null, v12, v4, s2
	v_fma_mixlo_f16 v13, s4, v9, 0
	global_store_short v[5:6], v13, off offset:32
.LBB384_13:
	s_or_b32 exec_lo, exec_lo, s11
	v_add_co_u32 v5, s2, v1, 16
	v_add_co_ci_u32_e64 v6, null, 0, v2, s2
	v_cmp_gt_i64_e64 s2, s[22:23], v[5:6]
	s_and_b32 exec_lo, exec_lo, s2
	s_cbranch_execz .LBB384_18
; %bb.14:
	s_lshl_b64 s[18:19], s[24:25], 5
	v_add_co_u32 v5, s2, v11, s18
	v_add_co_ci_u32_e64 v6, null, s19, v12, s2
	v_add_co_u32 v3, s2, v5, v3
	v_add_co_ci_u32_e64 v4, null, v6, v4, s2
	s_and_saveexec_b32 s2, vcc_lo
	s_cbranch_execz .LBB384_16
; %bb.15:
	v_fma_mixlo_f16 v5, s4, v8, 0
	global_store_short v[3:4], v5, off
.LBB384_16:
	s_or_b32 exec_lo, exec_lo, s2
	s_and_b32 exec_lo, exec_lo, s1
	s_cbranch_execz .LBB384_18
; %bb.17:
	v_fma_mixlo_f16 v5, s4, v7, 0
	global_store_short v[3:4], v5, off offset:32
.LBB384_18:
	s_or_b32 exec_lo, exec_lo, s10
	s_cbranch_execz .LBB384_21
.LBB384_19:
	s_endpgm
.LBB384_20:
.LBB384_21:
	s_and_saveexec_b32 s1, s0
	s_cbranch_execz .LBB384_19
; %bb.22:
	v_mul_lo_u32 v5, v2, s14
	v_mul_lo_u32 v6, v1, s15
	v_mad_u64_u32 v[3:4], null, v1, s14, 0
	v_mul_lo_u32 v13, v2, s24
	v_mul_lo_u32 v14, v1, s25
	v_mad_u64_u32 v[11:12], null, v1, s24, 0
	s_mul_i32 s0, s17, s8
	s_mul_hi_u32 s1, s16, s8
	v_add3_u32 v4, v4, v6, v5
	s_add_i32 s1, s1, s0
	s_mul_i32 s0, s16, s8
	v_add_co_u32 v5, s2, s6, v0
	v_add3_u32 v12, v12, v14, v13
	v_lshlrev_b64 v[3:4], 1, v[3:4]
	s_lshl_b64 s[0:1], s[0:1], 1
	v_add_co_ci_u32_e64 v6, null, s7, 0, s2
	v_lshlrev_b64 v[12:13], 1, v[11:12]
	s_add_u32 s0, s12, s0
	s_addc_u32 s1, s13, s1
	v_add_co_u32 v0, s0, s0, v3
	v_add_co_ci_u32_e64 v11, null, s1, v4, s0
	v_add_co_u32 v12, s0, s3, v12
	v_cmp_gt_i64_e32 vcc_lo, s[20:21], v[5:6]
	v_lshlrev_b64 v[3:4], 1, v[5:6]
	v_add_co_ci_u32_e64 v13, null, s5, v13, s0
	s_and_saveexec_b32 s1, vcc_lo
	s_cbranch_execz .LBB384_24
; %bb.23:
	v_add_co_u32 v14, s0, v0, v3
	v_add_co_ci_u32_e64 v15, null, v11, v4, s0
	global_load_ushort v14, v[14:15], off
	s_waitcnt vmcnt(0)
	v_cvt_f32_f16_e32 v14, v14
	v_mul_f32_e32 v14, s9, v14
	v_fma_mixlo_f16 v10, s4, v10, v14
	v_add_co_u32 v14, s0, v12, v3
	v_add_co_ci_u32_e64 v15, null, v13, v4, s0
	global_store_short v[14:15], v10, off
.LBB384_24:
	s_or_b32 exec_lo, exec_lo, s1
	v_add_co_u32 v5, s0, v5, 16
	v_add_co_ci_u32_e64 v6, null, 0, v6, s0
	v_cmp_gt_i64_e64 s0, s[20:21], v[5:6]
	s_and_saveexec_b32 s2, s0
	s_cbranch_execz .LBB384_26
; %bb.25:
	v_add_co_u32 v5, s1, v0, v3
	v_add_co_ci_u32_e64 v6, null, v11, v4, s1
	global_load_ushort v5, v[5:6], off offset:32
	s_waitcnt vmcnt(0)
	v_cvt_f32_f16_e32 v5, v5
	v_mul_f32_e32 v5, s9, v5
	v_fma_mixlo_f16 v9, s4, v9, v5
	v_add_co_u32 v5, s1, v12, v3
	v_add_co_ci_u32_e64 v6, null, v13, v4, s1
	global_store_short v[5:6], v9, off offset:32
.LBB384_26:
	s_or_b32 exec_lo, exec_lo, s2
	v_add_co_u32 v1, s1, v1, 16
	v_add_co_ci_u32_e64 v2, null, 0, v2, s1
	v_cmp_gt_i64_e64 s1, s[22:23], v[1:2]
	s_and_b32 exec_lo, exec_lo, s1
	s_cbranch_execz .LBB384_19
; %bb.27:
	s_lshl_b64 s[2:3], s[14:15], 5
	v_add_co_u32 v0, s1, v0, s2
	v_add_co_ci_u32_e64 v1, null, s3, v11, s1
	s_lshl_b64 s[2:3], s[24:25], 5
	v_add_co_u32 v2, s1, v12, s2
	v_add_co_ci_u32_e64 v5, null, s3, v13, s1
	v_add_co_u32 v0, s1, v0, v3
	v_add_co_ci_u32_e64 v1, null, v1, v4, s1
	;; [unrolled: 2-line block ×3, first 2 shown]
	s_and_saveexec_b32 s1, vcc_lo
	s_cbranch_execz .LBB384_29
; %bb.28:
	global_load_ushort v4, v[0:1], off
	s_waitcnt vmcnt(0)
	v_cvt_f32_f16_e32 v4, v4
	v_mul_f32_e32 v4, s9, v4
	v_fma_mixlo_f16 v4, s4, v8, v4
	global_store_short v[2:3], v4, off
.LBB384_29:
	s_or_b32 exec_lo, exec_lo, s1
	s_and_b32 exec_lo, exec_lo, s0
	s_cbranch_execz .LBB384_19
; %bb.30:
	global_load_ushort v0, v[0:1], off offset:32
	s_waitcnt vmcnt(0)
	v_cvt_f32_f16_e32 v0, v0
	v_mul_f32_e32 v0, s9, v0
	v_fma_mixlo_f16 v0, s4, v7, v0
	global_store_short v[2:3], v0, off offset:32
	s_endpgm
	.section	.rodata,"a",@progbits
	.p2align	6, 0x0
	.amdhsa_kernel _ZN12_GLOBAL__N_135rocblas_gemm_batched_general_kernelIfLi16ELi16ELi32ELi32ELi8ELi32ELi8ELi8ELi32ELc84ELc84EKDF16_S1_DF16_EEvlllT_PT11_llS4_llS2_PT12_llPT13_lli
		.amdhsa_group_segment_fixed_size 2048
		.amdhsa_private_segment_fixed_size 0
		.amdhsa_kernarg_size 140
		.amdhsa_user_sgpr_count 6
		.amdhsa_user_sgpr_private_segment_buffer 1
		.amdhsa_user_sgpr_dispatch_ptr 0
		.amdhsa_user_sgpr_queue_ptr 0
		.amdhsa_user_sgpr_kernarg_segment_ptr 1
		.amdhsa_user_sgpr_dispatch_id 0
		.amdhsa_user_sgpr_flat_scratch_init 0
		.amdhsa_user_sgpr_private_segment_size 0
		.amdhsa_wavefront_size32 1
		.amdhsa_uses_dynamic_stack 0
		.amdhsa_system_sgpr_private_segment_wavefront_offset 0
		.amdhsa_system_sgpr_workgroup_id_x 1
		.amdhsa_system_sgpr_workgroup_id_y 1
		.amdhsa_system_sgpr_workgroup_id_z 1
		.amdhsa_system_sgpr_workgroup_info 0
		.amdhsa_system_vgpr_workitem_id 1
		.amdhsa_next_free_vgpr 44
		.amdhsa_next_free_sgpr 30
		.amdhsa_reserve_vcc 1
		.amdhsa_reserve_flat_scratch 0
		.amdhsa_float_round_mode_32 0
		.amdhsa_float_round_mode_16_64 0
		.amdhsa_float_denorm_mode_32 3
		.amdhsa_float_denorm_mode_16_64 3
		.amdhsa_dx10_clamp 1
		.amdhsa_ieee_mode 1
		.amdhsa_fp16_overflow 0
		.amdhsa_workgroup_processor_mode 1
		.amdhsa_memory_ordered 1
		.amdhsa_forward_progress 1
		.amdhsa_shared_vgpr_count 0
		.amdhsa_exception_fp_ieee_invalid_op 0
		.amdhsa_exception_fp_denorm_src 0
		.amdhsa_exception_fp_ieee_div_zero 0
		.amdhsa_exception_fp_ieee_overflow 0
		.amdhsa_exception_fp_ieee_underflow 0
		.amdhsa_exception_fp_ieee_inexact 0
		.amdhsa_exception_int_div_zero 0
	.end_amdhsa_kernel
	.section	.text._ZN12_GLOBAL__N_135rocblas_gemm_batched_general_kernelIfLi16ELi16ELi32ELi32ELi8ELi32ELi8ELi8ELi32ELc84ELc84EKDF16_S1_DF16_EEvlllT_PT11_llS4_llS2_PT12_llPT13_lli,"axG",@progbits,_ZN12_GLOBAL__N_135rocblas_gemm_batched_general_kernelIfLi16ELi16ELi32ELi32ELi8ELi32ELi8ELi8ELi32ELc84ELc84EKDF16_S1_DF16_EEvlllT_PT11_llS4_llS2_PT12_llPT13_lli,comdat
.Lfunc_end384:
	.size	_ZN12_GLOBAL__N_135rocblas_gemm_batched_general_kernelIfLi16ELi16ELi32ELi32ELi8ELi32ELi8ELi8ELi32ELc84ELc84EKDF16_S1_DF16_EEvlllT_PT11_llS4_llS2_PT12_llPT13_lli, .Lfunc_end384-_ZN12_GLOBAL__N_135rocblas_gemm_batched_general_kernelIfLi16ELi16ELi32ELi32ELi8ELi32ELi8ELi8ELi32ELc84ELc84EKDF16_S1_DF16_EEvlllT_PT11_llS4_llS2_PT12_llPT13_lli
                                        ; -- End function
	.set _ZN12_GLOBAL__N_135rocblas_gemm_batched_general_kernelIfLi16ELi16ELi32ELi32ELi8ELi32ELi8ELi8ELi32ELc84ELc84EKDF16_S1_DF16_EEvlllT_PT11_llS4_llS2_PT12_llPT13_lli.num_vgpr, 44
	.set _ZN12_GLOBAL__N_135rocblas_gemm_batched_general_kernelIfLi16ELi16ELi32ELi32ELi8ELi32ELi8ELi8ELi32ELc84ELc84EKDF16_S1_DF16_EEvlllT_PT11_llS4_llS2_PT12_llPT13_lli.num_agpr, 0
	.set _ZN12_GLOBAL__N_135rocblas_gemm_batched_general_kernelIfLi16ELi16ELi32ELi32ELi8ELi32ELi8ELi8ELi32ELc84ELc84EKDF16_S1_DF16_EEvlllT_PT11_llS4_llS2_PT12_llPT13_lli.numbered_sgpr, 30
	.set _ZN12_GLOBAL__N_135rocblas_gemm_batched_general_kernelIfLi16ELi16ELi32ELi32ELi8ELi32ELi8ELi8ELi32ELc84ELc84EKDF16_S1_DF16_EEvlllT_PT11_llS4_llS2_PT12_llPT13_lli.num_named_barrier, 0
	.set _ZN12_GLOBAL__N_135rocblas_gemm_batched_general_kernelIfLi16ELi16ELi32ELi32ELi8ELi32ELi8ELi8ELi32ELc84ELc84EKDF16_S1_DF16_EEvlllT_PT11_llS4_llS2_PT12_llPT13_lli.private_seg_size, 0
	.set _ZN12_GLOBAL__N_135rocblas_gemm_batched_general_kernelIfLi16ELi16ELi32ELi32ELi8ELi32ELi8ELi8ELi32ELc84ELc84EKDF16_S1_DF16_EEvlllT_PT11_llS4_llS2_PT12_llPT13_lli.uses_vcc, 1
	.set _ZN12_GLOBAL__N_135rocblas_gemm_batched_general_kernelIfLi16ELi16ELi32ELi32ELi8ELi32ELi8ELi8ELi32ELc84ELc84EKDF16_S1_DF16_EEvlllT_PT11_llS4_llS2_PT12_llPT13_lli.uses_flat_scratch, 0
	.set _ZN12_GLOBAL__N_135rocblas_gemm_batched_general_kernelIfLi16ELi16ELi32ELi32ELi8ELi32ELi8ELi8ELi32ELc84ELc84EKDF16_S1_DF16_EEvlllT_PT11_llS4_llS2_PT12_llPT13_lli.has_dyn_sized_stack, 0
	.set _ZN12_GLOBAL__N_135rocblas_gemm_batched_general_kernelIfLi16ELi16ELi32ELi32ELi8ELi32ELi8ELi8ELi32ELc84ELc84EKDF16_S1_DF16_EEvlllT_PT11_llS4_llS2_PT12_llPT13_lli.has_recursion, 0
	.set _ZN12_GLOBAL__N_135rocblas_gemm_batched_general_kernelIfLi16ELi16ELi32ELi32ELi8ELi32ELi8ELi8ELi32ELc84ELc84EKDF16_S1_DF16_EEvlllT_PT11_llS4_llS2_PT12_llPT13_lli.has_indirect_call, 0
	.section	.AMDGPU.csdata,"",@progbits
; Kernel info:
; codeLenInByte = 1948
; TotalNumSgprs: 32
; NumVgprs: 44
; ScratchSize: 0
; MemoryBound: 0
; FloatMode: 240
; IeeeMode: 1
; LDSByteSize: 2048 bytes/workgroup (compile time only)
; SGPRBlocks: 0
; VGPRBlocks: 5
; NumSGPRsForWavesPerEU: 32
; NumVGPRsForWavesPerEU: 44
; Occupancy: 16
; WaveLimiterHint : 0
; COMPUTE_PGM_RSRC2:SCRATCH_EN: 0
; COMPUTE_PGM_RSRC2:USER_SGPR: 6
; COMPUTE_PGM_RSRC2:TRAP_HANDLER: 0
; COMPUTE_PGM_RSRC2:TGID_X_EN: 1
; COMPUTE_PGM_RSRC2:TGID_Y_EN: 1
; COMPUTE_PGM_RSRC2:TGID_Z_EN: 1
; COMPUTE_PGM_RSRC2:TIDIG_COMP_CNT: 1
	.section	.text._ZN12_GLOBAL__N_135rocblas_gemm_batched_general_kernelIfLi16ELi16ELi32ELi32ELi8ELi32ELi8ELi8ELi32ELc67ELc67EKDF16_S1_DF16_EEvlllT_PT11_llS4_llS2_PT12_llPT13_lli,"axG",@progbits,_ZN12_GLOBAL__N_135rocblas_gemm_batched_general_kernelIfLi16ELi16ELi32ELi32ELi8ELi32ELi8ELi8ELi32ELc67ELc67EKDF16_S1_DF16_EEvlllT_PT11_llS4_llS2_PT12_llPT13_lli,comdat
	.globl	_ZN12_GLOBAL__N_135rocblas_gemm_batched_general_kernelIfLi16ELi16ELi32ELi32ELi8ELi32ELi8ELi8ELi32ELc67ELc67EKDF16_S1_DF16_EEvlllT_PT11_llS4_llS2_PT12_llPT13_lli ; -- Begin function _ZN12_GLOBAL__N_135rocblas_gemm_batched_general_kernelIfLi16ELi16ELi32ELi32ELi8ELi32ELi8ELi8ELi32ELc67ELc67EKDF16_S1_DF16_EEvlllT_PT11_llS4_llS2_PT12_llPT13_lli
	.p2align	8
	.type	_ZN12_GLOBAL__N_135rocblas_gemm_batched_general_kernelIfLi16ELi16ELi32ELi32ELi8ELi32ELi8ELi8ELi32ELc67ELc67EKDF16_S1_DF16_EEvlllT_PT11_llS4_llS2_PT12_llPT13_lli,@function
_ZN12_GLOBAL__N_135rocblas_gemm_batched_general_kernelIfLi16ELi16ELi32ELi32ELi8ELi32ELi8ELi8ELi32ELc67ELc67EKDF16_S1_DF16_EEvlllT_PT11_llS4_llS2_PT12_llPT13_lli: ; @_ZN12_GLOBAL__N_135rocblas_gemm_batched_general_kernelIfLi16ELi16ELi32ELi32ELi8ELi32ELi8ELi8ELi32ELc67ELc67EKDF16_S1_DF16_EEvlllT_PT11_llS4_llS2_PT12_llPT13_lli
; %bb.0:
	s_clause 0x1
	s_load_dwordx2 s[10:11], s[4:5], 0x10
	s_load_dwordx4 s[20:23], s[4:5], 0x0
	s_mov_b32 s0, s7
	v_mov_b32_e32 v10, 0
	v_mov_b32_e32 v9, 0
	;; [unrolled: 1-line block ×4, first 2 shown]
	s_ashr_i32 s7, s6, 31
	s_ashr_i32 s1, s0, 31
	s_lshl_b64 s[6:7], s[6:7], 5
	s_waitcnt lgkmcnt(0)
	v_cmp_lt_i64_e64 s2, s[10:11], 1
	s_and_b32 vcc_lo, exec_lo, s2
	s_lshl_b64 s[2:3], s[0:1], 5
	s_cbranch_vccnz .LBB385_7
; %bb.1:
	s_clause 0x1
	s_load_dwordx4 s[24:27], s[4:5], 0x40
	s_load_dwordx8 s[12:19], s[4:5], 0x20
	v_lshl_add_u32 v2, v1, 4, v0
	v_and_b32_e32 v6, 7, v0
	v_mov_b32_e32 v3, s7
	s_lshl_b64 s[28:29], s[0:1], 6
	v_mov_b32_e32 v7, 0
	v_and_b32_e32 v14, 31, v2
	v_lshrrev_b32_e32 v10, 3, v2
	v_lshrrev_b32_e32 v13, 5, v2
	v_lshlrev_b32_e32 v15, 2, v6
	v_lshlrev_b32_e32 v11, 2, v0
	v_or_b32_e32 v2, s6, v14
	v_add_co_u32 v8, s0, v10, s2
	v_add_co_ci_u32_e64 v9, null, 0, s3, s0
	v_add_co_u32 v17, s0, s6, v14
	v_add_co_ci_u32_e64 v18, null, s7, 0, s0
	s_waitcnt lgkmcnt(0)
	v_mad_u64_u32 v[4:5], null, s24, v6, 0
	v_cmp_gt_i64_e64 s0, s[20:21], v[2:3]
	v_cmp_gt_i64_e64 s1, s[22:23], v[8:9]
	v_mul_lo_u32 v8, s15, v17
	v_mul_lo_u32 v9, s14, v18
	s_mul_i32 s9, s27, s8
	s_mul_hi_u32 s27, s26, s8
	v_mad_u64_u32 v[2:3], null, s25, v6, v[5:6]
	s_mul_i32 s26, s26, s8
	s_add_i32 s27, s27, s9
	s_mul_i32 s9, s17, s8
	s_mul_hi_u32 s17, s16, s8
	v_lshlrev_b32_e32 v16, 2, v14
	v_lshl_or_b32 v15, v10, 5, v15
	v_mov_b32_e32 v5, v2
	v_mad_u64_u32 v[2:3], null, s14, v17, 0
	s_lshl_b64 s[14:15], s[26:27], 1
	v_lshl_add_u32 v12, v1, 5, 0x400
	v_lshlrev_b64 v[4:5], 1, v[4:5]
	s_add_u32 s14, s28, s14
	s_addc_u32 s15, s29, s15
	v_lshl_or_b32 v14, v13, 7, v16
	v_add3_u32 v3, v3, v9, v8
	v_lshlrev_b32_e32 v8, 1, v10
	v_add_co_u32 v4, vcc_lo, s14, v4
	v_add_co_ci_u32_e64 v5, null, s15, v5, vcc_lo
	v_lshlrev_b64 v[2:3], 1, v[2:3]
	s_add_i32 s15, s17, s9
	s_mul_i32 s14, s16, s8
	v_lshlrev_b32_e32 v9, 1, v13
	s_lshl_b64 s[14:15], s[14:15], 1
	v_add_nc_u32_e32 v15, 0x400, v15
	v_add_co_u32 v2, vcc_lo, v2, s14
	v_add_co_ci_u32_e64 v3, null, s15, v3, vcc_lo
	v_add_co_u32 v4, vcc_lo, v4, v8
	v_add_co_ci_u32_e64 v5, null, 0, v5, vcc_lo
	;; [unrolled: 2-line block ×5, first 2 shown]
	v_mov_b32_e32 v8, 0
	v_mov_b32_e32 v9, 0
	;; [unrolled: 1-line block ×3, first 2 shown]
	s_lshl_b64 s[12:13], s[24:25], 4
	s_mov_b64 s[14:15], 0
	s_branch .LBB385_3
.LBB385_2:                              ;   in Loop: Header=BB385_3 Depth=1
	s_or_b32 exec_lo, exec_lo, s9
	ds_write_b32 v15, v17
	s_waitcnt lgkmcnt(0)
	s_barrier
	buffer_gl0_inv
	ds_read_b128 v[16:19], v12
	ds_read2_b32 v[32:33], v11 offset1:16
	ds_read_b128 v[20:23], v12 offset:512
	ds_read2_b32 v[34:35], v11 offset0:32 offset1:48
	ds_read2_b32 v[36:37], v11 offset0:64 offset1:80
	;; [unrolled: 1-line block ×3, first 2 shown]
	ds_read_b128 v[24:27], v12 offset:16
	ds_read2_b32 v[40:41], v11 offset0:128 offset1:144
	ds_read_b128 v[28:31], v12 offset:528
	ds_read2_b32 v[42:43], v11 offset0:160 offset1:176
	s_add_u32 s14, s14, 8
	s_addc_u32 s15, s15, 0
	v_add_co_u32 v2, vcc_lo, v2, s12
	v_cmp_lt_i64_e64 s9, s[14:15], s[10:11]
	v_add_co_ci_u32_e64 v3, null, s13, v3, vcc_lo
	v_add_co_u32 v4, vcc_lo, v4, 16
	v_add_co_ci_u32_e64 v5, null, 0, v5, vcc_lo
	s_waitcnt lgkmcnt(8)
	v_fmac_f32_e32 v10, v32, v16
	v_fmac_f32_e32 v9, v33, v16
	s_waitcnt lgkmcnt(7)
	v_fmac_f32_e32 v8, v32, v20
	v_fmac_f32_e32 v7, v33, v20
	ds_read2_b32 v[32:33], v11 offset0:192 offset1:208
	s_waitcnt lgkmcnt(7)
	v_fmac_f32_e32 v10, v34, v17
	v_fmac_f32_e32 v9, v35, v17
	v_fmac_f32_e32 v8, v34, v21
	v_fmac_f32_e32 v7, v35, v21
	ds_read2_b32 v[16:17], v11 offset0:224 offset1:240
	s_waitcnt lgkmcnt(7)
	v_fmac_f32_e32 v10, v36, v18
	v_fmac_f32_e32 v9, v37, v18
	v_fmac_f32_e32 v8, v36, v22
	v_fmac_f32_e32 v7, v37, v22
	s_and_b32 vcc_lo, exec_lo, s9
	s_waitcnt lgkmcnt(6)
	v_fmac_f32_e32 v10, v38, v19
	v_fmac_f32_e32 v9, v39, v19
	;; [unrolled: 1-line block ×4, first 2 shown]
	s_waitcnt lgkmcnt(0)
	v_fmac_f32_e32 v10, v40, v24
	v_fmac_f32_e32 v9, v41, v24
	;; [unrolled: 1-line block ×4, first 2 shown]
	s_barrier
	v_fmac_f32_e32 v10, v42, v25
	v_fmac_f32_e32 v9, v43, v25
	;; [unrolled: 1-line block ×4, first 2 shown]
	buffer_gl0_inv
	v_fmac_f32_e32 v10, v32, v26
	v_fmac_f32_e32 v9, v33, v26
	;; [unrolled: 1-line block ×8, first 2 shown]
	s_cbranch_vccz .LBB385_7
.LBB385_3:                              ; =>This Inner Loop Header: Depth=1
	v_add_co_u32 v16, s9, v13, s14
	v_add_co_ci_u32_e64 v17, null, 0, s15, s9
	v_cmp_gt_i64_e32 vcc_lo, s[10:11], v[16:17]
	v_mov_b32_e32 v16, 0
	s_and_b32 s16, s0, vcc_lo
	s_and_saveexec_b32 s9, s16
	s_cbranch_execz .LBB385_5
; %bb.4:                                ;   in Loop: Header=BB385_3 Depth=1
	global_load_ushort v16, v[4:5], off
	s_waitcnt vmcnt(0)
	v_cvt_f32_f16_e32 v16, v16
.LBB385_5:                              ;   in Loop: Header=BB385_3 Depth=1
	s_or_b32 exec_lo, exec_lo, s9
	v_add_co_u32 v17, s9, v6, s14
	v_add_co_ci_u32_e64 v18, null, 0, s15, s9
	ds_write_b32 v14, v16
	v_cmp_gt_i64_e32 vcc_lo, s[10:11], v[17:18]
	v_mov_b32_e32 v17, 0
	s_and_b32 s16, vcc_lo, s1
	s_and_saveexec_b32 s9, s16
	s_cbranch_execz .LBB385_2
; %bb.6:                                ;   in Loop: Header=BB385_3 Depth=1
	global_load_ushort v16, v[2:3], off
	s_waitcnt vmcnt(0)
	v_cvt_f32_f16_e32 v17, v16
	s_branch .LBB385_2
.LBB385_7:
	s_clause 0x3
	s_load_dwordx4 s[24:27], s[4:5], 0x78
	s_load_dword s9, s[4:5], 0x50
	s_load_dwordx8 s[12:19], s[4:5], 0x58
	s_load_dword s4, s[4:5], 0x18
	v_add_co_u32 v1, s0, s2, v1
	v_add_co_ci_u32_e64 v2, null, s3, 0, s0
	s_waitcnt lgkmcnt(0)
	s_mul_i32 s1, s27, s8
	s_mul_hi_u32 s2, s26, s8
	s_mul_i32 s0, s26, s8
	s_add_i32 s1, s2, s1
	v_cmp_neq_f32_e64 s2, s9, 0
	s_lshl_b64 s[10:11], s[0:1], 1
	v_cmp_gt_i64_e64 s0, s[22:23], v[1:2]
	s_add_u32 s3, s18, s10
	s_addc_u32 s5, s19, s11
	s_and_b32 vcc_lo, exec_lo, s2
	s_cbranch_vccnz .LBB385_20
; %bb.8:
	s_and_saveexec_b32 s10, s0
	s_cbranch_execz .LBB385_18
; %bb.9:
	v_mul_lo_u32 v5, v2, s24
	v_mul_lo_u32 v6, v1, s25
	v_mad_u64_u32 v[3:4], null, v1, s24, 0
	v_add3_u32 v4, v4, v6, v5
	v_add_co_u32 v5, s1, s6, v0
	v_add_co_ci_u32_e64 v6, null, s7, 0, s1
	v_lshlrev_b64 v[11:12], 1, v[3:4]
	v_cmp_gt_i64_e32 vcc_lo, s[20:21], v[5:6]
	v_lshlrev_b64 v[3:4], 1, v[5:6]
	v_add_co_u32 v11, s1, s3, v11
	v_add_co_ci_u32_e64 v12, null, s5, v12, s1
	s_and_saveexec_b32 s2, vcc_lo
	s_cbranch_execz .LBB385_11
; %bb.10:
	v_add_co_u32 v13, s1, v11, v3
	v_add_co_ci_u32_e64 v14, null, v12, v4, s1
	v_fma_mixlo_f16 v15, s4, v10, 0
	global_store_short v[13:14], v15, off
.LBB385_11:
	s_or_b32 exec_lo, exec_lo, s2
	v_add_co_u32 v5, s1, v5, 16
	v_add_co_ci_u32_e64 v6, null, 0, v6, s1
	v_cmp_gt_i64_e64 s1, s[20:21], v[5:6]
	s_and_saveexec_b32 s11, s1
	s_cbranch_execz .LBB385_13
; %bb.12:
	v_add_co_u32 v5, s2, v11, v3
	v_add_co_ci_u32_e64 v6, null, v12, v4, s2
	v_fma_mixlo_f16 v13, s4, v9, 0
	global_store_short v[5:6], v13, off offset:32
.LBB385_13:
	s_or_b32 exec_lo, exec_lo, s11
	v_add_co_u32 v5, s2, v1, 16
	v_add_co_ci_u32_e64 v6, null, 0, v2, s2
	v_cmp_gt_i64_e64 s2, s[22:23], v[5:6]
	s_and_b32 exec_lo, exec_lo, s2
	s_cbranch_execz .LBB385_18
; %bb.14:
	s_lshl_b64 s[18:19], s[24:25], 5
	v_add_co_u32 v5, s2, v11, s18
	v_add_co_ci_u32_e64 v6, null, s19, v12, s2
	v_add_co_u32 v3, s2, v5, v3
	v_add_co_ci_u32_e64 v4, null, v6, v4, s2
	s_and_saveexec_b32 s2, vcc_lo
	s_cbranch_execz .LBB385_16
; %bb.15:
	v_fma_mixlo_f16 v5, s4, v8, 0
	global_store_short v[3:4], v5, off
.LBB385_16:
	s_or_b32 exec_lo, exec_lo, s2
	s_and_b32 exec_lo, exec_lo, s1
	s_cbranch_execz .LBB385_18
; %bb.17:
	v_fma_mixlo_f16 v5, s4, v7, 0
	global_store_short v[3:4], v5, off offset:32
.LBB385_18:
	s_or_b32 exec_lo, exec_lo, s10
	s_cbranch_execz .LBB385_21
.LBB385_19:
	s_endpgm
.LBB385_20:
.LBB385_21:
	s_and_saveexec_b32 s1, s0
	s_cbranch_execz .LBB385_19
; %bb.22:
	v_mul_lo_u32 v5, v2, s14
	v_mul_lo_u32 v6, v1, s15
	v_mad_u64_u32 v[3:4], null, v1, s14, 0
	v_mul_lo_u32 v13, v2, s24
	v_mul_lo_u32 v14, v1, s25
	v_mad_u64_u32 v[11:12], null, v1, s24, 0
	s_mul_i32 s0, s17, s8
	s_mul_hi_u32 s1, s16, s8
	v_add3_u32 v4, v4, v6, v5
	s_add_i32 s1, s1, s0
	s_mul_i32 s0, s16, s8
	v_add_co_u32 v5, s2, s6, v0
	v_add3_u32 v12, v12, v14, v13
	v_lshlrev_b64 v[3:4], 1, v[3:4]
	s_lshl_b64 s[0:1], s[0:1], 1
	v_add_co_ci_u32_e64 v6, null, s7, 0, s2
	v_lshlrev_b64 v[12:13], 1, v[11:12]
	s_add_u32 s0, s12, s0
	s_addc_u32 s1, s13, s1
	v_add_co_u32 v0, s0, s0, v3
	v_add_co_ci_u32_e64 v11, null, s1, v4, s0
	v_add_co_u32 v12, s0, s3, v12
	v_cmp_gt_i64_e32 vcc_lo, s[20:21], v[5:6]
	v_lshlrev_b64 v[3:4], 1, v[5:6]
	v_add_co_ci_u32_e64 v13, null, s5, v13, s0
	s_and_saveexec_b32 s1, vcc_lo
	s_cbranch_execz .LBB385_24
; %bb.23:
	v_add_co_u32 v14, s0, v0, v3
	v_add_co_ci_u32_e64 v15, null, v11, v4, s0
	global_load_ushort v14, v[14:15], off
	s_waitcnt vmcnt(0)
	v_cvt_f32_f16_e32 v14, v14
	v_mul_f32_e32 v14, s9, v14
	v_fma_mixlo_f16 v10, s4, v10, v14
	v_add_co_u32 v14, s0, v12, v3
	v_add_co_ci_u32_e64 v15, null, v13, v4, s0
	global_store_short v[14:15], v10, off
.LBB385_24:
	s_or_b32 exec_lo, exec_lo, s1
	v_add_co_u32 v5, s0, v5, 16
	v_add_co_ci_u32_e64 v6, null, 0, v6, s0
	v_cmp_gt_i64_e64 s0, s[20:21], v[5:6]
	s_and_saveexec_b32 s2, s0
	s_cbranch_execz .LBB385_26
; %bb.25:
	v_add_co_u32 v5, s1, v0, v3
	v_add_co_ci_u32_e64 v6, null, v11, v4, s1
	global_load_ushort v5, v[5:6], off offset:32
	s_waitcnt vmcnt(0)
	v_cvt_f32_f16_e32 v5, v5
	v_mul_f32_e32 v5, s9, v5
	v_fma_mixlo_f16 v9, s4, v9, v5
	v_add_co_u32 v5, s1, v12, v3
	v_add_co_ci_u32_e64 v6, null, v13, v4, s1
	global_store_short v[5:6], v9, off offset:32
.LBB385_26:
	s_or_b32 exec_lo, exec_lo, s2
	v_add_co_u32 v1, s1, v1, 16
	v_add_co_ci_u32_e64 v2, null, 0, v2, s1
	v_cmp_gt_i64_e64 s1, s[22:23], v[1:2]
	s_and_b32 exec_lo, exec_lo, s1
	s_cbranch_execz .LBB385_19
; %bb.27:
	s_lshl_b64 s[2:3], s[14:15], 5
	v_add_co_u32 v0, s1, v0, s2
	v_add_co_ci_u32_e64 v1, null, s3, v11, s1
	s_lshl_b64 s[2:3], s[24:25], 5
	v_add_co_u32 v2, s1, v12, s2
	v_add_co_ci_u32_e64 v5, null, s3, v13, s1
	v_add_co_u32 v0, s1, v0, v3
	v_add_co_ci_u32_e64 v1, null, v1, v4, s1
	;; [unrolled: 2-line block ×3, first 2 shown]
	s_and_saveexec_b32 s1, vcc_lo
	s_cbranch_execz .LBB385_29
; %bb.28:
	global_load_ushort v4, v[0:1], off
	s_waitcnt vmcnt(0)
	v_cvt_f32_f16_e32 v4, v4
	v_mul_f32_e32 v4, s9, v4
	v_fma_mixlo_f16 v4, s4, v8, v4
	global_store_short v[2:3], v4, off
.LBB385_29:
	s_or_b32 exec_lo, exec_lo, s1
	s_and_b32 exec_lo, exec_lo, s0
	s_cbranch_execz .LBB385_19
; %bb.30:
	global_load_ushort v0, v[0:1], off offset:32
	s_waitcnt vmcnt(0)
	v_cvt_f32_f16_e32 v0, v0
	v_mul_f32_e32 v0, s9, v0
	v_fma_mixlo_f16 v0, s4, v7, v0
	global_store_short v[2:3], v0, off offset:32
	s_endpgm
	.section	.rodata,"a",@progbits
	.p2align	6, 0x0
	.amdhsa_kernel _ZN12_GLOBAL__N_135rocblas_gemm_batched_general_kernelIfLi16ELi16ELi32ELi32ELi8ELi32ELi8ELi8ELi32ELc67ELc67EKDF16_S1_DF16_EEvlllT_PT11_llS4_llS2_PT12_llPT13_lli
		.amdhsa_group_segment_fixed_size 2048
		.amdhsa_private_segment_fixed_size 0
		.amdhsa_kernarg_size 140
		.amdhsa_user_sgpr_count 6
		.amdhsa_user_sgpr_private_segment_buffer 1
		.amdhsa_user_sgpr_dispatch_ptr 0
		.amdhsa_user_sgpr_queue_ptr 0
		.amdhsa_user_sgpr_kernarg_segment_ptr 1
		.amdhsa_user_sgpr_dispatch_id 0
		.amdhsa_user_sgpr_flat_scratch_init 0
		.amdhsa_user_sgpr_private_segment_size 0
		.amdhsa_wavefront_size32 1
		.amdhsa_uses_dynamic_stack 0
		.amdhsa_system_sgpr_private_segment_wavefront_offset 0
		.amdhsa_system_sgpr_workgroup_id_x 1
		.amdhsa_system_sgpr_workgroup_id_y 1
		.amdhsa_system_sgpr_workgroup_id_z 1
		.amdhsa_system_sgpr_workgroup_info 0
		.amdhsa_system_vgpr_workitem_id 1
		.amdhsa_next_free_vgpr 44
		.amdhsa_next_free_sgpr 30
		.amdhsa_reserve_vcc 1
		.amdhsa_reserve_flat_scratch 0
		.amdhsa_float_round_mode_32 0
		.amdhsa_float_round_mode_16_64 0
		.amdhsa_float_denorm_mode_32 3
		.amdhsa_float_denorm_mode_16_64 3
		.amdhsa_dx10_clamp 1
		.amdhsa_ieee_mode 1
		.amdhsa_fp16_overflow 0
		.amdhsa_workgroup_processor_mode 1
		.amdhsa_memory_ordered 1
		.amdhsa_forward_progress 1
		.amdhsa_shared_vgpr_count 0
		.amdhsa_exception_fp_ieee_invalid_op 0
		.amdhsa_exception_fp_denorm_src 0
		.amdhsa_exception_fp_ieee_div_zero 0
		.amdhsa_exception_fp_ieee_overflow 0
		.amdhsa_exception_fp_ieee_underflow 0
		.amdhsa_exception_fp_ieee_inexact 0
		.amdhsa_exception_int_div_zero 0
	.end_amdhsa_kernel
	.section	.text._ZN12_GLOBAL__N_135rocblas_gemm_batched_general_kernelIfLi16ELi16ELi32ELi32ELi8ELi32ELi8ELi8ELi32ELc67ELc67EKDF16_S1_DF16_EEvlllT_PT11_llS4_llS2_PT12_llPT13_lli,"axG",@progbits,_ZN12_GLOBAL__N_135rocblas_gemm_batched_general_kernelIfLi16ELi16ELi32ELi32ELi8ELi32ELi8ELi8ELi32ELc67ELc67EKDF16_S1_DF16_EEvlllT_PT11_llS4_llS2_PT12_llPT13_lli,comdat
.Lfunc_end385:
	.size	_ZN12_GLOBAL__N_135rocblas_gemm_batched_general_kernelIfLi16ELi16ELi32ELi32ELi8ELi32ELi8ELi8ELi32ELc67ELc67EKDF16_S1_DF16_EEvlllT_PT11_llS4_llS2_PT12_llPT13_lli, .Lfunc_end385-_ZN12_GLOBAL__N_135rocblas_gemm_batched_general_kernelIfLi16ELi16ELi32ELi32ELi8ELi32ELi8ELi8ELi32ELc67ELc67EKDF16_S1_DF16_EEvlllT_PT11_llS4_llS2_PT12_llPT13_lli
                                        ; -- End function
	.set _ZN12_GLOBAL__N_135rocblas_gemm_batched_general_kernelIfLi16ELi16ELi32ELi32ELi8ELi32ELi8ELi8ELi32ELc67ELc67EKDF16_S1_DF16_EEvlllT_PT11_llS4_llS2_PT12_llPT13_lli.num_vgpr, 44
	.set _ZN12_GLOBAL__N_135rocblas_gemm_batched_general_kernelIfLi16ELi16ELi32ELi32ELi8ELi32ELi8ELi8ELi32ELc67ELc67EKDF16_S1_DF16_EEvlllT_PT11_llS4_llS2_PT12_llPT13_lli.num_agpr, 0
	.set _ZN12_GLOBAL__N_135rocblas_gemm_batched_general_kernelIfLi16ELi16ELi32ELi32ELi8ELi32ELi8ELi8ELi32ELc67ELc67EKDF16_S1_DF16_EEvlllT_PT11_llS4_llS2_PT12_llPT13_lli.numbered_sgpr, 30
	.set _ZN12_GLOBAL__N_135rocblas_gemm_batched_general_kernelIfLi16ELi16ELi32ELi32ELi8ELi32ELi8ELi8ELi32ELc67ELc67EKDF16_S1_DF16_EEvlllT_PT11_llS4_llS2_PT12_llPT13_lli.num_named_barrier, 0
	.set _ZN12_GLOBAL__N_135rocblas_gemm_batched_general_kernelIfLi16ELi16ELi32ELi32ELi8ELi32ELi8ELi8ELi32ELc67ELc67EKDF16_S1_DF16_EEvlllT_PT11_llS4_llS2_PT12_llPT13_lli.private_seg_size, 0
	.set _ZN12_GLOBAL__N_135rocblas_gemm_batched_general_kernelIfLi16ELi16ELi32ELi32ELi8ELi32ELi8ELi8ELi32ELc67ELc67EKDF16_S1_DF16_EEvlllT_PT11_llS4_llS2_PT12_llPT13_lli.uses_vcc, 1
	.set _ZN12_GLOBAL__N_135rocblas_gemm_batched_general_kernelIfLi16ELi16ELi32ELi32ELi8ELi32ELi8ELi8ELi32ELc67ELc67EKDF16_S1_DF16_EEvlllT_PT11_llS4_llS2_PT12_llPT13_lli.uses_flat_scratch, 0
	.set _ZN12_GLOBAL__N_135rocblas_gemm_batched_general_kernelIfLi16ELi16ELi32ELi32ELi8ELi32ELi8ELi8ELi32ELc67ELc67EKDF16_S1_DF16_EEvlllT_PT11_llS4_llS2_PT12_llPT13_lli.has_dyn_sized_stack, 0
	.set _ZN12_GLOBAL__N_135rocblas_gemm_batched_general_kernelIfLi16ELi16ELi32ELi32ELi8ELi32ELi8ELi8ELi32ELc67ELc67EKDF16_S1_DF16_EEvlllT_PT11_llS4_llS2_PT12_llPT13_lli.has_recursion, 0
	.set _ZN12_GLOBAL__N_135rocblas_gemm_batched_general_kernelIfLi16ELi16ELi32ELi32ELi8ELi32ELi8ELi8ELi32ELc67ELc67EKDF16_S1_DF16_EEvlllT_PT11_llS4_llS2_PT12_llPT13_lli.has_indirect_call, 0
	.section	.AMDGPU.csdata,"",@progbits
; Kernel info:
; codeLenInByte = 1948
; TotalNumSgprs: 32
; NumVgprs: 44
; ScratchSize: 0
; MemoryBound: 0
; FloatMode: 240
; IeeeMode: 1
; LDSByteSize: 2048 bytes/workgroup (compile time only)
; SGPRBlocks: 0
; VGPRBlocks: 5
; NumSGPRsForWavesPerEU: 32
; NumVGPRsForWavesPerEU: 44
; Occupancy: 16
; WaveLimiterHint : 0
; COMPUTE_PGM_RSRC2:SCRATCH_EN: 0
; COMPUTE_PGM_RSRC2:USER_SGPR: 6
; COMPUTE_PGM_RSRC2:TRAP_HANDLER: 0
; COMPUTE_PGM_RSRC2:TGID_X_EN: 1
; COMPUTE_PGM_RSRC2:TGID_Y_EN: 1
; COMPUTE_PGM_RSRC2:TGID_Z_EN: 1
; COMPUTE_PGM_RSRC2:TIDIG_COMP_CNT: 1
	.section	.text._ZN12_GLOBAL__N_135rocblas_gemm_batched_general_kernelIfLi16ELi16ELi32ELi32ELi8ELi32ELi8ELi8ELi32ELc67ELc78EKDF16_S1_DF16_EEvlllT_PT11_llS4_llS2_PT12_llPT13_lli,"axG",@progbits,_ZN12_GLOBAL__N_135rocblas_gemm_batched_general_kernelIfLi16ELi16ELi32ELi32ELi8ELi32ELi8ELi8ELi32ELc67ELc78EKDF16_S1_DF16_EEvlllT_PT11_llS4_llS2_PT12_llPT13_lli,comdat
	.globl	_ZN12_GLOBAL__N_135rocblas_gemm_batched_general_kernelIfLi16ELi16ELi32ELi32ELi8ELi32ELi8ELi8ELi32ELc67ELc78EKDF16_S1_DF16_EEvlllT_PT11_llS4_llS2_PT12_llPT13_lli ; -- Begin function _ZN12_GLOBAL__N_135rocblas_gemm_batched_general_kernelIfLi16ELi16ELi32ELi32ELi8ELi32ELi8ELi8ELi32ELc67ELc78EKDF16_S1_DF16_EEvlllT_PT11_llS4_llS2_PT12_llPT13_lli
	.p2align	8
	.type	_ZN12_GLOBAL__N_135rocblas_gemm_batched_general_kernelIfLi16ELi16ELi32ELi32ELi8ELi32ELi8ELi8ELi32ELc67ELc78EKDF16_S1_DF16_EEvlllT_PT11_llS4_llS2_PT12_llPT13_lli,@function
_ZN12_GLOBAL__N_135rocblas_gemm_batched_general_kernelIfLi16ELi16ELi32ELi32ELi8ELi32ELi8ELi8ELi32ELc67ELc78EKDF16_S1_DF16_EEvlllT_PT11_llS4_llS2_PT12_llPT13_lli: ; @_ZN12_GLOBAL__N_135rocblas_gemm_batched_general_kernelIfLi16ELi16ELi32ELi32ELi8ELi32ELi8ELi8ELi32ELc67ELc78EKDF16_S1_DF16_EEvlllT_PT11_llS4_llS2_PT12_llPT13_lli
; %bb.0:
	s_clause 0x1
	s_load_dwordx2 s[10:11], s[4:5], 0x10
	s_load_dwordx4 s[20:23], s[4:5], 0x0
	s_mov_b32 s0, s7
	v_mov_b32_e32 v10, 0
	v_mov_b32_e32 v9, 0
	;; [unrolled: 1-line block ×4, first 2 shown]
	s_ashr_i32 s7, s6, 31
	s_ashr_i32 s1, s0, 31
	s_lshl_b64 s[6:7], s[6:7], 5
	s_waitcnt lgkmcnt(0)
	v_cmp_lt_i64_e64 s2, s[10:11], 1
	s_and_b32 vcc_lo, exec_lo, s2
	s_lshl_b64 s[2:3], s[0:1], 5
	s_cbranch_vccnz .LBB386_7
; %bb.1:
	s_clause 0x1
	s_load_dwordx4 s[24:27], s[4:5], 0x40
	s_load_dwordx8 s[12:19], s[4:5], 0x20
	v_lshl_add_u32 v2, v1, 4, v0
	v_and_b32_e32 v6, 7, v0
	v_mov_b32_e32 v3, s7
	v_mov_b32_e32 v7, 0
	v_lshlrev_b32_e32 v14, 2, v0
	v_lshrrev_b32_e32 v9, 3, v2
	v_and_b32_e32 v8, 31, v2
	v_lshrrev_b32_e32 v11, 5, v2
	v_lshlrev_b32_e32 v13, 2, v6
	v_lshl_add_u32 v15, v1, 5, 0x400
	v_add_co_u32 v4, s0, v9, s2
	v_or_b32_e32 v2, s6, v8
	v_lshlrev_b32_e32 v10, 2, v8
	v_add_co_ci_u32_e64 v5, null, 0, s3, s0
	v_add_co_u32 v8, s9, s6, v8
	v_cmp_gt_i64_e64 s0, s[20:21], v[2:3]
	v_lshl_or_b32 v12, v11, 7, v10
	v_cmp_gt_i64_e64 s1, s[22:23], v[4:5]
	s_waitcnt lgkmcnt(0)
	v_mul_lo_u32 v10, s25, v4
	v_mul_lo_u32 v5, s24, v5
	v_mad_u64_u32 v[2:3], null, s24, v4, 0
	v_lshl_or_b32 v4, v9, 5, v13
	v_add_co_ci_u32_e64 v9, null, s7, 0, s9
	s_mul_i32 s9, s27, s8
	v_add_nc_u32_e32 v13, 0x400, v4
	v_add3_u32 v3, v3, v5, v10
	v_mul_lo_u32 v10, s15, v8
	v_mul_lo_u32 v9, s14, v9
	v_mad_u64_u32 v[4:5], null, s14, v8, 0
	s_mul_hi_u32 s14, s26, s8
	v_lshlrev_b64 v[2:3], 1, v[2:3]
	s_add_i32 s15, s14, s9
	s_mul_i32 s14, s26, s8
	s_mul_i32 s9, s17, s8
	s_lshl_b64 s[14:15], s[14:15], 1
	v_add3_u32 v5, v5, v9, v10
	v_add_co_u32 v8, vcc_lo, v2, s14
	v_add_co_ci_u32_e64 v9, null, s15, v3, vcc_lo
	s_mul_hi_u32 s14, s16, s8
	v_lshlrev_b64 v[2:3], 1, v[4:5]
	s_add_i32 s15, s14, s9
	s_mul_i32 s14, s16, s8
	v_lshlrev_b32_e32 v4, 1, v6
	s_lshl_b64 s[14:15], s[14:15], 1
	v_lshlrev_b32_e32 v5, 1, v11
	v_add_co_u32 v2, vcc_lo, v2, s14
	v_add_co_ci_u32_e64 v3, null, s15, v3, vcc_lo
	v_add_co_u32 v4, vcc_lo, v8, v4
	v_add_co_ci_u32_e64 v8, null, 0, v9, vcc_lo
	;; [unrolled: 2-line block ×5, first 2 shown]
	v_mov_b32_e32 v8, 0
	v_mov_b32_e32 v9, 0
	;; [unrolled: 1-line block ×3, first 2 shown]
	s_mov_b64 s[12:13], 0
	s_branch .LBB386_3
.LBB386_2:                              ;   in Loop: Header=BB386_3 Depth=1
	s_or_b32 exec_lo, exec_lo, s9
	ds_write_b32 v13, v17
	s_waitcnt lgkmcnt(0)
	s_barrier
	buffer_gl0_inv
	ds_read_b128 v[16:19], v15
	ds_read2_b32 v[32:33], v14 offset1:16
	ds_read_b128 v[20:23], v15 offset:512
	ds_read2_b32 v[34:35], v14 offset0:32 offset1:48
	ds_read2_b32 v[36:37], v14 offset0:64 offset1:80
	;; [unrolled: 1-line block ×3, first 2 shown]
	ds_read_b128 v[24:27], v15 offset:16
	ds_read2_b32 v[40:41], v14 offset0:128 offset1:144
	ds_read_b128 v[28:31], v15 offset:528
	ds_read2_b32 v[42:43], v14 offset0:160 offset1:176
	s_add_u32 s12, s12, 8
	s_addc_u32 s13, s13, 0
	v_add_co_u32 v2, vcc_lo, v2, 16
	v_cmp_lt_i64_e64 s9, s[12:13], s[10:11]
	v_add_co_ci_u32_e64 v3, null, 0, v3, vcc_lo
	v_add_co_u32 v4, vcc_lo, v4, 16
	v_add_co_ci_u32_e64 v5, null, 0, v5, vcc_lo
	s_waitcnt lgkmcnt(8)
	v_fmac_f32_e32 v10, v32, v16
	v_fmac_f32_e32 v9, v33, v16
	s_waitcnt lgkmcnt(7)
	v_fmac_f32_e32 v8, v32, v20
	v_fmac_f32_e32 v7, v33, v20
	ds_read2_b32 v[32:33], v14 offset0:192 offset1:208
	s_waitcnt lgkmcnt(7)
	v_fmac_f32_e32 v10, v34, v17
	v_fmac_f32_e32 v9, v35, v17
	;; [unrolled: 1-line block ×4, first 2 shown]
	ds_read2_b32 v[16:17], v14 offset0:224 offset1:240
	s_waitcnt lgkmcnt(7)
	v_fmac_f32_e32 v10, v36, v18
	v_fmac_f32_e32 v9, v37, v18
	v_fmac_f32_e32 v8, v36, v22
	v_fmac_f32_e32 v7, v37, v22
	s_and_b32 vcc_lo, exec_lo, s9
	s_waitcnt lgkmcnt(6)
	v_fmac_f32_e32 v10, v38, v19
	v_fmac_f32_e32 v9, v39, v19
	;; [unrolled: 1-line block ×4, first 2 shown]
	s_waitcnt lgkmcnt(0)
	v_fmac_f32_e32 v10, v40, v24
	v_fmac_f32_e32 v9, v41, v24
	;; [unrolled: 1-line block ×4, first 2 shown]
	s_barrier
	v_fmac_f32_e32 v10, v42, v25
	v_fmac_f32_e32 v9, v43, v25
	;; [unrolled: 1-line block ×4, first 2 shown]
	buffer_gl0_inv
	v_fmac_f32_e32 v10, v32, v26
	v_fmac_f32_e32 v9, v33, v26
	v_fmac_f32_e32 v8, v32, v30
	v_fmac_f32_e32 v7, v33, v30
	v_fmac_f32_e32 v10, v16, v27
	v_fmac_f32_e32 v9, v17, v27
	v_fmac_f32_e32 v8, v16, v31
	v_fmac_f32_e32 v7, v17, v31
	s_cbranch_vccz .LBB386_7
.LBB386_3:                              ; =>This Inner Loop Header: Depth=1
	v_add_co_u32 v16, s9, v11, s12
	v_add_co_ci_u32_e64 v17, null, 0, s13, s9
	v_cmp_gt_i64_e32 vcc_lo, s[10:11], v[16:17]
	v_mov_b32_e32 v16, 0
	s_and_b32 s14, s0, vcc_lo
	s_and_saveexec_b32 s9, s14
	s_cbranch_execz .LBB386_5
; %bb.4:                                ;   in Loop: Header=BB386_3 Depth=1
	global_load_ushort v16, v[4:5], off
	s_waitcnt vmcnt(0)
	v_cvt_f32_f16_e32 v16, v16
.LBB386_5:                              ;   in Loop: Header=BB386_3 Depth=1
	s_or_b32 exec_lo, exec_lo, s9
	v_add_co_u32 v17, s9, v6, s12
	v_add_co_ci_u32_e64 v18, null, 0, s13, s9
	ds_write_b32 v12, v16
	v_cmp_gt_i64_e32 vcc_lo, s[10:11], v[17:18]
	v_mov_b32_e32 v17, 0
	s_and_b32 s14, vcc_lo, s1
	s_and_saveexec_b32 s9, s14
	s_cbranch_execz .LBB386_2
; %bb.6:                                ;   in Loop: Header=BB386_3 Depth=1
	global_load_ushort v16, v[2:3], off
	s_waitcnt vmcnt(0)
	v_cvt_f32_f16_e32 v17, v16
	s_branch .LBB386_2
.LBB386_7:
	s_clause 0x3
	s_load_dwordx4 s[24:27], s[4:5], 0x78
	s_load_dword s9, s[4:5], 0x50
	s_load_dwordx8 s[12:19], s[4:5], 0x58
	s_load_dword s4, s[4:5], 0x18
	v_add_co_u32 v1, s0, s2, v1
	v_add_co_ci_u32_e64 v2, null, s3, 0, s0
	s_waitcnt lgkmcnt(0)
	s_mul_i32 s1, s27, s8
	s_mul_hi_u32 s2, s26, s8
	s_mul_i32 s0, s26, s8
	s_add_i32 s1, s2, s1
	v_cmp_neq_f32_e64 s2, s9, 0
	s_lshl_b64 s[10:11], s[0:1], 1
	v_cmp_gt_i64_e64 s0, s[22:23], v[1:2]
	s_add_u32 s3, s18, s10
	s_addc_u32 s5, s19, s11
	s_and_b32 vcc_lo, exec_lo, s2
	s_cbranch_vccnz .LBB386_20
; %bb.8:
	s_and_saveexec_b32 s10, s0
	s_cbranch_execz .LBB386_18
; %bb.9:
	v_mul_lo_u32 v5, v2, s24
	v_mul_lo_u32 v6, v1, s25
	v_mad_u64_u32 v[3:4], null, v1, s24, 0
	v_add3_u32 v4, v4, v6, v5
	v_add_co_u32 v5, s1, s6, v0
	v_add_co_ci_u32_e64 v6, null, s7, 0, s1
	v_lshlrev_b64 v[11:12], 1, v[3:4]
	v_cmp_gt_i64_e32 vcc_lo, s[20:21], v[5:6]
	v_lshlrev_b64 v[3:4], 1, v[5:6]
	v_add_co_u32 v11, s1, s3, v11
	v_add_co_ci_u32_e64 v12, null, s5, v12, s1
	s_and_saveexec_b32 s2, vcc_lo
	s_cbranch_execz .LBB386_11
; %bb.10:
	v_add_co_u32 v13, s1, v11, v3
	v_add_co_ci_u32_e64 v14, null, v12, v4, s1
	v_fma_mixlo_f16 v15, s4, v10, 0
	global_store_short v[13:14], v15, off
.LBB386_11:
	s_or_b32 exec_lo, exec_lo, s2
	v_add_co_u32 v5, s1, v5, 16
	v_add_co_ci_u32_e64 v6, null, 0, v6, s1
	v_cmp_gt_i64_e64 s1, s[20:21], v[5:6]
	s_and_saveexec_b32 s11, s1
	s_cbranch_execz .LBB386_13
; %bb.12:
	v_add_co_u32 v5, s2, v11, v3
	v_add_co_ci_u32_e64 v6, null, v12, v4, s2
	v_fma_mixlo_f16 v13, s4, v9, 0
	global_store_short v[5:6], v13, off offset:32
.LBB386_13:
	s_or_b32 exec_lo, exec_lo, s11
	v_add_co_u32 v5, s2, v1, 16
	v_add_co_ci_u32_e64 v6, null, 0, v2, s2
	v_cmp_gt_i64_e64 s2, s[22:23], v[5:6]
	s_and_b32 exec_lo, exec_lo, s2
	s_cbranch_execz .LBB386_18
; %bb.14:
	s_lshl_b64 s[18:19], s[24:25], 5
	v_add_co_u32 v5, s2, v11, s18
	v_add_co_ci_u32_e64 v6, null, s19, v12, s2
	v_add_co_u32 v3, s2, v5, v3
	v_add_co_ci_u32_e64 v4, null, v6, v4, s2
	s_and_saveexec_b32 s2, vcc_lo
	s_cbranch_execz .LBB386_16
; %bb.15:
	v_fma_mixlo_f16 v5, s4, v8, 0
	global_store_short v[3:4], v5, off
.LBB386_16:
	s_or_b32 exec_lo, exec_lo, s2
	s_and_b32 exec_lo, exec_lo, s1
	s_cbranch_execz .LBB386_18
; %bb.17:
	v_fma_mixlo_f16 v5, s4, v7, 0
	global_store_short v[3:4], v5, off offset:32
.LBB386_18:
	s_or_b32 exec_lo, exec_lo, s10
	s_cbranch_execz .LBB386_21
.LBB386_19:
	s_endpgm
.LBB386_20:
.LBB386_21:
	s_and_saveexec_b32 s1, s0
	s_cbranch_execz .LBB386_19
; %bb.22:
	v_mul_lo_u32 v5, v2, s14
	v_mul_lo_u32 v6, v1, s15
	v_mad_u64_u32 v[3:4], null, v1, s14, 0
	v_mul_lo_u32 v13, v2, s24
	v_mul_lo_u32 v14, v1, s25
	v_mad_u64_u32 v[11:12], null, v1, s24, 0
	s_mul_i32 s0, s17, s8
	s_mul_hi_u32 s1, s16, s8
	v_add3_u32 v4, v4, v6, v5
	s_add_i32 s1, s1, s0
	s_mul_i32 s0, s16, s8
	v_add_co_u32 v5, s2, s6, v0
	v_add3_u32 v12, v12, v14, v13
	v_lshlrev_b64 v[3:4], 1, v[3:4]
	s_lshl_b64 s[0:1], s[0:1], 1
	v_add_co_ci_u32_e64 v6, null, s7, 0, s2
	v_lshlrev_b64 v[12:13], 1, v[11:12]
	s_add_u32 s0, s12, s0
	s_addc_u32 s1, s13, s1
	v_add_co_u32 v0, s0, s0, v3
	v_add_co_ci_u32_e64 v11, null, s1, v4, s0
	v_add_co_u32 v12, s0, s3, v12
	v_cmp_gt_i64_e32 vcc_lo, s[20:21], v[5:6]
	v_lshlrev_b64 v[3:4], 1, v[5:6]
	v_add_co_ci_u32_e64 v13, null, s5, v13, s0
	s_and_saveexec_b32 s1, vcc_lo
	s_cbranch_execz .LBB386_24
; %bb.23:
	v_add_co_u32 v14, s0, v0, v3
	v_add_co_ci_u32_e64 v15, null, v11, v4, s0
	global_load_ushort v14, v[14:15], off
	s_waitcnt vmcnt(0)
	v_cvt_f32_f16_e32 v14, v14
	v_mul_f32_e32 v14, s9, v14
	v_fma_mixlo_f16 v10, s4, v10, v14
	v_add_co_u32 v14, s0, v12, v3
	v_add_co_ci_u32_e64 v15, null, v13, v4, s0
	global_store_short v[14:15], v10, off
.LBB386_24:
	s_or_b32 exec_lo, exec_lo, s1
	v_add_co_u32 v5, s0, v5, 16
	v_add_co_ci_u32_e64 v6, null, 0, v6, s0
	v_cmp_gt_i64_e64 s0, s[20:21], v[5:6]
	s_and_saveexec_b32 s2, s0
	s_cbranch_execz .LBB386_26
; %bb.25:
	v_add_co_u32 v5, s1, v0, v3
	v_add_co_ci_u32_e64 v6, null, v11, v4, s1
	global_load_ushort v5, v[5:6], off offset:32
	s_waitcnt vmcnt(0)
	v_cvt_f32_f16_e32 v5, v5
	v_mul_f32_e32 v5, s9, v5
	v_fma_mixlo_f16 v9, s4, v9, v5
	v_add_co_u32 v5, s1, v12, v3
	v_add_co_ci_u32_e64 v6, null, v13, v4, s1
	global_store_short v[5:6], v9, off offset:32
.LBB386_26:
	s_or_b32 exec_lo, exec_lo, s2
	v_add_co_u32 v1, s1, v1, 16
	v_add_co_ci_u32_e64 v2, null, 0, v2, s1
	v_cmp_gt_i64_e64 s1, s[22:23], v[1:2]
	s_and_b32 exec_lo, exec_lo, s1
	s_cbranch_execz .LBB386_19
; %bb.27:
	s_lshl_b64 s[2:3], s[14:15], 5
	v_add_co_u32 v0, s1, v0, s2
	v_add_co_ci_u32_e64 v1, null, s3, v11, s1
	s_lshl_b64 s[2:3], s[24:25], 5
	v_add_co_u32 v2, s1, v12, s2
	v_add_co_ci_u32_e64 v5, null, s3, v13, s1
	v_add_co_u32 v0, s1, v0, v3
	v_add_co_ci_u32_e64 v1, null, v1, v4, s1
	;; [unrolled: 2-line block ×3, first 2 shown]
	s_and_saveexec_b32 s1, vcc_lo
	s_cbranch_execz .LBB386_29
; %bb.28:
	global_load_ushort v4, v[0:1], off
	s_waitcnt vmcnt(0)
	v_cvt_f32_f16_e32 v4, v4
	v_mul_f32_e32 v4, s9, v4
	v_fma_mixlo_f16 v4, s4, v8, v4
	global_store_short v[2:3], v4, off
.LBB386_29:
	s_or_b32 exec_lo, exec_lo, s1
	s_and_b32 exec_lo, exec_lo, s0
	s_cbranch_execz .LBB386_19
; %bb.30:
	global_load_ushort v0, v[0:1], off offset:32
	s_waitcnt vmcnt(0)
	v_cvt_f32_f16_e32 v0, v0
	v_mul_f32_e32 v0, s9, v0
	v_fma_mixlo_f16 v0, s4, v7, v0
	global_store_short v[2:3], v0, off offset:32
	s_endpgm
	.section	.rodata,"a",@progbits
	.p2align	6, 0x0
	.amdhsa_kernel _ZN12_GLOBAL__N_135rocblas_gemm_batched_general_kernelIfLi16ELi16ELi32ELi32ELi8ELi32ELi8ELi8ELi32ELc67ELc78EKDF16_S1_DF16_EEvlllT_PT11_llS4_llS2_PT12_llPT13_lli
		.amdhsa_group_segment_fixed_size 2048
		.amdhsa_private_segment_fixed_size 0
		.amdhsa_kernarg_size 140
		.amdhsa_user_sgpr_count 6
		.amdhsa_user_sgpr_private_segment_buffer 1
		.amdhsa_user_sgpr_dispatch_ptr 0
		.amdhsa_user_sgpr_queue_ptr 0
		.amdhsa_user_sgpr_kernarg_segment_ptr 1
		.amdhsa_user_sgpr_dispatch_id 0
		.amdhsa_user_sgpr_flat_scratch_init 0
		.amdhsa_user_sgpr_private_segment_size 0
		.amdhsa_wavefront_size32 1
		.amdhsa_uses_dynamic_stack 0
		.amdhsa_system_sgpr_private_segment_wavefront_offset 0
		.amdhsa_system_sgpr_workgroup_id_x 1
		.amdhsa_system_sgpr_workgroup_id_y 1
		.amdhsa_system_sgpr_workgroup_id_z 1
		.amdhsa_system_sgpr_workgroup_info 0
		.amdhsa_system_vgpr_workitem_id 1
		.amdhsa_next_free_vgpr 44
		.amdhsa_next_free_sgpr 28
		.amdhsa_reserve_vcc 1
		.amdhsa_reserve_flat_scratch 0
		.amdhsa_float_round_mode_32 0
		.amdhsa_float_round_mode_16_64 0
		.amdhsa_float_denorm_mode_32 3
		.amdhsa_float_denorm_mode_16_64 3
		.amdhsa_dx10_clamp 1
		.amdhsa_ieee_mode 1
		.amdhsa_fp16_overflow 0
		.amdhsa_workgroup_processor_mode 1
		.amdhsa_memory_ordered 1
		.amdhsa_forward_progress 1
		.amdhsa_shared_vgpr_count 0
		.amdhsa_exception_fp_ieee_invalid_op 0
		.amdhsa_exception_fp_denorm_src 0
		.amdhsa_exception_fp_ieee_div_zero 0
		.amdhsa_exception_fp_ieee_overflow 0
		.amdhsa_exception_fp_ieee_underflow 0
		.amdhsa_exception_fp_ieee_inexact 0
		.amdhsa_exception_int_div_zero 0
	.end_amdhsa_kernel
	.section	.text._ZN12_GLOBAL__N_135rocblas_gemm_batched_general_kernelIfLi16ELi16ELi32ELi32ELi8ELi32ELi8ELi8ELi32ELc67ELc78EKDF16_S1_DF16_EEvlllT_PT11_llS4_llS2_PT12_llPT13_lli,"axG",@progbits,_ZN12_GLOBAL__N_135rocblas_gemm_batched_general_kernelIfLi16ELi16ELi32ELi32ELi8ELi32ELi8ELi8ELi32ELc67ELc78EKDF16_S1_DF16_EEvlllT_PT11_llS4_llS2_PT12_llPT13_lli,comdat
.Lfunc_end386:
	.size	_ZN12_GLOBAL__N_135rocblas_gemm_batched_general_kernelIfLi16ELi16ELi32ELi32ELi8ELi32ELi8ELi8ELi32ELc67ELc78EKDF16_S1_DF16_EEvlllT_PT11_llS4_llS2_PT12_llPT13_lli, .Lfunc_end386-_ZN12_GLOBAL__N_135rocblas_gemm_batched_general_kernelIfLi16ELi16ELi32ELi32ELi8ELi32ELi8ELi8ELi32ELc67ELc78EKDF16_S1_DF16_EEvlllT_PT11_llS4_llS2_PT12_llPT13_lli
                                        ; -- End function
	.set _ZN12_GLOBAL__N_135rocblas_gemm_batched_general_kernelIfLi16ELi16ELi32ELi32ELi8ELi32ELi8ELi8ELi32ELc67ELc78EKDF16_S1_DF16_EEvlllT_PT11_llS4_llS2_PT12_llPT13_lli.num_vgpr, 44
	.set _ZN12_GLOBAL__N_135rocblas_gemm_batched_general_kernelIfLi16ELi16ELi32ELi32ELi8ELi32ELi8ELi8ELi32ELc67ELc78EKDF16_S1_DF16_EEvlllT_PT11_llS4_llS2_PT12_llPT13_lli.num_agpr, 0
	.set _ZN12_GLOBAL__N_135rocblas_gemm_batched_general_kernelIfLi16ELi16ELi32ELi32ELi8ELi32ELi8ELi8ELi32ELc67ELc78EKDF16_S1_DF16_EEvlllT_PT11_llS4_llS2_PT12_llPT13_lli.numbered_sgpr, 28
	.set _ZN12_GLOBAL__N_135rocblas_gemm_batched_general_kernelIfLi16ELi16ELi32ELi32ELi8ELi32ELi8ELi8ELi32ELc67ELc78EKDF16_S1_DF16_EEvlllT_PT11_llS4_llS2_PT12_llPT13_lli.num_named_barrier, 0
	.set _ZN12_GLOBAL__N_135rocblas_gemm_batched_general_kernelIfLi16ELi16ELi32ELi32ELi8ELi32ELi8ELi8ELi32ELc67ELc78EKDF16_S1_DF16_EEvlllT_PT11_llS4_llS2_PT12_llPT13_lli.private_seg_size, 0
	.set _ZN12_GLOBAL__N_135rocblas_gemm_batched_general_kernelIfLi16ELi16ELi32ELi32ELi8ELi32ELi8ELi8ELi32ELc67ELc78EKDF16_S1_DF16_EEvlllT_PT11_llS4_llS2_PT12_llPT13_lli.uses_vcc, 1
	.set _ZN12_GLOBAL__N_135rocblas_gemm_batched_general_kernelIfLi16ELi16ELi32ELi32ELi8ELi32ELi8ELi8ELi32ELc67ELc78EKDF16_S1_DF16_EEvlllT_PT11_llS4_llS2_PT12_llPT13_lli.uses_flat_scratch, 0
	.set _ZN12_GLOBAL__N_135rocblas_gemm_batched_general_kernelIfLi16ELi16ELi32ELi32ELi8ELi32ELi8ELi8ELi32ELc67ELc78EKDF16_S1_DF16_EEvlllT_PT11_llS4_llS2_PT12_llPT13_lli.has_dyn_sized_stack, 0
	.set _ZN12_GLOBAL__N_135rocblas_gemm_batched_general_kernelIfLi16ELi16ELi32ELi32ELi8ELi32ELi8ELi8ELi32ELc67ELc78EKDF16_S1_DF16_EEvlllT_PT11_llS4_llS2_PT12_llPT13_lli.has_recursion, 0
	.set _ZN12_GLOBAL__N_135rocblas_gemm_batched_general_kernelIfLi16ELi16ELi32ELi32ELi8ELi32ELi8ELi8ELi32ELc67ELc78EKDF16_S1_DF16_EEvlllT_PT11_llS4_llS2_PT12_llPT13_lli.has_indirect_call, 0
	.section	.AMDGPU.csdata,"",@progbits
; Kernel info:
; codeLenInByte = 1944
; TotalNumSgprs: 30
; NumVgprs: 44
; ScratchSize: 0
; MemoryBound: 0
; FloatMode: 240
; IeeeMode: 1
; LDSByteSize: 2048 bytes/workgroup (compile time only)
; SGPRBlocks: 0
; VGPRBlocks: 5
; NumSGPRsForWavesPerEU: 30
; NumVGPRsForWavesPerEU: 44
; Occupancy: 16
; WaveLimiterHint : 0
; COMPUTE_PGM_RSRC2:SCRATCH_EN: 0
; COMPUTE_PGM_RSRC2:USER_SGPR: 6
; COMPUTE_PGM_RSRC2:TRAP_HANDLER: 0
; COMPUTE_PGM_RSRC2:TGID_X_EN: 1
; COMPUTE_PGM_RSRC2:TGID_Y_EN: 1
; COMPUTE_PGM_RSRC2:TGID_Z_EN: 1
; COMPUTE_PGM_RSRC2:TIDIG_COMP_CNT: 1
	.section	.text._ZN12_GLOBAL__N_135rocblas_gemm_batched_general_kernelIfLi16ELi16ELi32ELi32ELi8ELi32ELi8ELi8ELi32ELc67ELc84EKDF16_S1_DF16_EEvlllT_PT11_llS4_llS2_PT12_llPT13_lli,"axG",@progbits,_ZN12_GLOBAL__N_135rocblas_gemm_batched_general_kernelIfLi16ELi16ELi32ELi32ELi8ELi32ELi8ELi8ELi32ELc67ELc84EKDF16_S1_DF16_EEvlllT_PT11_llS4_llS2_PT12_llPT13_lli,comdat
	.globl	_ZN12_GLOBAL__N_135rocblas_gemm_batched_general_kernelIfLi16ELi16ELi32ELi32ELi8ELi32ELi8ELi8ELi32ELc67ELc84EKDF16_S1_DF16_EEvlllT_PT11_llS4_llS2_PT12_llPT13_lli ; -- Begin function _ZN12_GLOBAL__N_135rocblas_gemm_batched_general_kernelIfLi16ELi16ELi32ELi32ELi8ELi32ELi8ELi8ELi32ELc67ELc84EKDF16_S1_DF16_EEvlllT_PT11_llS4_llS2_PT12_llPT13_lli
	.p2align	8
	.type	_ZN12_GLOBAL__N_135rocblas_gemm_batched_general_kernelIfLi16ELi16ELi32ELi32ELi8ELi32ELi8ELi8ELi32ELc67ELc84EKDF16_S1_DF16_EEvlllT_PT11_llS4_llS2_PT12_llPT13_lli,@function
_ZN12_GLOBAL__N_135rocblas_gemm_batched_general_kernelIfLi16ELi16ELi32ELi32ELi8ELi32ELi8ELi8ELi32ELc67ELc84EKDF16_S1_DF16_EEvlllT_PT11_llS4_llS2_PT12_llPT13_lli: ; @_ZN12_GLOBAL__N_135rocblas_gemm_batched_general_kernelIfLi16ELi16ELi32ELi32ELi8ELi32ELi8ELi8ELi32ELc67ELc84EKDF16_S1_DF16_EEvlllT_PT11_llS4_llS2_PT12_llPT13_lli
; %bb.0:
	s_clause 0x1
	s_load_dwordx2 s[10:11], s[4:5], 0x10
	s_load_dwordx4 s[20:23], s[4:5], 0x0
	s_mov_b32 s0, s7
	v_mov_b32_e32 v10, 0
	v_mov_b32_e32 v9, 0
	;; [unrolled: 1-line block ×4, first 2 shown]
	s_ashr_i32 s7, s6, 31
	s_ashr_i32 s1, s0, 31
	s_lshl_b64 s[6:7], s[6:7], 5
	s_waitcnt lgkmcnt(0)
	v_cmp_lt_i64_e64 s2, s[10:11], 1
	s_and_b32 vcc_lo, exec_lo, s2
	s_lshl_b64 s[2:3], s[0:1], 5
	s_cbranch_vccnz .LBB387_7
; %bb.1:
	s_clause 0x1
	s_load_dwordx4 s[24:27], s[4:5], 0x40
	s_load_dwordx8 s[12:19], s[4:5], 0x20
	v_lshl_add_u32 v2, v1, 4, v0
	v_and_b32_e32 v6, 7, v0
	v_mov_b32_e32 v3, s7
	s_lshl_b64 s[28:29], s[0:1], 6
	v_mov_b32_e32 v7, 0
	v_and_b32_e32 v14, 31, v2
	v_lshrrev_b32_e32 v10, 3, v2
	v_lshrrev_b32_e32 v13, 5, v2
	v_lshlrev_b32_e32 v15, 2, v6
	v_lshlrev_b32_e32 v11, 2, v0
	v_or_b32_e32 v2, s6, v14
	v_add_co_u32 v8, s0, v10, s2
	v_add_co_ci_u32_e64 v9, null, 0, s3, s0
	v_add_co_u32 v17, s0, s6, v14
	v_add_co_ci_u32_e64 v18, null, s7, 0, s0
	s_waitcnt lgkmcnt(0)
	v_mad_u64_u32 v[4:5], null, s24, v6, 0
	v_cmp_gt_i64_e64 s0, s[20:21], v[2:3]
	v_cmp_gt_i64_e64 s1, s[22:23], v[8:9]
	v_mul_lo_u32 v8, s15, v17
	v_mul_lo_u32 v9, s14, v18
	s_mul_i32 s9, s27, s8
	s_mul_hi_u32 s27, s26, s8
	v_mad_u64_u32 v[2:3], null, s25, v6, v[5:6]
	s_mul_i32 s26, s26, s8
	s_add_i32 s27, s27, s9
	s_mul_i32 s9, s17, s8
	s_mul_hi_u32 s17, s16, s8
	v_lshlrev_b32_e32 v16, 2, v14
	v_lshl_or_b32 v15, v10, 5, v15
	v_mov_b32_e32 v5, v2
	v_mad_u64_u32 v[2:3], null, s14, v17, 0
	s_lshl_b64 s[14:15], s[26:27], 1
	v_lshl_add_u32 v12, v1, 5, 0x400
	v_lshlrev_b64 v[4:5], 1, v[4:5]
	s_add_u32 s14, s28, s14
	s_addc_u32 s15, s29, s15
	v_lshl_or_b32 v14, v13, 7, v16
	v_add3_u32 v3, v3, v9, v8
	v_lshlrev_b32_e32 v8, 1, v10
	v_add_co_u32 v4, vcc_lo, s14, v4
	v_add_co_ci_u32_e64 v5, null, s15, v5, vcc_lo
	v_lshlrev_b64 v[2:3], 1, v[2:3]
	s_add_i32 s15, s17, s9
	s_mul_i32 s14, s16, s8
	v_lshlrev_b32_e32 v9, 1, v13
	s_lshl_b64 s[14:15], s[14:15], 1
	v_add_nc_u32_e32 v15, 0x400, v15
	v_add_co_u32 v2, vcc_lo, v2, s14
	v_add_co_ci_u32_e64 v3, null, s15, v3, vcc_lo
	v_add_co_u32 v4, vcc_lo, v4, v8
	v_add_co_ci_u32_e64 v5, null, 0, v5, vcc_lo
	;; [unrolled: 2-line block ×5, first 2 shown]
	v_mov_b32_e32 v8, 0
	v_mov_b32_e32 v9, 0
	v_mov_b32_e32 v10, 0
	s_lshl_b64 s[12:13], s[24:25], 4
	s_mov_b64 s[14:15], 0
	s_branch .LBB387_3
.LBB387_2:                              ;   in Loop: Header=BB387_3 Depth=1
	s_or_b32 exec_lo, exec_lo, s9
	ds_write_b32 v15, v17
	s_waitcnt lgkmcnt(0)
	s_barrier
	buffer_gl0_inv
	ds_read_b128 v[16:19], v12
	ds_read2_b32 v[32:33], v11 offset1:16
	ds_read_b128 v[20:23], v12 offset:512
	ds_read2_b32 v[34:35], v11 offset0:32 offset1:48
	ds_read2_b32 v[36:37], v11 offset0:64 offset1:80
	ds_read2_b32 v[38:39], v11 offset0:96 offset1:112
	ds_read_b128 v[24:27], v12 offset:16
	ds_read2_b32 v[40:41], v11 offset0:128 offset1:144
	ds_read_b128 v[28:31], v12 offset:528
	ds_read2_b32 v[42:43], v11 offset0:160 offset1:176
	s_add_u32 s14, s14, 8
	s_addc_u32 s15, s15, 0
	v_add_co_u32 v2, vcc_lo, v2, s12
	v_cmp_lt_i64_e64 s9, s[14:15], s[10:11]
	v_add_co_ci_u32_e64 v3, null, s13, v3, vcc_lo
	v_add_co_u32 v4, vcc_lo, v4, 16
	v_add_co_ci_u32_e64 v5, null, 0, v5, vcc_lo
	s_waitcnt lgkmcnt(8)
	v_fmac_f32_e32 v10, v32, v16
	v_fmac_f32_e32 v9, v33, v16
	s_waitcnt lgkmcnt(7)
	v_fmac_f32_e32 v8, v32, v20
	v_fmac_f32_e32 v7, v33, v20
	ds_read2_b32 v[32:33], v11 offset0:192 offset1:208
	s_waitcnt lgkmcnt(7)
	v_fmac_f32_e32 v10, v34, v17
	v_fmac_f32_e32 v9, v35, v17
	;; [unrolled: 1-line block ×4, first 2 shown]
	ds_read2_b32 v[16:17], v11 offset0:224 offset1:240
	s_waitcnt lgkmcnt(7)
	v_fmac_f32_e32 v10, v36, v18
	v_fmac_f32_e32 v9, v37, v18
	;; [unrolled: 1-line block ×4, first 2 shown]
	s_and_b32 vcc_lo, exec_lo, s9
	s_waitcnt lgkmcnt(6)
	v_fmac_f32_e32 v10, v38, v19
	v_fmac_f32_e32 v9, v39, v19
	;; [unrolled: 1-line block ×4, first 2 shown]
	s_waitcnt lgkmcnt(0)
	v_fmac_f32_e32 v10, v40, v24
	v_fmac_f32_e32 v9, v41, v24
	;; [unrolled: 1-line block ×4, first 2 shown]
	s_barrier
	v_fmac_f32_e32 v10, v42, v25
	v_fmac_f32_e32 v9, v43, v25
	;; [unrolled: 1-line block ×4, first 2 shown]
	buffer_gl0_inv
	v_fmac_f32_e32 v10, v32, v26
	v_fmac_f32_e32 v9, v33, v26
	;; [unrolled: 1-line block ×8, first 2 shown]
	s_cbranch_vccz .LBB387_7
.LBB387_3:                              ; =>This Inner Loop Header: Depth=1
	v_add_co_u32 v16, s9, v13, s14
	v_add_co_ci_u32_e64 v17, null, 0, s15, s9
	v_cmp_gt_i64_e32 vcc_lo, s[10:11], v[16:17]
	v_mov_b32_e32 v16, 0
	s_and_b32 s16, s0, vcc_lo
	s_and_saveexec_b32 s9, s16
	s_cbranch_execz .LBB387_5
; %bb.4:                                ;   in Loop: Header=BB387_3 Depth=1
	global_load_ushort v16, v[4:5], off
	s_waitcnt vmcnt(0)
	v_cvt_f32_f16_e32 v16, v16
.LBB387_5:                              ;   in Loop: Header=BB387_3 Depth=1
	s_or_b32 exec_lo, exec_lo, s9
	v_add_co_u32 v17, s9, v6, s14
	v_add_co_ci_u32_e64 v18, null, 0, s15, s9
	ds_write_b32 v14, v16
	v_cmp_gt_i64_e32 vcc_lo, s[10:11], v[17:18]
	v_mov_b32_e32 v17, 0
	s_and_b32 s16, vcc_lo, s1
	s_and_saveexec_b32 s9, s16
	s_cbranch_execz .LBB387_2
; %bb.6:                                ;   in Loop: Header=BB387_3 Depth=1
	global_load_ushort v16, v[2:3], off
	s_waitcnt vmcnt(0)
	v_cvt_f32_f16_e32 v17, v16
	s_branch .LBB387_2
.LBB387_7:
	s_clause 0x3
	s_load_dwordx4 s[24:27], s[4:5], 0x78
	s_load_dword s9, s[4:5], 0x50
	s_load_dwordx8 s[12:19], s[4:5], 0x58
	s_load_dword s4, s[4:5], 0x18
	v_add_co_u32 v1, s0, s2, v1
	v_add_co_ci_u32_e64 v2, null, s3, 0, s0
	s_waitcnt lgkmcnt(0)
	s_mul_i32 s1, s27, s8
	s_mul_hi_u32 s2, s26, s8
	s_mul_i32 s0, s26, s8
	s_add_i32 s1, s2, s1
	v_cmp_neq_f32_e64 s2, s9, 0
	s_lshl_b64 s[10:11], s[0:1], 1
	v_cmp_gt_i64_e64 s0, s[22:23], v[1:2]
	s_add_u32 s3, s18, s10
	s_addc_u32 s5, s19, s11
	s_and_b32 vcc_lo, exec_lo, s2
	s_cbranch_vccnz .LBB387_20
; %bb.8:
	s_and_saveexec_b32 s10, s0
	s_cbranch_execz .LBB387_18
; %bb.9:
	v_mul_lo_u32 v5, v2, s24
	v_mul_lo_u32 v6, v1, s25
	v_mad_u64_u32 v[3:4], null, v1, s24, 0
	v_add3_u32 v4, v4, v6, v5
	v_add_co_u32 v5, s1, s6, v0
	v_add_co_ci_u32_e64 v6, null, s7, 0, s1
	v_lshlrev_b64 v[11:12], 1, v[3:4]
	v_cmp_gt_i64_e32 vcc_lo, s[20:21], v[5:6]
	v_lshlrev_b64 v[3:4], 1, v[5:6]
	v_add_co_u32 v11, s1, s3, v11
	v_add_co_ci_u32_e64 v12, null, s5, v12, s1
	s_and_saveexec_b32 s2, vcc_lo
	s_cbranch_execz .LBB387_11
; %bb.10:
	v_add_co_u32 v13, s1, v11, v3
	v_add_co_ci_u32_e64 v14, null, v12, v4, s1
	v_fma_mixlo_f16 v15, s4, v10, 0
	global_store_short v[13:14], v15, off
.LBB387_11:
	s_or_b32 exec_lo, exec_lo, s2
	v_add_co_u32 v5, s1, v5, 16
	v_add_co_ci_u32_e64 v6, null, 0, v6, s1
	v_cmp_gt_i64_e64 s1, s[20:21], v[5:6]
	s_and_saveexec_b32 s11, s1
	s_cbranch_execz .LBB387_13
; %bb.12:
	v_add_co_u32 v5, s2, v11, v3
	v_add_co_ci_u32_e64 v6, null, v12, v4, s2
	v_fma_mixlo_f16 v13, s4, v9, 0
	global_store_short v[5:6], v13, off offset:32
.LBB387_13:
	s_or_b32 exec_lo, exec_lo, s11
	v_add_co_u32 v5, s2, v1, 16
	v_add_co_ci_u32_e64 v6, null, 0, v2, s2
	v_cmp_gt_i64_e64 s2, s[22:23], v[5:6]
	s_and_b32 exec_lo, exec_lo, s2
	s_cbranch_execz .LBB387_18
; %bb.14:
	s_lshl_b64 s[18:19], s[24:25], 5
	v_add_co_u32 v5, s2, v11, s18
	v_add_co_ci_u32_e64 v6, null, s19, v12, s2
	v_add_co_u32 v3, s2, v5, v3
	v_add_co_ci_u32_e64 v4, null, v6, v4, s2
	s_and_saveexec_b32 s2, vcc_lo
	s_cbranch_execz .LBB387_16
; %bb.15:
	v_fma_mixlo_f16 v5, s4, v8, 0
	global_store_short v[3:4], v5, off
.LBB387_16:
	s_or_b32 exec_lo, exec_lo, s2
	s_and_b32 exec_lo, exec_lo, s1
	s_cbranch_execz .LBB387_18
; %bb.17:
	v_fma_mixlo_f16 v5, s4, v7, 0
	global_store_short v[3:4], v5, off offset:32
.LBB387_18:
	s_or_b32 exec_lo, exec_lo, s10
	s_cbranch_execz .LBB387_21
.LBB387_19:
	s_endpgm
.LBB387_20:
.LBB387_21:
	s_and_saveexec_b32 s1, s0
	s_cbranch_execz .LBB387_19
; %bb.22:
	v_mul_lo_u32 v5, v2, s14
	v_mul_lo_u32 v6, v1, s15
	v_mad_u64_u32 v[3:4], null, v1, s14, 0
	v_mul_lo_u32 v13, v2, s24
	v_mul_lo_u32 v14, v1, s25
	v_mad_u64_u32 v[11:12], null, v1, s24, 0
	s_mul_i32 s0, s17, s8
	s_mul_hi_u32 s1, s16, s8
	v_add3_u32 v4, v4, v6, v5
	s_add_i32 s1, s1, s0
	s_mul_i32 s0, s16, s8
	v_add_co_u32 v5, s2, s6, v0
	v_add3_u32 v12, v12, v14, v13
	v_lshlrev_b64 v[3:4], 1, v[3:4]
	s_lshl_b64 s[0:1], s[0:1], 1
	v_add_co_ci_u32_e64 v6, null, s7, 0, s2
	v_lshlrev_b64 v[12:13], 1, v[11:12]
	s_add_u32 s0, s12, s0
	s_addc_u32 s1, s13, s1
	v_add_co_u32 v0, s0, s0, v3
	v_add_co_ci_u32_e64 v11, null, s1, v4, s0
	v_add_co_u32 v12, s0, s3, v12
	v_cmp_gt_i64_e32 vcc_lo, s[20:21], v[5:6]
	v_lshlrev_b64 v[3:4], 1, v[5:6]
	v_add_co_ci_u32_e64 v13, null, s5, v13, s0
	s_and_saveexec_b32 s1, vcc_lo
	s_cbranch_execz .LBB387_24
; %bb.23:
	v_add_co_u32 v14, s0, v0, v3
	v_add_co_ci_u32_e64 v15, null, v11, v4, s0
	global_load_ushort v14, v[14:15], off
	s_waitcnt vmcnt(0)
	v_cvt_f32_f16_e32 v14, v14
	v_mul_f32_e32 v14, s9, v14
	v_fma_mixlo_f16 v10, s4, v10, v14
	v_add_co_u32 v14, s0, v12, v3
	v_add_co_ci_u32_e64 v15, null, v13, v4, s0
	global_store_short v[14:15], v10, off
.LBB387_24:
	s_or_b32 exec_lo, exec_lo, s1
	v_add_co_u32 v5, s0, v5, 16
	v_add_co_ci_u32_e64 v6, null, 0, v6, s0
	v_cmp_gt_i64_e64 s0, s[20:21], v[5:6]
	s_and_saveexec_b32 s2, s0
	s_cbranch_execz .LBB387_26
; %bb.25:
	v_add_co_u32 v5, s1, v0, v3
	v_add_co_ci_u32_e64 v6, null, v11, v4, s1
	global_load_ushort v5, v[5:6], off offset:32
	s_waitcnt vmcnt(0)
	v_cvt_f32_f16_e32 v5, v5
	v_mul_f32_e32 v5, s9, v5
	v_fma_mixlo_f16 v9, s4, v9, v5
	v_add_co_u32 v5, s1, v12, v3
	v_add_co_ci_u32_e64 v6, null, v13, v4, s1
	global_store_short v[5:6], v9, off offset:32
.LBB387_26:
	s_or_b32 exec_lo, exec_lo, s2
	v_add_co_u32 v1, s1, v1, 16
	v_add_co_ci_u32_e64 v2, null, 0, v2, s1
	v_cmp_gt_i64_e64 s1, s[22:23], v[1:2]
	s_and_b32 exec_lo, exec_lo, s1
	s_cbranch_execz .LBB387_19
; %bb.27:
	s_lshl_b64 s[2:3], s[14:15], 5
	v_add_co_u32 v0, s1, v0, s2
	v_add_co_ci_u32_e64 v1, null, s3, v11, s1
	s_lshl_b64 s[2:3], s[24:25], 5
	v_add_co_u32 v2, s1, v12, s2
	v_add_co_ci_u32_e64 v5, null, s3, v13, s1
	v_add_co_u32 v0, s1, v0, v3
	v_add_co_ci_u32_e64 v1, null, v1, v4, s1
	v_add_co_u32 v2, s1, v2, v3
	v_add_co_ci_u32_e64 v3, null, v5, v4, s1
	s_and_saveexec_b32 s1, vcc_lo
	s_cbranch_execz .LBB387_29
; %bb.28:
	global_load_ushort v4, v[0:1], off
	s_waitcnt vmcnt(0)
	v_cvt_f32_f16_e32 v4, v4
	v_mul_f32_e32 v4, s9, v4
	v_fma_mixlo_f16 v4, s4, v8, v4
	global_store_short v[2:3], v4, off
.LBB387_29:
	s_or_b32 exec_lo, exec_lo, s1
	s_and_b32 exec_lo, exec_lo, s0
	s_cbranch_execz .LBB387_19
; %bb.30:
	global_load_ushort v0, v[0:1], off offset:32
	s_waitcnt vmcnt(0)
	v_cvt_f32_f16_e32 v0, v0
	v_mul_f32_e32 v0, s9, v0
	v_fma_mixlo_f16 v0, s4, v7, v0
	global_store_short v[2:3], v0, off offset:32
	s_endpgm
	.section	.rodata,"a",@progbits
	.p2align	6, 0x0
	.amdhsa_kernel _ZN12_GLOBAL__N_135rocblas_gemm_batched_general_kernelIfLi16ELi16ELi32ELi32ELi8ELi32ELi8ELi8ELi32ELc67ELc84EKDF16_S1_DF16_EEvlllT_PT11_llS4_llS2_PT12_llPT13_lli
		.amdhsa_group_segment_fixed_size 2048
		.amdhsa_private_segment_fixed_size 0
		.amdhsa_kernarg_size 140
		.amdhsa_user_sgpr_count 6
		.amdhsa_user_sgpr_private_segment_buffer 1
		.amdhsa_user_sgpr_dispatch_ptr 0
		.amdhsa_user_sgpr_queue_ptr 0
		.amdhsa_user_sgpr_kernarg_segment_ptr 1
		.amdhsa_user_sgpr_dispatch_id 0
		.amdhsa_user_sgpr_flat_scratch_init 0
		.amdhsa_user_sgpr_private_segment_size 0
		.amdhsa_wavefront_size32 1
		.amdhsa_uses_dynamic_stack 0
		.amdhsa_system_sgpr_private_segment_wavefront_offset 0
		.amdhsa_system_sgpr_workgroup_id_x 1
		.amdhsa_system_sgpr_workgroup_id_y 1
		.amdhsa_system_sgpr_workgroup_id_z 1
		.amdhsa_system_sgpr_workgroup_info 0
		.amdhsa_system_vgpr_workitem_id 1
		.amdhsa_next_free_vgpr 44
		.amdhsa_next_free_sgpr 30
		.amdhsa_reserve_vcc 1
		.amdhsa_reserve_flat_scratch 0
		.amdhsa_float_round_mode_32 0
		.amdhsa_float_round_mode_16_64 0
		.amdhsa_float_denorm_mode_32 3
		.amdhsa_float_denorm_mode_16_64 3
		.amdhsa_dx10_clamp 1
		.amdhsa_ieee_mode 1
		.amdhsa_fp16_overflow 0
		.amdhsa_workgroup_processor_mode 1
		.amdhsa_memory_ordered 1
		.amdhsa_forward_progress 1
		.amdhsa_shared_vgpr_count 0
		.amdhsa_exception_fp_ieee_invalid_op 0
		.amdhsa_exception_fp_denorm_src 0
		.amdhsa_exception_fp_ieee_div_zero 0
		.amdhsa_exception_fp_ieee_overflow 0
		.amdhsa_exception_fp_ieee_underflow 0
		.amdhsa_exception_fp_ieee_inexact 0
		.amdhsa_exception_int_div_zero 0
	.end_amdhsa_kernel
	.section	.text._ZN12_GLOBAL__N_135rocblas_gemm_batched_general_kernelIfLi16ELi16ELi32ELi32ELi8ELi32ELi8ELi8ELi32ELc67ELc84EKDF16_S1_DF16_EEvlllT_PT11_llS4_llS2_PT12_llPT13_lli,"axG",@progbits,_ZN12_GLOBAL__N_135rocblas_gemm_batched_general_kernelIfLi16ELi16ELi32ELi32ELi8ELi32ELi8ELi8ELi32ELc67ELc84EKDF16_S1_DF16_EEvlllT_PT11_llS4_llS2_PT12_llPT13_lli,comdat
.Lfunc_end387:
	.size	_ZN12_GLOBAL__N_135rocblas_gemm_batched_general_kernelIfLi16ELi16ELi32ELi32ELi8ELi32ELi8ELi8ELi32ELc67ELc84EKDF16_S1_DF16_EEvlllT_PT11_llS4_llS2_PT12_llPT13_lli, .Lfunc_end387-_ZN12_GLOBAL__N_135rocblas_gemm_batched_general_kernelIfLi16ELi16ELi32ELi32ELi8ELi32ELi8ELi8ELi32ELc67ELc84EKDF16_S1_DF16_EEvlllT_PT11_llS4_llS2_PT12_llPT13_lli
                                        ; -- End function
	.set _ZN12_GLOBAL__N_135rocblas_gemm_batched_general_kernelIfLi16ELi16ELi32ELi32ELi8ELi32ELi8ELi8ELi32ELc67ELc84EKDF16_S1_DF16_EEvlllT_PT11_llS4_llS2_PT12_llPT13_lli.num_vgpr, 44
	.set _ZN12_GLOBAL__N_135rocblas_gemm_batched_general_kernelIfLi16ELi16ELi32ELi32ELi8ELi32ELi8ELi8ELi32ELc67ELc84EKDF16_S1_DF16_EEvlllT_PT11_llS4_llS2_PT12_llPT13_lli.num_agpr, 0
	.set _ZN12_GLOBAL__N_135rocblas_gemm_batched_general_kernelIfLi16ELi16ELi32ELi32ELi8ELi32ELi8ELi8ELi32ELc67ELc84EKDF16_S1_DF16_EEvlllT_PT11_llS4_llS2_PT12_llPT13_lli.numbered_sgpr, 30
	.set _ZN12_GLOBAL__N_135rocblas_gemm_batched_general_kernelIfLi16ELi16ELi32ELi32ELi8ELi32ELi8ELi8ELi32ELc67ELc84EKDF16_S1_DF16_EEvlllT_PT11_llS4_llS2_PT12_llPT13_lli.num_named_barrier, 0
	.set _ZN12_GLOBAL__N_135rocblas_gemm_batched_general_kernelIfLi16ELi16ELi32ELi32ELi8ELi32ELi8ELi8ELi32ELc67ELc84EKDF16_S1_DF16_EEvlllT_PT11_llS4_llS2_PT12_llPT13_lli.private_seg_size, 0
	.set _ZN12_GLOBAL__N_135rocblas_gemm_batched_general_kernelIfLi16ELi16ELi32ELi32ELi8ELi32ELi8ELi8ELi32ELc67ELc84EKDF16_S1_DF16_EEvlllT_PT11_llS4_llS2_PT12_llPT13_lli.uses_vcc, 1
	.set _ZN12_GLOBAL__N_135rocblas_gemm_batched_general_kernelIfLi16ELi16ELi32ELi32ELi8ELi32ELi8ELi8ELi32ELc67ELc84EKDF16_S1_DF16_EEvlllT_PT11_llS4_llS2_PT12_llPT13_lli.uses_flat_scratch, 0
	.set _ZN12_GLOBAL__N_135rocblas_gemm_batched_general_kernelIfLi16ELi16ELi32ELi32ELi8ELi32ELi8ELi8ELi32ELc67ELc84EKDF16_S1_DF16_EEvlllT_PT11_llS4_llS2_PT12_llPT13_lli.has_dyn_sized_stack, 0
	.set _ZN12_GLOBAL__N_135rocblas_gemm_batched_general_kernelIfLi16ELi16ELi32ELi32ELi8ELi32ELi8ELi8ELi32ELc67ELc84EKDF16_S1_DF16_EEvlllT_PT11_llS4_llS2_PT12_llPT13_lli.has_recursion, 0
	.set _ZN12_GLOBAL__N_135rocblas_gemm_batched_general_kernelIfLi16ELi16ELi32ELi32ELi8ELi32ELi8ELi8ELi32ELc67ELc84EKDF16_S1_DF16_EEvlllT_PT11_llS4_llS2_PT12_llPT13_lli.has_indirect_call, 0
	.section	.AMDGPU.csdata,"",@progbits
; Kernel info:
; codeLenInByte = 1948
; TotalNumSgprs: 32
; NumVgprs: 44
; ScratchSize: 0
; MemoryBound: 0
; FloatMode: 240
; IeeeMode: 1
; LDSByteSize: 2048 bytes/workgroup (compile time only)
; SGPRBlocks: 0
; VGPRBlocks: 5
; NumSGPRsForWavesPerEU: 32
; NumVGPRsForWavesPerEU: 44
; Occupancy: 16
; WaveLimiterHint : 0
; COMPUTE_PGM_RSRC2:SCRATCH_EN: 0
; COMPUTE_PGM_RSRC2:USER_SGPR: 6
; COMPUTE_PGM_RSRC2:TRAP_HANDLER: 0
; COMPUTE_PGM_RSRC2:TGID_X_EN: 1
; COMPUTE_PGM_RSRC2:TGID_Y_EN: 1
; COMPUTE_PGM_RSRC2:TGID_Z_EN: 1
; COMPUTE_PGM_RSRC2:TIDIG_COMP_CNT: 1
	.section	.text._ZN12_GLOBAL__N_135rocblas_gemm_batched_general_kernelIfLi16ELi16ELi32ELi32ELi8ELi32ELi8ELi8ELi32ELc78ELc67EKDF16_S1_DF16_EEvlllT_PT11_llS4_llS2_PT12_llPT13_lli,"axG",@progbits,_ZN12_GLOBAL__N_135rocblas_gemm_batched_general_kernelIfLi16ELi16ELi32ELi32ELi8ELi32ELi8ELi8ELi32ELc78ELc67EKDF16_S1_DF16_EEvlllT_PT11_llS4_llS2_PT12_llPT13_lli,comdat
	.globl	_ZN12_GLOBAL__N_135rocblas_gemm_batched_general_kernelIfLi16ELi16ELi32ELi32ELi8ELi32ELi8ELi8ELi32ELc78ELc67EKDF16_S1_DF16_EEvlllT_PT11_llS4_llS2_PT12_llPT13_lli ; -- Begin function _ZN12_GLOBAL__N_135rocblas_gemm_batched_general_kernelIfLi16ELi16ELi32ELi32ELi8ELi32ELi8ELi8ELi32ELc78ELc67EKDF16_S1_DF16_EEvlllT_PT11_llS4_llS2_PT12_llPT13_lli
	.p2align	8
	.type	_ZN12_GLOBAL__N_135rocblas_gemm_batched_general_kernelIfLi16ELi16ELi32ELi32ELi8ELi32ELi8ELi8ELi32ELc78ELc67EKDF16_S1_DF16_EEvlllT_PT11_llS4_llS2_PT12_llPT13_lli,@function
_ZN12_GLOBAL__N_135rocblas_gemm_batched_general_kernelIfLi16ELi16ELi32ELi32ELi8ELi32ELi8ELi8ELi32ELc78ELc67EKDF16_S1_DF16_EEvlllT_PT11_llS4_llS2_PT12_llPT13_lli: ; @_ZN12_GLOBAL__N_135rocblas_gemm_batched_general_kernelIfLi16ELi16ELi32ELi32ELi8ELi32ELi8ELi8ELi32ELc78ELc67EKDF16_S1_DF16_EEvlllT_PT11_llS4_llS2_PT12_llPT13_lli
; %bb.0:
	s_clause 0x1
	s_load_dwordx2 s[28:29], s[4:5], 0x10
	s_load_dwordx4 s[20:23], s[4:5], 0x0
	s_mov_b32 s0, s7
	v_mov_b32_e32 v10, 0
	v_mov_b32_e32 v9, 0
	;; [unrolled: 1-line block ×4, first 2 shown]
	s_ashr_i32 s7, s6, 31
	s_ashr_i32 s1, s0, 31
	s_lshl_b64 s[10:11], s[6:7], 5
	s_waitcnt lgkmcnt(0)
	v_cmp_lt_i64_e64 s2, s[28:29], 1
	s_and_b32 vcc_lo, exec_lo, s2
	s_lshl_b64 s[2:3], s[0:1], 5
	s_cbranch_vccnz .LBB388_7
; %bb.1:
	s_clause 0x1
	s_load_dwordx4 s[24:27], s[4:5], 0x40
	s_load_dwordx8 s[12:19], s[4:5], 0x20
	v_lshl_add_u32 v2, v1, 4, v0
	v_and_b32_e32 v6, 7, v0
	v_mov_b32_e32 v3, s11
	s_lshl_b64 s[30:31], s[0:1], 6
	v_mov_b32_e32 v7, 0
	v_and_b32_e32 v10, 31, v2
	v_lshrrev_b32_e32 v14, 3, v2
	v_lshrrev_b32_e32 v13, 5, v2
	v_lshlrev_b32_e32 v15, 2, v6
	v_lshlrev_b32_e32 v11, 2, v0
	v_or_b32_e32 v2, s10, v10
	v_lshlrev_b32_e32 v16, 2, v10
	v_add_co_u32 v8, s0, v14, s2
	v_add_co_ci_u32_e64 v9, null, 0, s3, s0
	v_lshl_or_b32 v15, v14, 5, v15
	v_lshlrev_b32_e32 v18, 1, v14
	s_waitcnt lgkmcnt(0)
	v_mad_u64_u32 v[4:5], null, s24, v6, 0
	v_cmp_gt_i64_e64 s0, s[20:21], v[2:3]
	v_lshl_or_b32 v14, v13, 7, v16
	v_mad_u64_u32 v[16:17], null, s14, v13, 0
	s_mul_i32 s9, s27, s8
	s_mul_hi_u32 s27, s26, s8
	v_mov_b32_e32 v2, v5
	s_mul_i32 s26, s26, s8
	s_add_i32 s27, s27, s9
	s_mul_i32 s17, s17, s8
	s_lshl_b64 s[26:27], s[26:27], 1
	v_mad_u64_u32 v[2:3], null, s25, v6, v[2:3]
	v_mov_b32_e32 v3, v17
	s_mul_hi_u32 s33, s16, s8
	s_add_u32 s9, s30, s26
	s_mul_i32 s16, s16, s8
	s_addc_u32 s26, s31, s27
	s_add_i32 s17, s33, s17
	v_mov_b32_e32 v5, v2
	v_mad_u64_u32 v[2:3], null, s15, v13, v[3:4]
	s_lshl_b64 s[16:17], s[16:17], 1
	v_cmp_gt_i64_e64 s1, s[22:23], v[8:9]
	v_lshlrev_b64 v[3:4], 1, v[4:5]
	v_lshlrev_b32_e32 v8, 1, v10
	v_lshl_add_u32 v12, v1, 5, 0x400
	v_add_nc_u32_e32 v15, 0x400, v15
	v_mov_b32_e32 v17, v2
	v_mov_b32_e32 v10, 0
	v_add_co_u32 v5, vcc_lo, s9, v3
	v_add_co_ci_u32_e64 v4, null, s26, v4, vcc_lo
	v_lshlrev_b64 v[2:3], 1, v[16:17]
	s_lshl_b64 s[26:27], s[6:7], 6
	s_lshl_b64 s[6:7], s[24:25], 4
	s_add_u32 s9, s26, s16
	s_addc_u32 s16, s27, s17
	v_add_co_u32 v2, vcc_lo, s9, v2
	v_add_co_ci_u32_e64 v3, null, s16, v3, vcc_lo
	v_add_co_u32 v5, vcc_lo, v5, v18
	v_add_co_ci_u32_e64 v4, null, 0, v4, vcc_lo
	;; [unrolled: 2-line block ×5, first 2 shown]
	v_mov_b32_e32 v8, 0
	v_mov_b32_e32 v9, 0
	s_lshl_b64 s[12:13], s[14:15], 4
	s_mov_b64 s[14:15], 0
	s_branch .LBB388_3
.LBB388_2:                              ;   in Loop: Header=BB388_3 Depth=1
	s_or_b32 exec_lo, exec_lo, s9
	ds_write_b32 v15, v17
	s_waitcnt lgkmcnt(0)
	s_barrier
	buffer_gl0_inv
	ds_read_b128 v[16:19], v12
	ds_read2_b32 v[32:33], v11 offset1:16
	ds_read_b128 v[20:23], v12 offset:512
	ds_read2_b32 v[34:35], v11 offset0:32 offset1:48
	ds_read2_b32 v[36:37], v11 offset0:64 offset1:80
	;; [unrolled: 1-line block ×3, first 2 shown]
	ds_read_b128 v[24:27], v12 offset:16
	ds_read2_b32 v[40:41], v11 offset0:128 offset1:144
	ds_read_b128 v[28:31], v12 offset:528
	ds_read2_b32 v[42:43], v11 offset0:160 offset1:176
	s_add_u32 s14, s14, 8
	s_addc_u32 s15, s15, 0
	v_add_co_u32 v2, vcc_lo, v2, s6
	v_cmp_lt_i64_e64 s9, s[14:15], s[28:29]
	v_add_co_ci_u32_e64 v3, null, s7, v3, vcc_lo
	v_add_co_u32 v4, vcc_lo, v4, s12
	v_add_co_ci_u32_e64 v5, null, s13, v5, vcc_lo
	s_waitcnt lgkmcnt(8)
	v_fmac_f32_e32 v10, v32, v16
	v_fmac_f32_e32 v9, v33, v16
	s_waitcnt lgkmcnt(7)
	v_fmac_f32_e32 v8, v32, v20
	v_fmac_f32_e32 v7, v33, v20
	ds_read2_b32 v[32:33], v11 offset0:192 offset1:208
	s_waitcnt lgkmcnt(7)
	v_fmac_f32_e32 v10, v34, v17
	v_fmac_f32_e32 v9, v35, v17
	;; [unrolled: 1-line block ×4, first 2 shown]
	ds_read2_b32 v[16:17], v11 offset0:224 offset1:240
	s_waitcnt lgkmcnt(7)
	v_fmac_f32_e32 v10, v36, v18
	v_fmac_f32_e32 v9, v37, v18
	;; [unrolled: 1-line block ×4, first 2 shown]
	s_and_b32 vcc_lo, exec_lo, s9
	s_waitcnt lgkmcnt(6)
	v_fmac_f32_e32 v10, v38, v19
	v_fmac_f32_e32 v9, v39, v19
	;; [unrolled: 1-line block ×4, first 2 shown]
	s_waitcnt lgkmcnt(0)
	v_fmac_f32_e32 v10, v40, v24
	v_fmac_f32_e32 v9, v41, v24
	;; [unrolled: 1-line block ×4, first 2 shown]
	s_barrier
	v_fmac_f32_e32 v10, v42, v25
	v_fmac_f32_e32 v9, v43, v25
	v_fmac_f32_e32 v8, v42, v29
	v_fmac_f32_e32 v7, v43, v29
	buffer_gl0_inv
	v_fmac_f32_e32 v10, v32, v26
	v_fmac_f32_e32 v9, v33, v26
	;; [unrolled: 1-line block ×8, first 2 shown]
	s_cbranch_vccz .LBB388_7
.LBB388_3:                              ; =>This Inner Loop Header: Depth=1
	v_add_co_u32 v16, s9, v13, s14
	v_add_co_ci_u32_e64 v17, null, 0, s15, s9
	v_cmp_gt_i64_e32 vcc_lo, s[28:29], v[16:17]
	v_mov_b32_e32 v16, 0
	s_and_b32 s16, s0, vcc_lo
	s_and_saveexec_b32 s9, s16
	s_cbranch_execz .LBB388_5
; %bb.4:                                ;   in Loop: Header=BB388_3 Depth=1
	global_load_ushort v16, v[4:5], off
	s_waitcnt vmcnt(0)
	v_cvt_f32_f16_e32 v16, v16
.LBB388_5:                              ;   in Loop: Header=BB388_3 Depth=1
	s_or_b32 exec_lo, exec_lo, s9
	v_add_co_u32 v17, s9, v6, s14
	v_add_co_ci_u32_e64 v18, null, 0, s15, s9
	ds_write_b32 v14, v16
	v_cmp_gt_i64_e32 vcc_lo, s[28:29], v[17:18]
	v_mov_b32_e32 v17, 0
	s_and_b32 s16, vcc_lo, s1
	s_and_saveexec_b32 s9, s16
	s_cbranch_execz .LBB388_2
; %bb.6:                                ;   in Loop: Header=BB388_3 Depth=1
	global_load_ushort v16, v[2:3], off
	s_waitcnt vmcnt(0)
	v_cvt_f32_f16_e32 v17, v16
	s_branch .LBB388_2
.LBB388_7:
	s_clause 0x3
	s_load_dwordx4 s[24:27], s[4:5], 0x78
	s_load_dword s6, s[4:5], 0x50
	s_load_dwordx8 s[12:19], s[4:5], 0x58
	s_load_dword s4, s[4:5], 0x18
	v_add_co_u32 v1, s0, s2, v1
	v_add_co_ci_u32_e64 v2, null, s3, 0, s0
	s_waitcnt lgkmcnt(0)
	s_mul_i32 s1, s27, s8
	s_mul_hi_u32 s2, s26, s8
	s_mul_i32 s0, s26, s8
	s_add_i32 s1, s2, s1
	v_cmp_neq_f32_e64 s2, s6, 0
	s_lshl_b64 s[26:27], s[0:1], 1
	v_cmp_gt_i64_e64 s0, s[22:23], v[1:2]
	s_add_u32 s3, s18, s26
	s_addc_u32 s5, s19, s27
	s_and_b32 vcc_lo, exec_lo, s2
	s_cbranch_vccnz .LBB388_20
; %bb.8:
	s_and_saveexec_b32 s7, s0
	s_cbranch_execz .LBB388_18
; %bb.9:
	v_mul_lo_u32 v5, v2, s24
	v_mul_lo_u32 v6, v1, s25
	v_mad_u64_u32 v[3:4], null, v1, s24, 0
	v_add3_u32 v4, v4, v6, v5
	v_add_co_u32 v5, s1, s10, v0
	v_add_co_ci_u32_e64 v6, null, s11, 0, s1
	v_lshlrev_b64 v[11:12], 1, v[3:4]
	v_cmp_gt_i64_e32 vcc_lo, s[20:21], v[5:6]
	v_lshlrev_b64 v[3:4], 1, v[5:6]
	v_add_co_u32 v11, s1, s3, v11
	v_add_co_ci_u32_e64 v12, null, s5, v12, s1
	s_and_saveexec_b32 s2, vcc_lo
	s_cbranch_execz .LBB388_11
; %bb.10:
	v_add_co_u32 v13, s1, v11, v3
	v_add_co_ci_u32_e64 v14, null, v12, v4, s1
	v_fma_mixlo_f16 v15, s4, v10, 0
	global_store_short v[13:14], v15, off
.LBB388_11:
	s_or_b32 exec_lo, exec_lo, s2
	v_add_co_u32 v5, s1, v5, 16
	v_add_co_ci_u32_e64 v6, null, 0, v6, s1
	v_cmp_gt_i64_e64 s1, s[20:21], v[5:6]
	s_and_saveexec_b32 s9, s1
	s_cbranch_execz .LBB388_13
; %bb.12:
	v_add_co_u32 v5, s2, v11, v3
	v_add_co_ci_u32_e64 v6, null, v12, v4, s2
	v_fma_mixlo_f16 v13, s4, v9, 0
	global_store_short v[5:6], v13, off offset:32
.LBB388_13:
	s_or_b32 exec_lo, exec_lo, s9
	v_add_co_u32 v5, s2, v1, 16
	v_add_co_ci_u32_e64 v6, null, 0, v2, s2
	v_cmp_gt_i64_e64 s2, s[22:23], v[5:6]
	s_and_b32 exec_lo, exec_lo, s2
	s_cbranch_execz .LBB388_18
; %bb.14:
	s_lshl_b64 s[18:19], s[24:25], 5
	v_add_co_u32 v5, s2, v11, s18
	v_add_co_ci_u32_e64 v6, null, s19, v12, s2
	v_add_co_u32 v3, s2, v5, v3
	v_add_co_ci_u32_e64 v4, null, v6, v4, s2
	s_and_saveexec_b32 s2, vcc_lo
	s_cbranch_execz .LBB388_16
; %bb.15:
	v_fma_mixlo_f16 v5, s4, v8, 0
	global_store_short v[3:4], v5, off
.LBB388_16:
	s_or_b32 exec_lo, exec_lo, s2
	s_and_b32 exec_lo, exec_lo, s1
	s_cbranch_execz .LBB388_18
; %bb.17:
	v_fma_mixlo_f16 v5, s4, v7, 0
	global_store_short v[3:4], v5, off offset:32
.LBB388_18:
	s_or_b32 exec_lo, exec_lo, s7
	s_cbranch_execz .LBB388_21
.LBB388_19:
	s_endpgm
.LBB388_20:
.LBB388_21:
	s_and_saveexec_b32 s1, s0
	s_cbranch_execz .LBB388_19
; %bb.22:
	v_mul_lo_u32 v5, v2, s14
	v_mul_lo_u32 v6, v1, s15
	v_mad_u64_u32 v[3:4], null, v1, s14, 0
	v_mul_lo_u32 v13, v2, s24
	v_mul_lo_u32 v14, v1, s25
	v_mad_u64_u32 v[11:12], null, v1, s24, 0
	s_mul_i32 s0, s17, s8
	s_mul_hi_u32 s1, s16, s8
	v_add3_u32 v4, v4, v6, v5
	s_add_i32 s1, s1, s0
	s_mul_i32 s0, s16, s8
	v_add_co_u32 v5, s2, s10, v0
	v_add3_u32 v12, v12, v14, v13
	v_lshlrev_b64 v[3:4], 1, v[3:4]
	s_lshl_b64 s[0:1], s[0:1], 1
	v_add_co_ci_u32_e64 v6, null, s11, 0, s2
	v_lshlrev_b64 v[12:13], 1, v[11:12]
	s_add_u32 s0, s12, s0
	s_addc_u32 s1, s13, s1
	v_add_co_u32 v0, s0, s0, v3
	v_add_co_ci_u32_e64 v11, null, s1, v4, s0
	v_add_co_u32 v12, s0, s3, v12
	v_cmp_gt_i64_e32 vcc_lo, s[20:21], v[5:6]
	v_lshlrev_b64 v[3:4], 1, v[5:6]
	v_add_co_ci_u32_e64 v13, null, s5, v13, s0
	s_and_saveexec_b32 s1, vcc_lo
	s_cbranch_execz .LBB388_24
; %bb.23:
	v_add_co_u32 v14, s0, v0, v3
	v_add_co_ci_u32_e64 v15, null, v11, v4, s0
	global_load_ushort v14, v[14:15], off
	s_waitcnt vmcnt(0)
	v_cvt_f32_f16_e32 v14, v14
	v_mul_f32_e32 v14, s6, v14
	v_fma_mixlo_f16 v10, s4, v10, v14
	v_add_co_u32 v14, s0, v12, v3
	v_add_co_ci_u32_e64 v15, null, v13, v4, s0
	global_store_short v[14:15], v10, off
.LBB388_24:
	s_or_b32 exec_lo, exec_lo, s1
	v_add_co_u32 v5, s0, v5, 16
	v_add_co_ci_u32_e64 v6, null, 0, v6, s0
	v_cmp_gt_i64_e64 s0, s[20:21], v[5:6]
	s_and_saveexec_b32 s2, s0
	s_cbranch_execz .LBB388_26
; %bb.25:
	v_add_co_u32 v5, s1, v0, v3
	v_add_co_ci_u32_e64 v6, null, v11, v4, s1
	global_load_ushort v5, v[5:6], off offset:32
	s_waitcnt vmcnt(0)
	v_cvt_f32_f16_e32 v5, v5
	v_mul_f32_e32 v5, s6, v5
	v_fma_mixlo_f16 v9, s4, v9, v5
	v_add_co_u32 v5, s1, v12, v3
	v_add_co_ci_u32_e64 v6, null, v13, v4, s1
	global_store_short v[5:6], v9, off offset:32
.LBB388_26:
	s_or_b32 exec_lo, exec_lo, s2
	v_add_co_u32 v1, s1, v1, 16
	v_add_co_ci_u32_e64 v2, null, 0, v2, s1
	v_cmp_gt_i64_e64 s1, s[22:23], v[1:2]
	s_and_b32 exec_lo, exec_lo, s1
	s_cbranch_execz .LBB388_19
; %bb.27:
	s_lshl_b64 s[2:3], s[14:15], 5
	v_add_co_u32 v0, s1, v0, s2
	v_add_co_ci_u32_e64 v1, null, s3, v11, s1
	s_lshl_b64 s[2:3], s[24:25], 5
	v_add_co_u32 v2, s1, v12, s2
	v_add_co_ci_u32_e64 v5, null, s3, v13, s1
	v_add_co_u32 v0, s1, v0, v3
	v_add_co_ci_u32_e64 v1, null, v1, v4, s1
	;; [unrolled: 2-line block ×3, first 2 shown]
	s_and_saveexec_b32 s1, vcc_lo
	s_cbranch_execz .LBB388_29
; %bb.28:
	global_load_ushort v4, v[0:1], off
	s_waitcnt vmcnt(0)
	v_cvt_f32_f16_e32 v4, v4
	v_mul_f32_e32 v4, s6, v4
	v_fma_mixlo_f16 v4, s4, v8, v4
	global_store_short v[2:3], v4, off
.LBB388_29:
	s_or_b32 exec_lo, exec_lo, s1
	s_and_b32 exec_lo, exec_lo, s0
	s_cbranch_execz .LBB388_19
; %bb.30:
	global_load_ushort v0, v[0:1], off offset:32
	s_waitcnt vmcnt(0)
	v_cvt_f32_f16_e32 v0, v0
	v_mul_f32_e32 v0, s6, v0
	v_fma_mixlo_f16 v0, s4, v7, v0
	global_store_short v[2:3], v0, off offset:32
	s_endpgm
	.section	.rodata,"a",@progbits
	.p2align	6, 0x0
	.amdhsa_kernel _ZN12_GLOBAL__N_135rocblas_gemm_batched_general_kernelIfLi16ELi16ELi32ELi32ELi8ELi32ELi8ELi8ELi32ELc78ELc67EKDF16_S1_DF16_EEvlllT_PT11_llS4_llS2_PT12_llPT13_lli
		.amdhsa_group_segment_fixed_size 2048
		.amdhsa_private_segment_fixed_size 0
		.amdhsa_kernarg_size 140
		.amdhsa_user_sgpr_count 6
		.amdhsa_user_sgpr_private_segment_buffer 1
		.amdhsa_user_sgpr_dispatch_ptr 0
		.amdhsa_user_sgpr_queue_ptr 0
		.amdhsa_user_sgpr_kernarg_segment_ptr 1
		.amdhsa_user_sgpr_dispatch_id 0
		.amdhsa_user_sgpr_flat_scratch_init 0
		.amdhsa_user_sgpr_private_segment_size 0
		.amdhsa_wavefront_size32 1
		.amdhsa_uses_dynamic_stack 0
		.amdhsa_system_sgpr_private_segment_wavefront_offset 0
		.amdhsa_system_sgpr_workgroup_id_x 1
		.amdhsa_system_sgpr_workgroup_id_y 1
		.amdhsa_system_sgpr_workgroup_id_z 1
		.amdhsa_system_sgpr_workgroup_info 0
		.amdhsa_system_vgpr_workitem_id 1
		.amdhsa_next_free_vgpr 44
		.amdhsa_next_free_sgpr 34
		.amdhsa_reserve_vcc 1
		.amdhsa_reserve_flat_scratch 0
		.amdhsa_float_round_mode_32 0
		.amdhsa_float_round_mode_16_64 0
		.amdhsa_float_denorm_mode_32 3
		.amdhsa_float_denorm_mode_16_64 3
		.amdhsa_dx10_clamp 1
		.amdhsa_ieee_mode 1
		.amdhsa_fp16_overflow 0
		.amdhsa_workgroup_processor_mode 1
		.amdhsa_memory_ordered 1
		.amdhsa_forward_progress 1
		.amdhsa_shared_vgpr_count 0
		.amdhsa_exception_fp_ieee_invalid_op 0
		.amdhsa_exception_fp_denorm_src 0
		.amdhsa_exception_fp_ieee_div_zero 0
		.amdhsa_exception_fp_ieee_overflow 0
		.amdhsa_exception_fp_ieee_underflow 0
		.amdhsa_exception_fp_ieee_inexact 0
		.amdhsa_exception_int_div_zero 0
	.end_amdhsa_kernel
	.section	.text._ZN12_GLOBAL__N_135rocblas_gemm_batched_general_kernelIfLi16ELi16ELi32ELi32ELi8ELi32ELi8ELi8ELi32ELc78ELc67EKDF16_S1_DF16_EEvlllT_PT11_llS4_llS2_PT12_llPT13_lli,"axG",@progbits,_ZN12_GLOBAL__N_135rocblas_gemm_batched_general_kernelIfLi16ELi16ELi32ELi32ELi8ELi32ELi8ELi8ELi32ELc78ELc67EKDF16_S1_DF16_EEvlllT_PT11_llS4_llS2_PT12_llPT13_lli,comdat
.Lfunc_end388:
	.size	_ZN12_GLOBAL__N_135rocblas_gemm_batched_general_kernelIfLi16ELi16ELi32ELi32ELi8ELi32ELi8ELi8ELi32ELc78ELc67EKDF16_S1_DF16_EEvlllT_PT11_llS4_llS2_PT12_llPT13_lli, .Lfunc_end388-_ZN12_GLOBAL__N_135rocblas_gemm_batched_general_kernelIfLi16ELi16ELi32ELi32ELi8ELi32ELi8ELi8ELi32ELc78ELc67EKDF16_S1_DF16_EEvlllT_PT11_llS4_llS2_PT12_llPT13_lli
                                        ; -- End function
	.set _ZN12_GLOBAL__N_135rocblas_gemm_batched_general_kernelIfLi16ELi16ELi32ELi32ELi8ELi32ELi8ELi8ELi32ELc78ELc67EKDF16_S1_DF16_EEvlllT_PT11_llS4_llS2_PT12_llPT13_lli.num_vgpr, 44
	.set _ZN12_GLOBAL__N_135rocblas_gemm_batched_general_kernelIfLi16ELi16ELi32ELi32ELi8ELi32ELi8ELi8ELi32ELc78ELc67EKDF16_S1_DF16_EEvlllT_PT11_llS4_llS2_PT12_llPT13_lli.num_agpr, 0
	.set _ZN12_GLOBAL__N_135rocblas_gemm_batched_general_kernelIfLi16ELi16ELi32ELi32ELi8ELi32ELi8ELi8ELi32ELc78ELc67EKDF16_S1_DF16_EEvlllT_PT11_llS4_llS2_PT12_llPT13_lli.numbered_sgpr, 34
	.set _ZN12_GLOBAL__N_135rocblas_gemm_batched_general_kernelIfLi16ELi16ELi32ELi32ELi8ELi32ELi8ELi8ELi32ELc78ELc67EKDF16_S1_DF16_EEvlllT_PT11_llS4_llS2_PT12_llPT13_lli.num_named_barrier, 0
	.set _ZN12_GLOBAL__N_135rocblas_gemm_batched_general_kernelIfLi16ELi16ELi32ELi32ELi8ELi32ELi8ELi8ELi32ELc78ELc67EKDF16_S1_DF16_EEvlllT_PT11_llS4_llS2_PT12_llPT13_lli.private_seg_size, 0
	.set _ZN12_GLOBAL__N_135rocblas_gemm_batched_general_kernelIfLi16ELi16ELi32ELi32ELi8ELi32ELi8ELi8ELi32ELc78ELc67EKDF16_S1_DF16_EEvlllT_PT11_llS4_llS2_PT12_llPT13_lli.uses_vcc, 1
	.set _ZN12_GLOBAL__N_135rocblas_gemm_batched_general_kernelIfLi16ELi16ELi32ELi32ELi8ELi32ELi8ELi8ELi32ELc78ELc67EKDF16_S1_DF16_EEvlllT_PT11_llS4_llS2_PT12_llPT13_lli.uses_flat_scratch, 0
	.set _ZN12_GLOBAL__N_135rocblas_gemm_batched_general_kernelIfLi16ELi16ELi32ELi32ELi8ELi32ELi8ELi8ELi32ELc78ELc67EKDF16_S1_DF16_EEvlllT_PT11_llS4_llS2_PT12_llPT13_lli.has_dyn_sized_stack, 0
	.set _ZN12_GLOBAL__N_135rocblas_gemm_batched_general_kernelIfLi16ELi16ELi32ELi32ELi8ELi32ELi8ELi8ELi32ELc78ELc67EKDF16_S1_DF16_EEvlllT_PT11_llS4_llS2_PT12_llPT13_lli.has_recursion, 0
	.set _ZN12_GLOBAL__N_135rocblas_gemm_batched_general_kernelIfLi16ELi16ELi32ELi32ELi8ELi32ELi8ELi8ELi32ELc78ELc67EKDF16_S1_DF16_EEvlllT_PT11_llS4_llS2_PT12_llPT13_lli.has_indirect_call, 0
	.section	.AMDGPU.csdata,"",@progbits
; Kernel info:
; codeLenInByte = 1944
; TotalNumSgprs: 36
; NumVgprs: 44
; ScratchSize: 0
; MemoryBound: 0
; FloatMode: 240
; IeeeMode: 1
; LDSByteSize: 2048 bytes/workgroup (compile time only)
; SGPRBlocks: 0
; VGPRBlocks: 5
; NumSGPRsForWavesPerEU: 36
; NumVGPRsForWavesPerEU: 44
; Occupancy: 16
; WaveLimiterHint : 0
; COMPUTE_PGM_RSRC2:SCRATCH_EN: 0
; COMPUTE_PGM_RSRC2:USER_SGPR: 6
; COMPUTE_PGM_RSRC2:TRAP_HANDLER: 0
; COMPUTE_PGM_RSRC2:TGID_X_EN: 1
; COMPUTE_PGM_RSRC2:TGID_Y_EN: 1
; COMPUTE_PGM_RSRC2:TGID_Z_EN: 1
; COMPUTE_PGM_RSRC2:TIDIG_COMP_CNT: 1
	.section	.text._ZN12_GLOBAL__N_135rocblas_gemm_batched_general_kernelIfLi16ELi16ELi32ELi32ELi8ELi32ELi8ELi8ELi32ELc84ELc67EKDF16_S1_DF16_EEvlllT_PT11_llS4_llS2_PT12_llPT13_lli,"axG",@progbits,_ZN12_GLOBAL__N_135rocblas_gemm_batched_general_kernelIfLi16ELi16ELi32ELi32ELi8ELi32ELi8ELi8ELi32ELc84ELc67EKDF16_S1_DF16_EEvlllT_PT11_llS4_llS2_PT12_llPT13_lli,comdat
	.globl	_ZN12_GLOBAL__N_135rocblas_gemm_batched_general_kernelIfLi16ELi16ELi32ELi32ELi8ELi32ELi8ELi8ELi32ELc84ELc67EKDF16_S1_DF16_EEvlllT_PT11_llS4_llS2_PT12_llPT13_lli ; -- Begin function _ZN12_GLOBAL__N_135rocblas_gemm_batched_general_kernelIfLi16ELi16ELi32ELi32ELi8ELi32ELi8ELi8ELi32ELc84ELc67EKDF16_S1_DF16_EEvlllT_PT11_llS4_llS2_PT12_llPT13_lli
	.p2align	8
	.type	_ZN12_GLOBAL__N_135rocblas_gemm_batched_general_kernelIfLi16ELi16ELi32ELi32ELi8ELi32ELi8ELi8ELi32ELc84ELc67EKDF16_S1_DF16_EEvlllT_PT11_llS4_llS2_PT12_llPT13_lli,@function
_ZN12_GLOBAL__N_135rocblas_gemm_batched_general_kernelIfLi16ELi16ELi32ELi32ELi8ELi32ELi8ELi8ELi32ELc84ELc67EKDF16_S1_DF16_EEvlllT_PT11_llS4_llS2_PT12_llPT13_lli: ; @_ZN12_GLOBAL__N_135rocblas_gemm_batched_general_kernelIfLi16ELi16ELi32ELi32ELi8ELi32ELi8ELi8ELi32ELc84ELc67EKDF16_S1_DF16_EEvlllT_PT11_llS4_llS2_PT12_llPT13_lli
; %bb.0:
	s_clause 0x1
	s_load_dwordx2 s[10:11], s[4:5], 0x10
	s_load_dwordx4 s[20:23], s[4:5], 0x0
	s_mov_b32 s0, s7
	v_mov_b32_e32 v10, 0
	v_mov_b32_e32 v9, 0
	;; [unrolled: 1-line block ×4, first 2 shown]
	s_ashr_i32 s7, s6, 31
	s_ashr_i32 s1, s0, 31
	s_lshl_b64 s[6:7], s[6:7], 5
	s_waitcnt lgkmcnt(0)
	v_cmp_lt_i64_e64 s2, s[10:11], 1
	s_and_b32 vcc_lo, exec_lo, s2
	s_lshl_b64 s[2:3], s[0:1], 5
	s_cbranch_vccnz .LBB389_7
; %bb.1:
	s_clause 0x1
	s_load_dwordx4 s[24:27], s[4:5], 0x40
	s_load_dwordx8 s[12:19], s[4:5], 0x20
	v_lshl_add_u32 v2, v1, 4, v0
	v_and_b32_e32 v6, 7, v0
	v_mov_b32_e32 v3, s7
	s_lshl_b64 s[28:29], s[0:1], 6
	v_mov_b32_e32 v7, 0
	v_and_b32_e32 v14, 31, v2
	v_lshrrev_b32_e32 v10, 3, v2
	v_lshrrev_b32_e32 v13, 5, v2
	v_lshlrev_b32_e32 v15, 2, v6
	v_lshlrev_b32_e32 v11, 2, v0
	v_or_b32_e32 v2, s6, v14
	v_add_co_u32 v8, s0, v10, s2
	v_add_co_ci_u32_e64 v9, null, 0, s3, s0
	v_add_co_u32 v17, s0, s6, v14
	v_add_co_ci_u32_e64 v18, null, s7, 0, s0
	s_waitcnt lgkmcnt(0)
	v_mad_u64_u32 v[4:5], null, s24, v6, 0
	v_cmp_gt_i64_e64 s0, s[20:21], v[2:3]
	v_cmp_gt_i64_e64 s1, s[22:23], v[8:9]
	v_mul_lo_u32 v8, s15, v17
	v_mul_lo_u32 v9, s14, v18
	s_mul_i32 s9, s27, s8
	s_mul_hi_u32 s27, s26, s8
	v_mad_u64_u32 v[2:3], null, s25, v6, v[5:6]
	s_mul_i32 s26, s26, s8
	s_add_i32 s27, s27, s9
	s_mul_i32 s9, s17, s8
	s_mul_hi_u32 s17, s16, s8
	v_lshlrev_b32_e32 v16, 2, v14
	v_lshl_or_b32 v15, v10, 5, v15
	v_mov_b32_e32 v5, v2
	v_mad_u64_u32 v[2:3], null, s14, v17, 0
	s_lshl_b64 s[14:15], s[26:27], 1
	v_lshl_add_u32 v12, v1, 5, 0x400
	v_lshlrev_b64 v[4:5], 1, v[4:5]
	s_add_u32 s14, s28, s14
	s_addc_u32 s15, s29, s15
	v_lshl_or_b32 v14, v13, 7, v16
	v_add3_u32 v3, v3, v9, v8
	v_lshlrev_b32_e32 v8, 1, v10
	v_add_co_u32 v4, vcc_lo, s14, v4
	v_add_co_ci_u32_e64 v5, null, s15, v5, vcc_lo
	v_lshlrev_b64 v[2:3], 1, v[2:3]
	s_add_i32 s15, s17, s9
	s_mul_i32 s14, s16, s8
	v_lshlrev_b32_e32 v9, 1, v13
	s_lshl_b64 s[14:15], s[14:15], 1
	v_add_nc_u32_e32 v15, 0x400, v15
	v_add_co_u32 v2, vcc_lo, v2, s14
	v_add_co_ci_u32_e64 v3, null, s15, v3, vcc_lo
	v_add_co_u32 v4, vcc_lo, v4, v8
	v_add_co_ci_u32_e64 v5, null, 0, v5, vcc_lo
	v_add_co_u32 v8, vcc_lo, v2, v9
	v_add_co_ci_u32_e64 v9, null, 0, v3, vcc_lo
	v_add_co_u32 v2, vcc_lo, s18, v4
	v_add_co_ci_u32_e64 v3, null, s19, v5, vcc_lo
	v_add_co_u32 v4, vcc_lo, s12, v8
	v_add_co_ci_u32_e64 v5, null, s13, v9, vcc_lo
	v_mov_b32_e32 v8, 0
	v_mov_b32_e32 v9, 0
	;; [unrolled: 1-line block ×3, first 2 shown]
	s_lshl_b64 s[12:13], s[24:25], 4
	s_mov_b64 s[14:15], 0
	s_branch .LBB389_3
.LBB389_2:                              ;   in Loop: Header=BB389_3 Depth=1
	s_or_b32 exec_lo, exec_lo, s9
	ds_write_b32 v15, v17
	s_waitcnt lgkmcnt(0)
	s_barrier
	buffer_gl0_inv
	ds_read_b128 v[16:19], v12
	ds_read2_b32 v[32:33], v11 offset1:16
	ds_read_b128 v[20:23], v12 offset:512
	ds_read2_b32 v[34:35], v11 offset0:32 offset1:48
	ds_read2_b32 v[36:37], v11 offset0:64 offset1:80
	ds_read2_b32 v[38:39], v11 offset0:96 offset1:112
	ds_read_b128 v[24:27], v12 offset:16
	ds_read2_b32 v[40:41], v11 offset0:128 offset1:144
	ds_read_b128 v[28:31], v12 offset:528
	ds_read2_b32 v[42:43], v11 offset0:160 offset1:176
	s_add_u32 s14, s14, 8
	s_addc_u32 s15, s15, 0
	v_add_co_u32 v2, vcc_lo, v2, s12
	v_cmp_lt_i64_e64 s9, s[14:15], s[10:11]
	v_add_co_ci_u32_e64 v3, null, s13, v3, vcc_lo
	v_add_co_u32 v4, vcc_lo, v4, 16
	v_add_co_ci_u32_e64 v5, null, 0, v5, vcc_lo
	s_waitcnt lgkmcnt(8)
	v_fmac_f32_e32 v10, v32, v16
	v_fmac_f32_e32 v9, v33, v16
	s_waitcnt lgkmcnt(7)
	v_fmac_f32_e32 v8, v32, v20
	v_fmac_f32_e32 v7, v33, v20
	ds_read2_b32 v[32:33], v11 offset0:192 offset1:208
	s_waitcnt lgkmcnt(7)
	v_fmac_f32_e32 v10, v34, v17
	v_fmac_f32_e32 v9, v35, v17
	;; [unrolled: 1-line block ×4, first 2 shown]
	ds_read2_b32 v[16:17], v11 offset0:224 offset1:240
	s_waitcnt lgkmcnt(7)
	v_fmac_f32_e32 v10, v36, v18
	v_fmac_f32_e32 v9, v37, v18
	v_fmac_f32_e32 v8, v36, v22
	v_fmac_f32_e32 v7, v37, v22
	s_and_b32 vcc_lo, exec_lo, s9
	s_waitcnt lgkmcnt(6)
	v_fmac_f32_e32 v10, v38, v19
	v_fmac_f32_e32 v9, v39, v19
	;; [unrolled: 1-line block ×4, first 2 shown]
	s_waitcnt lgkmcnt(0)
	v_fmac_f32_e32 v10, v40, v24
	v_fmac_f32_e32 v9, v41, v24
	;; [unrolled: 1-line block ×4, first 2 shown]
	s_barrier
	v_fmac_f32_e32 v10, v42, v25
	v_fmac_f32_e32 v9, v43, v25
	v_fmac_f32_e32 v8, v42, v29
	v_fmac_f32_e32 v7, v43, v29
	buffer_gl0_inv
	v_fmac_f32_e32 v10, v32, v26
	v_fmac_f32_e32 v9, v33, v26
	;; [unrolled: 1-line block ×8, first 2 shown]
	s_cbranch_vccz .LBB389_7
.LBB389_3:                              ; =>This Inner Loop Header: Depth=1
	v_add_co_u32 v16, s9, v13, s14
	v_add_co_ci_u32_e64 v17, null, 0, s15, s9
	v_cmp_gt_i64_e32 vcc_lo, s[10:11], v[16:17]
	v_mov_b32_e32 v16, 0
	s_and_b32 s16, s0, vcc_lo
	s_and_saveexec_b32 s9, s16
	s_cbranch_execz .LBB389_5
; %bb.4:                                ;   in Loop: Header=BB389_3 Depth=1
	global_load_ushort v16, v[4:5], off
	s_waitcnt vmcnt(0)
	v_cvt_f32_f16_e32 v16, v16
.LBB389_5:                              ;   in Loop: Header=BB389_3 Depth=1
	s_or_b32 exec_lo, exec_lo, s9
	v_add_co_u32 v17, s9, v6, s14
	v_add_co_ci_u32_e64 v18, null, 0, s15, s9
	ds_write_b32 v14, v16
	v_cmp_gt_i64_e32 vcc_lo, s[10:11], v[17:18]
	v_mov_b32_e32 v17, 0
	s_and_b32 s16, vcc_lo, s1
	s_and_saveexec_b32 s9, s16
	s_cbranch_execz .LBB389_2
; %bb.6:                                ;   in Loop: Header=BB389_3 Depth=1
	global_load_ushort v16, v[2:3], off
	s_waitcnt vmcnt(0)
	v_cvt_f32_f16_e32 v17, v16
	s_branch .LBB389_2
.LBB389_7:
	s_clause 0x3
	s_load_dwordx4 s[24:27], s[4:5], 0x78
	s_load_dword s9, s[4:5], 0x50
	s_load_dwordx8 s[12:19], s[4:5], 0x58
	s_load_dword s4, s[4:5], 0x18
	v_add_co_u32 v1, s0, s2, v1
	v_add_co_ci_u32_e64 v2, null, s3, 0, s0
	s_waitcnt lgkmcnt(0)
	s_mul_i32 s1, s27, s8
	s_mul_hi_u32 s2, s26, s8
	s_mul_i32 s0, s26, s8
	s_add_i32 s1, s2, s1
	v_cmp_neq_f32_e64 s2, s9, 0
	s_lshl_b64 s[10:11], s[0:1], 1
	v_cmp_gt_i64_e64 s0, s[22:23], v[1:2]
	s_add_u32 s3, s18, s10
	s_addc_u32 s5, s19, s11
	s_and_b32 vcc_lo, exec_lo, s2
	s_cbranch_vccnz .LBB389_20
; %bb.8:
	s_and_saveexec_b32 s10, s0
	s_cbranch_execz .LBB389_18
; %bb.9:
	v_mul_lo_u32 v5, v2, s24
	v_mul_lo_u32 v6, v1, s25
	v_mad_u64_u32 v[3:4], null, v1, s24, 0
	v_add3_u32 v4, v4, v6, v5
	v_add_co_u32 v5, s1, s6, v0
	v_add_co_ci_u32_e64 v6, null, s7, 0, s1
	v_lshlrev_b64 v[11:12], 1, v[3:4]
	v_cmp_gt_i64_e32 vcc_lo, s[20:21], v[5:6]
	v_lshlrev_b64 v[3:4], 1, v[5:6]
	v_add_co_u32 v11, s1, s3, v11
	v_add_co_ci_u32_e64 v12, null, s5, v12, s1
	s_and_saveexec_b32 s2, vcc_lo
	s_cbranch_execz .LBB389_11
; %bb.10:
	v_add_co_u32 v13, s1, v11, v3
	v_add_co_ci_u32_e64 v14, null, v12, v4, s1
	v_fma_mixlo_f16 v15, s4, v10, 0
	global_store_short v[13:14], v15, off
.LBB389_11:
	s_or_b32 exec_lo, exec_lo, s2
	v_add_co_u32 v5, s1, v5, 16
	v_add_co_ci_u32_e64 v6, null, 0, v6, s1
	v_cmp_gt_i64_e64 s1, s[20:21], v[5:6]
	s_and_saveexec_b32 s11, s1
	s_cbranch_execz .LBB389_13
; %bb.12:
	v_add_co_u32 v5, s2, v11, v3
	v_add_co_ci_u32_e64 v6, null, v12, v4, s2
	v_fma_mixlo_f16 v13, s4, v9, 0
	global_store_short v[5:6], v13, off offset:32
.LBB389_13:
	s_or_b32 exec_lo, exec_lo, s11
	v_add_co_u32 v5, s2, v1, 16
	v_add_co_ci_u32_e64 v6, null, 0, v2, s2
	v_cmp_gt_i64_e64 s2, s[22:23], v[5:6]
	s_and_b32 exec_lo, exec_lo, s2
	s_cbranch_execz .LBB389_18
; %bb.14:
	s_lshl_b64 s[18:19], s[24:25], 5
	v_add_co_u32 v5, s2, v11, s18
	v_add_co_ci_u32_e64 v6, null, s19, v12, s2
	v_add_co_u32 v3, s2, v5, v3
	v_add_co_ci_u32_e64 v4, null, v6, v4, s2
	s_and_saveexec_b32 s2, vcc_lo
	s_cbranch_execz .LBB389_16
; %bb.15:
	v_fma_mixlo_f16 v5, s4, v8, 0
	global_store_short v[3:4], v5, off
.LBB389_16:
	s_or_b32 exec_lo, exec_lo, s2
	s_and_b32 exec_lo, exec_lo, s1
	s_cbranch_execz .LBB389_18
; %bb.17:
	v_fma_mixlo_f16 v5, s4, v7, 0
	global_store_short v[3:4], v5, off offset:32
.LBB389_18:
	s_or_b32 exec_lo, exec_lo, s10
	s_cbranch_execz .LBB389_21
.LBB389_19:
	s_endpgm
.LBB389_20:
.LBB389_21:
	s_and_saveexec_b32 s1, s0
	s_cbranch_execz .LBB389_19
; %bb.22:
	v_mul_lo_u32 v5, v2, s14
	v_mul_lo_u32 v6, v1, s15
	v_mad_u64_u32 v[3:4], null, v1, s14, 0
	v_mul_lo_u32 v13, v2, s24
	v_mul_lo_u32 v14, v1, s25
	v_mad_u64_u32 v[11:12], null, v1, s24, 0
	s_mul_i32 s0, s17, s8
	s_mul_hi_u32 s1, s16, s8
	v_add3_u32 v4, v4, v6, v5
	s_add_i32 s1, s1, s0
	s_mul_i32 s0, s16, s8
	v_add_co_u32 v5, s2, s6, v0
	v_add3_u32 v12, v12, v14, v13
	v_lshlrev_b64 v[3:4], 1, v[3:4]
	s_lshl_b64 s[0:1], s[0:1], 1
	v_add_co_ci_u32_e64 v6, null, s7, 0, s2
	v_lshlrev_b64 v[12:13], 1, v[11:12]
	s_add_u32 s0, s12, s0
	s_addc_u32 s1, s13, s1
	v_add_co_u32 v0, s0, s0, v3
	v_add_co_ci_u32_e64 v11, null, s1, v4, s0
	v_add_co_u32 v12, s0, s3, v12
	v_cmp_gt_i64_e32 vcc_lo, s[20:21], v[5:6]
	v_lshlrev_b64 v[3:4], 1, v[5:6]
	v_add_co_ci_u32_e64 v13, null, s5, v13, s0
	s_and_saveexec_b32 s1, vcc_lo
	s_cbranch_execz .LBB389_24
; %bb.23:
	v_add_co_u32 v14, s0, v0, v3
	v_add_co_ci_u32_e64 v15, null, v11, v4, s0
	global_load_ushort v14, v[14:15], off
	s_waitcnt vmcnt(0)
	v_cvt_f32_f16_e32 v14, v14
	v_mul_f32_e32 v14, s9, v14
	v_fma_mixlo_f16 v10, s4, v10, v14
	v_add_co_u32 v14, s0, v12, v3
	v_add_co_ci_u32_e64 v15, null, v13, v4, s0
	global_store_short v[14:15], v10, off
.LBB389_24:
	s_or_b32 exec_lo, exec_lo, s1
	v_add_co_u32 v5, s0, v5, 16
	v_add_co_ci_u32_e64 v6, null, 0, v6, s0
	v_cmp_gt_i64_e64 s0, s[20:21], v[5:6]
	s_and_saveexec_b32 s2, s0
	s_cbranch_execz .LBB389_26
; %bb.25:
	v_add_co_u32 v5, s1, v0, v3
	v_add_co_ci_u32_e64 v6, null, v11, v4, s1
	global_load_ushort v5, v[5:6], off offset:32
	s_waitcnt vmcnt(0)
	v_cvt_f32_f16_e32 v5, v5
	v_mul_f32_e32 v5, s9, v5
	v_fma_mixlo_f16 v9, s4, v9, v5
	v_add_co_u32 v5, s1, v12, v3
	v_add_co_ci_u32_e64 v6, null, v13, v4, s1
	global_store_short v[5:6], v9, off offset:32
.LBB389_26:
	s_or_b32 exec_lo, exec_lo, s2
	v_add_co_u32 v1, s1, v1, 16
	v_add_co_ci_u32_e64 v2, null, 0, v2, s1
	v_cmp_gt_i64_e64 s1, s[22:23], v[1:2]
	s_and_b32 exec_lo, exec_lo, s1
	s_cbranch_execz .LBB389_19
; %bb.27:
	s_lshl_b64 s[2:3], s[14:15], 5
	v_add_co_u32 v0, s1, v0, s2
	v_add_co_ci_u32_e64 v1, null, s3, v11, s1
	s_lshl_b64 s[2:3], s[24:25], 5
	v_add_co_u32 v2, s1, v12, s2
	v_add_co_ci_u32_e64 v5, null, s3, v13, s1
	v_add_co_u32 v0, s1, v0, v3
	v_add_co_ci_u32_e64 v1, null, v1, v4, s1
	;; [unrolled: 2-line block ×3, first 2 shown]
	s_and_saveexec_b32 s1, vcc_lo
	s_cbranch_execz .LBB389_29
; %bb.28:
	global_load_ushort v4, v[0:1], off
	s_waitcnt vmcnt(0)
	v_cvt_f32_f16_e32 v4, v4
	v_mul_f32_e32 v4, s9, v4
	v_fma_mixlo_f16 v4, s4, v8, v4
	global_store_short v[2:3], v4, off
.LBB389_29:
	s_or_b32 exec_lo, exec_lo, s1
	s_and_b32 exec_lo, exec_lo, s0
	s_cbranch_execz .LBB389_19
; %bb.30:
	global_load_ushort v0, v[0:1], off offset:32
	s_waitcnt vmcnt(0)
	v_cvt_f32_f16_e32 v0, v0
	v_mul_f32_e32 v0, s9, v0
	v_fma_mixlo_f16 v0, s4, v7, v0
	global_store_short v[2:3], v0, off offset:32
	s_endpgm
	.section	.rodata,"a",@progbits
	.p2align	6, 0x0
	.amdhsa_kernel _ZN12_GLOBAL__N_135rocblas_gemm_batched_general_kernelIfLi16ELi16ELi32ELi32ELi8ELi32ELi8ELi8ELi32ELc84ELc67EKDF16_S1_DF16_EEvlllT_PT11_llS4_llS2_PT12_llPT13_lli
		.amdhsa_group_segment_fixed_size 2048
		.amdhsa_private_segment_fixed_size 0
		.amdhsa_kernarg_size 140
		.amdhsa_user_sgpr_count 6
		.amdhsa_user_sgpr_private_segment_buffer 1
		.amdhsa_user_sgpr_dispatch_ptr 0
		.amdhsa_user_sgpr_queue_ptr 0
		.amdhsa_user_sgpr_kernarg_segment_ptr 1
		.amdhsa_user_sgpr_dispatch_id 0
		.amdhsa_user_sgpr_flat_scratch_init 0
		.amdhsa_user_sgpr_private_segment_size 0
		.amdhsa_wavefront_size32 1
		.amdhsa_uses_dynamic_stack 0
		.amdhsa_system_sgpr_private_segment_wavefront_offset 0
		.amdhsa_system_sgpr_workgroup_id_x 1
		.amdhsa_system_sgpr_workgroup_id_y 1
		.amdhsa_system_sgpr_workgroup_id_z 1
		.amdhsa_system_sgpr_workgroup_info 0
		.amdhsa_system_vgpr_workitem_id 1
		.amdhsa_next_free_vgpr 44
		.amdhsa_next_free_sgpr 30
		.amdhsa_reserve_vcc 1
		.amdhsa_reserve_flat_scratch 0
		.amdhsa_float_round_mode_32 0
		.amdhsa_float_round_mode_16_64 0
		.amdhsa_float_denorm_mode_32 3
		.amdhsa_float_denorm_mode_16_64 3
		.amdhsa_dx10_clamp 1
		.amdhsa_ieee_mode 1
		.amdhsa_fp16_overflow 0
		.amdhsa_workgroup_processor_mode 1
		.amdhsa_memory_ordered 1
		.amdhsa_forward_progress 1
		.amdhsa_shared_vgpr_count 0
		.amdhsa_exception_fp_ieee_invalid_op 0
		.amdhsa_exception_fp_denorm_src 0
		.amdhsa_exception_fp_ieee_div_zero 0
		.amdhsa_exception_fp_ieee_overflow 0
		.amdhsa_exception_fp_ieee_underflow 0
		.amdhsa_exception_fp_ieee_inexact 0
		.amdhsa_exception_int_div_zero 0
	.end_amdhsa_kernel
	.section	.text._ZN12_GLOBAL__N_135rocblas_gemm_batched_general_kernelIfLi16ELi16ELi32ELi32ELi8ELi32ELi8ELi8ELi32ELc84ELc67EKDF16_S1_DF16_EEvlllT_PT11_llS4_llS2_PT12_llPT13_lli,"axG",@progbits,_ZN12_GLOBAL__N_135rocblas_gemm_batched_general_kernelIfLi16ELi16ELi32ELi32ELi8ELi32ELi8ELi8ELi32ELc84ELc67EKDF16_S1_DF16_EEvlllT_PT11_llS4_llS2_PT12_llPT13_lli,comdat
.Lfunc_end389:
	.size	_ZN12_GLOBAL__N_135rocblas_gemm_batched_general_kernelIfLi16ELi16ELi32ELi32ELi8ELi32ELi8ELi8ELi32ELc84ELc67EKDF16_S1_DF16_EEvlllT_PT11_llS4_llS2_PT12_llPT13_lli, .Lfunc_end389-_ZN12_GLOBAL__N_135rocblas_gemm_batched_general_kernelIfLi16ELi16ELi32ELi32ELi8ELi32ELi8ELi8ELi32ELc84ELc67EKDF16_S1_DF16_EEvlllT_PT11_llS4_llS2_PT12_llPT13_lli
                                        ; -- End function
	.set _ZN12_GLOBAL__N_135rocblas_gemm_batched_general_kernelIfLi16ELi16ELi32ELi32ELi8ELi32ELi8ELi8ELi32ELc84ELc67EKDF16_S1_DF16_EEvlllT_PT11_llS4_llS2_PT12_llPT13_lli.num_vgpr, 44
	.set _ZN12_GLOBAL__N_135rocblas_gemm_batched_general_kernelIfLi16ELi16ELi32ELi32ELi8ELi32ELi8ELi8ELi32ELc84ELc67EKDF16_S1_DF16_EEvlllT_PT11_llS4_llS2_PT12_llPT13_lli.num_agpr, 0
	.set _ZN12_GLOBAL__N_135rocblas_gemm_batched_general_kernelIfLi16ELi16ELi32ELi32ELi8ELi32ELi8ELi8ELi32ELc84ELc67EKDF16_S1_DF16_EEvlllT_PT11_llS4_llS2_PT12_llPT13_lli.numbered_sgpr, 30
	.set _ZN12_GLOBAL__N_135rocblas_gemm_batched_general_kernelIfLi16ELi16ELi32ELi32ELi8ELi32ELi8ELi8ELi32ELc84ELc67EKDF16_S1_DF16_EEvlllT_PT11_llS4_llS2_PT12_llPT13_lli.num_named_barrier, 0
	.set _ZN12_GLOBAL__N_135rocblas_gemm_batched_general_kernelIfLi16ELi16ELi32ELi32ELi8ELi32ELi8ELi8ELi32ELc84ELc67EKDF16_S1_DF16_EEvlllT_PT11_llS4_llS2_PT12_llPT13_lli.private_seg_size, 0
	.set _ZN12_GLOBAL__N_135rocblas_gemm_batched_general_kernelIfLi16ELi16ELi32ELi32ELi8ELi32ELi8ELi8ELi32ELc84ELc67EKDF16_S1_DF16_EEvlllT_PT11_llS4_llS2_PT12_llPT13_lli.uses_vcc, 1
	.set _ZN12_GLOBAL__N_135rocblas_gemm_batched_general_kernelIfLi16ELi16ELi32ELi32ELi8ELi32ELi8ELi8ELi32ELc84ELc67EKDF16_S1_DF16_EEvlllT_PT11_llS4_llS2_PT12_llPT13_lli.uses_flat_scratch, 0
	.set _ZN12_GLOBAL__N_135rocblas_gemm_batched_general_kernelIfLi16ELi16ELi32ELi32ELi8ELi32ELi8ELi8ELi32ELc84ELc67EKDF16_S1_DF16_EEvlllT_PT11_llS4_llS2_PT12_llPT13_lli.has_dyn_sized_stack, 0
	.set _ZN12_GLOBAL__N_135rocblas_gemm_batched_general_kernelIfLi16ELi16ELi32ELi32ELi8ELi32ELi8ELi8ELi32ELc84ELc67EKDF16_S1_DF16_EEvlllT_PT11_llS4_llS2_PT12_llPT13_lli.has_recursion, 0
	.set _ZN12_GLOBAL__N_135rocblas_gemm_batched_general_kernelIfLi16ELi16ELi32ELi32ELi8ELi32ELi8ELi8ELi32ELc84ELc67EKDF16_S1_DF16_EEvlllT_PT11_llS4_llS2_PT12_llPT13_lli.has_indirect_call, 0
	.section	.AMDGPU.csdata,"",@progbits
; Kernel info:
; codeLenInByte = 1948
; TotalNumSgprs: 32
; NumVgprs: 44
; ScratchSize: 0
; MemoryBound: 0
; FloatMode: 240
; IeeeMode: 1
; LDSByteSize: 2048 bytes/workgroup (compile time only)
; SGPRBlocks: 0
; VGPRBlocks: 5
; NumSGPRsForWavesPerEU: 32
; NumVGPRsForWavesPerEU: 44
; Occupancy: 16
; WaveLimiterHint : 0
; COMPUTE_PGM_RSRC2:SCRATCH_EN: 0
; COMPUTE_PGM_RSRC2:USER_SGPR: 6
; COMPUTE_PGM_RSRC2:TRAP_HANDLER: 0
; COMPUTE_PGM_RSRC2:TGID_X_EN: 1
; COMPUTE_PGM_RSRC2:TGID_Y_EN: 1
; COMPUTE_PGM_RSRC2:TGID_Z_EN: 1
; COMPUTE_PGM_RSRC2:TIDIG_COMP_CNT: 1
	.section	.text._ZN12_GLOBAL__N_127rocblas_gemm_batched_kernelIfLi16ELi16ELi64ELi64ELi4ELi64ELi4ELi4ELi64ELc78ELc78EKDF16_KffEEvlllT_PT11_llS5_llS3_PT12_llPT13_lli,"axG",@progbits,_ZN12_GLOBAL__N_127rocblas_gemm_batched_kernelIfLi16ELi16ELi64ELi64ELi4ELi64ELi4ELi4ELi64ELc78ELc78EKDF16_KffEEvlllT_PT11_llS5_llS3_PT12_llPT13_lli,comdat
	.globl	_ZN12_GLOBAL__N_127rocblas_gemm_batched_kernelIfLi16ELi16ELi64ELi64ELi4ELi64ELi4ELi4ELi64ELc78ELc78EKDF16_KffEEvlllT_PT11_llS5_llS3_PT12_llPT13_lli ; -- Begin function _ZN12_GLOBAL__N_127rocblas_gemm_batched_kernelIfLi16ELi16ELi64ELi64ELi4ELi64ELi4ELi4ELi64ELc78ELc78EKDF16_KffEEvlllT_PT11_llS5_llS3_PT12_llPT13_lli
	.p2align	8
	.type	_ZN12_GLOBAL__N_127rocblas_gemm_batched_kernelIfLi16ELi16ELi64ELi64ELi4ELi64ELi4ELi4ELi64ELc78ELc78EKDF16_KffEEvlllT_PT11_llS5_llS3_PT12_llPT13_lli,@function
_ZN12_GLOBAL__N_127rocblas_gemm_batched_kernelIfLi16ELi16ELi64ELi64ELi4ELi64ELi4ELi4ELi64ELc78ELc78EKDF16_KffEEvlllT_PT11_llS5_llS3_PT12_llPT13_lli: ; @_ZN12_GLOBAL__N_127rocblas_gemm_batched_kernelIfLi16ELi16ELi64ELi64ELi4ELi64ELi4ELi4ELi64ELc78ELc78EKDF16_KffEEvlllT_PT11_llS5_llS3_PT12_llPT13_lli
; %bb.0:
	s_load_dwordx2 s[20:21], s[4:5], 0x10
	s_mov_b32 s0, s7
	v_mov_b32_e32 v19, 0
	v_mov_b32_e32 v21, 0
	;; [unrolled: 1-line block ×16, first 2 shown]
	s_ashr_i32 s7, s6, 31
	s_ashr_i32 s1, s0, 31
	s_waitcnt lgkmcnt(0)
	v_cmp_lt_i64_e64 s2, s[20:21], 1
	s_lshl_b64 s[6:7], s[6:7], 6
	s_lshl_b64 s[10:11], s[0:1], 6
	s_and_b32 vcc_lo, exec_lo, s2
	s_cbranch_vccnz .LBB390_3
; %bb.1:
	v_lshlrev_b32_e32 v4, 4, v1
	s_clause 0x1
	s_load_dwordx4 s[0:3], s[4:5], 0x40
	s_load_dwordx8 s[12:19], s[4:5], 0x20
	v_and_b32_e32 v7, 3, v0
	v_lshlrev_b32_e32 v22, 2, v0
	v_add_nc_u32_e32 v2, v4, v0
	v_add_nc_u32_e32 v23, 0x400, v4
	v_mov_b32_e32 v14, 0
	v_lshlrev_b32_e32 v8, 2, v7
	v_mov_b32_e32 v15, 0
	v_lshrrev_b32_e32 v5, 2, v2
	v_and_b32_e32 v9, 63, v2
	v_lshrrev_b32_e32 v10, 6, v2
	v_mov_b32_e32 v16, 0
	v_mov_b32_e32 v17, 0
	v_add_co_u32 v3, s9, v5, s10
	v_add_co_ci_u32_e64 v6, null, 0, s11, s9
	v_lshl_or_b32 v5, v5, 4, v8
	v_lshlrev_b32_e32 v13, 2, v9
	s_waitcnt lgkmcnt(0)
	v_mul_lo_u32 v11, s1, v3
	v_mul_lo_u32 v12, s0, v6
	v_mad_u64_u32 v[2:3], null, s0, v3, 0
	v_add_nc_u32_e32 v25, 0x400, v5
	v_mad_u64_u32 v[4:5], null, s14, v10, s[6:7]
	s_mul_i32 s1, s3, s8
	s_mul_hi_u32 s3, s2, s8
	s_mul_i32 s0, s2, s8
	v_add3_u32 v3, v3, v12, v11
	s_add_i32 s1, s3, s1
	v_mov_b32_e32 v6, 0
	s_lshl_b64 s[0:1], s[0:1], 1
	s_mul_i32 s2, s17, s8
	v_lshlrev_b64 v[2:3], 1, v[2:3]
	v_lshl_or_b32 v24, v10, 8, v13
	v_mov_b32_e32 v12, 0
	v_mov_b32_e32 v13, 0
	;; [unrolled: 1-line block ×4, first 2 shown]
	v_add_co_u32 v8, vcc_lo, v2, s0
	v_add_co_ci_u32_e64 v11, null, s1, v3, vcc_lo
	v_mad_u64_u32 v[2:3], null, s15, v10, v[5:6]
	v_add_co_u32 v3, vcc_lo, v4, v9
	v_lshlrev_b32_e32 v5, 1, v7
	s_mul_hi_u32 s0, s16, s8
	v_mov_b32_e32 v9, 0
	s_add_i32 s1, s0, s2
	v_add_co_ci_u32_e64 v4, null, 0, v2, vcc_lo
	v_add_co_u32 v2, vcc_lo, v8, v5
	s_mul_i32 s0, s16, s8
	v_lshlrev_b64 v[4:5], 1, v[3:4]
	v_add_co_ci_u32_e64 v7, null, 0, v11, vcc_lo
	s_lshl_b64 s[0:1], s[0:1], 1
	v_add_co_u32 v2, vcc_lo, s18, v2
	s_add_u32 s0, s12, s0
	v_add_co_ci_u32_e64 v3, null, s19, v7, vcc_lo
	s_addc_u32 s1, s13, s1
	v_add_co_u32 v4, vcc_lo, s0, v4
	v_add_co_ci_u32_e64 v5, null, s1, v5, vcc_lo
	v_mov_b32_e32 v7, 0
	v_mov_b32_e32 v8, 0
	;; [unrolled: 1-line block ×6, first 2 shown]
	s_lshl_b64 s[0:1], s[14:15], 3
	s_mov_b64 s[2:3], 0
.LBB390_2:                              ; =>This Inner Loop Header: Depth=1
	global_load_ushort v26, v[4:5], off
	global_load_ushort v27, v[2:3], off
	s_add_u32 s2, s2, 4
	s_addc_u32 s3, s3, 0
	v_add_co_u32 v2, vcc_lo, v2, 8
	v_cmp_lt_i64_e64 s9, s[2:3], s[20:21]
	v_add_co_ci_u32_e64 v3, null, 0, v3, vcc_lo
	v_add_co_u32 v4, vcc_lo, v4, s0
	v_add_co_ci_u32_e64 v5, null, s1, v5, vcc_lo
	s_and_b32 vcc_lo, exec_lo, s9
	s_waitcnt vmcnt(1)
	v_cvt_f32_f16_e32 v26, v26
	s_waitcnt vmcnt(0)
	v_cvt_f32_f16_e32 v27, v27
	ds_write_b32 v24, v26
	ds_write_b32 v25, v27
	s_waitcnt lgkmcnt(0)
	s_barrier
	buffer_gl0_inv
	ds_read_b128 v[26:29], v23
	ds_read2_b32 v[42:43], v22 offset1:16
	ds_read2_b32 v[44:45], v22 offset0:32 offset1:48
	ds_read_b128 v[30:33], v23 offset:256
	ds_read_b128 v[34:37], v23 offset:512
	;; [unrolled: 1-line block ×3, first 2 shown]
	ds_read2_b32 v[46:47], v22 offset0:64 offset1:80
	ds_read2_b32 v[48:49], v22 offset0:96 offset1:112
	ds_read2_b32 v[50:51], v22 offset0:128 offset1:144
	ds_read2_b32 v[52:53], v22 offset0:160 offset1:176
	ds_read2_b32 v[54:55], v22 offset0:192 offset1:208
	ds_read2_b32 v[56:57], v22 offset0:224 offset1:240
	s_waitcnt lgkmcnt(0)
	s_barrier
	buffer_gl0_inv
	v_fmac_f32_e32 v19, v42, v26
	v_fmac_f32_e32 v21, v43, v26
	v_fmac_f32_e32 v20, v44, v26
	v_fmac_f32_e32 v18, v45, v26
	v_fmac_f32_e32 v17, v42, v30
	v_fmac_f32_e32 v16, v43, v30
	v_fmac_f32_e32 v15, v44, v30
	v_fmac_f32_e32 v14, v45, v30
	v_fmac_f32_e32 v13, v42, v34
	v_fmac_f32_e32 v12, v43, v34
	v_fmac_f32_e32 v11, v44, v34
	v_fmac_f32_e32 v10, v45, v34
	v_fmac_f32_e32 v9, v42, v38
	v_fmac_f32_e32 v8, v43, v38
	v_fmac_f32_e32 v7, v44, v38
	v_fmac_f32_e32 v6, v45, v38
	v_fmac_f32_e32 v19, v46, v27
	v_fmac_f32_e32 v21, v47, v27
	v_fmac_f32_e32 v20, v48, v27
	v_fmac_f32_e32 v18, v49, v27
	v_fmac_f32_e32 v17, v46, v31
	v_fmac_f32_e32 v16, v47, v31
	v_fmac_f32_e32 v15, v48, v31
	v_fmac_f32_e32 v14, v49, v31
	v_fmac_f32_e32 v13, v46, v35
	v_fmac_f32_e32 v12, v47, v35
	v_fmac_f32_e32 v11, v48, v35
	v_fmac_f32_e32 v10, v49, v35
	v_fmac_f32_e32 v9, v46, v39
	v_fmac_f32_e32 v8, v47, v39
	v_fmac_f32_e32 v7, v48, v39
	v_fmac_f32_e32 v6, v49, v39
	v_fmac_f32_e32 v19, v50, v28
	v_fmac_f32_e32 v21, v51, v28
	v_fmac_f32_e32 v20, v52, v28
	v_fmac_f32_e32 v18, v53, v28
	v_fmac_f32_e32 v17, v50, v32
	v_fmac_f32_e32 v16, v51, v32
	v_fmac_f32_e32 v15, v52, v32
	v_fmac_f32_e32 v14, v53, v32
	v_fmac_f32_e32 v13, v50, v36
	v_fmac_f32_e32 v12, v51, v36
	v_fmac_f32_e32 v11, v52, v36
	v_fmac_f32_e32 v10, v53, v36
	v_fmac_f32_e32 v9, v50, v40
	v_fmac_f32_e32 v8, v51, v40
	v_fmac_f32_e32 v7, v52, v40
	v_fmac_f32_e32 v6, v53, v40
	v_fmac_f32_e32 v19, v54, v29
	v_fmac_f32_e32 v21, v55, v29
	v_fmac_f32_e32 v20, v56, v29
	v_fmac_f32_e32 v18, v57, v29
	v_fmac_f32_e32 v17, v54, v33
	v_fmac_f32_e32 v16, v55, v33
	v_fmac_f32_e32 v15, v56, v33
	v_fmac_f32_e32 v14, v57, v33
	v_fmac_f32_e32 v13, v54, v37
	v_fmac_f32_e32 v12, v55, v37
	v_fmac_f32_e32 v11, v56, v37
	v_fmac_f32_e32 v10, v57, v37
	v_fmac_f32_e32 v9, v54, v41
	v_fmac_f32_e32 v8, v55, v41
	v_fmac_f32_e32 v7, v56, v41
	v_fmac_f32_e32 v6, v57, v41
	s_cbranch_vccnz .LBB390_2
.LBB390_3:
	s_clause 0x3
	s_load_dwordx4 s[0:3], s[4:5], 0x78
	s_load_dword s9, s[4:5], 0x50
	s_load_dwordx8 s[12:19], s[4:5], 0x58
	s_load_dword s4, s[4:5], 0x18
	v_add_co_u32 v3, s5, s6, v0
	v_add_co_ci_u32_e64 v4, null, s7, 0, s5
	v_add_co_u32 v2, s5, s10, v1
	v_add_co_ci_u32_e64 v5, null, s11, 0, s5
	v_lshlrev_b64 v[0:1], 2, v[3:4]
	s_waitcnt lgkmcnt(0)
	s_mul_i32 s3, s3, s8
	s_mul_hi_u32 s5, s2, s8
	v_mul_lo_u32 v3, v5, s0
	v_mul_lo_u32 v4, v2, s1
	s_mul_i32 s2, s2, s8
	v_cmp_neq_f32_e64 s6, s9, 0
	s_add_i32 s3, s5, s3
	s_mov_b32 s5, 0
	s_lshl_b64 s[2:3], s[2:3], 2
	s_add_u32 s2, s18, s2
	s_addc_u32 s3, s19, s3
	s_and_b32 vcc_lo, exec_lo, s6
	s_cbranch_vccnz .LBB390_7
; %bb.4:
	v_mad_u64_u32 v[22:23], null, v2, s0, 0
	s_lshl_b64 s[6:7], s[0:1], 6
	v_mul_f32_e32 v26, s4, v19
	v_mul_f32_e32 v27, s4, v21
	;; [unrolled: 1-line block ×5, first 2 shown]
	v_add3_u32 v23, v23, v4, v3
	v_mul_f32_e32 v31, s4, v16
	v_mul_f32_e32 v32, s4, v15
	;; [unrolled: 1-line block ×3, first 2 shown]
	v_lshlrev_b64 v[22:23], 2, v[22:23]
	v_add_co_u32 v22, vcc_lo, s2, v22
	v_add_co_ci_u32_e64 v23, null, s3, v23, vcc_lo
	v_add_co_u32 v34, vcc_lo, v22, s6
	v_add_co_ci_u32_e64 v35, null, s7, v23, vcc_lo
	;; [unrolled: 2-line block ×4, first 2 shown]
	global_store_dword v[22:23], v26, off
	global_store_dword v[22:23], v27, off offset:64
	global_store_dword v[22:23], v28, off offset:128
	;; [unrolled: 1-line block ×3, first 2 shown]
	global_store_dword v[24:25], v30, off
	global_store_dword v[24:25], v31, off offset:64
	v_add_co_u32 v26, vcc_lo, v34, s6
	v_add_co_ci_u32_e64 v27, null, s7, v35, vcc_lo
	v_mul_f32_e32 v28, s4, v13
	v_add_co_u32 v22, vcc_lo, v26, v0
	v_add_co_ci_u32_e64 v23, null, v27, v1, vcc_lo
	v_mul_f32_e32 v29, s4, v12
	v_mul_f32_e32 v30, s4, v11
	global_store_dword v[24:25], v32, off offset:128
	global_store_dword v[24:25], v33, off offset:192
	global_store_dword v[22:23], v28, off
	global_store_dword v[22:23], v29, off offset:64
	global_store_dword v[22:23], v30, off offset:128
	v_add_co_u32 v24, vcc_lo, v26, s6
	v_add_co_ci_u32_e64 v25, null, s7, v27, vcc_lo
	v_mul_f32_e32 v28, s4, v10
	v_add_co_u32 v24, vcc_lo, v24, v0
	v_mul_f32_e32 v26, s4, v9
	v_add_co_ci_u32_e64 v25, null, v25, v1, vcc_lo
	v_mul_f32_e32 v27, s4, v8
	v_mul_f32_e32 v29, s4, v7
	;; [unrolled: 1-line block ×3, first 2 shown]
	global_store_dword v[22:23], v28, off offset:192
	global_store_dword v[24:25], v26, off
	global_store_dword v[24:25], v27, off offset:64
	global_store_dword v[24:25], v29, off offset:128
	;; [unrolled: 1-line block ×3, first 2 shown]
	s_andn2_b32 vcc_lo, exec_lo, s5
	s_cbranch_vccnz .LBB390_6
.LBB390_5:
	v_mul_lo_u32 v5, v5, s14
	v_mul_lo_u32 v24, v2, s15
	v_mad_u64_u32 v[22:23], null, v2, s14, 0
	s_mul_i32 s5, s17, s8
	s_mul_hi_u32 s7, s16, s8
	s_mul_i32 s6, s16, s8
	s_add_i32 s7, s7, s5
	s_lshl_b64 s[6:7], s[6:7], 2
	v_add3_u32 v23, v23, v24, v5
	s_add_u32 s5, s12, s6
	s_addc_u32 s6, s13, s7
	v_mad_u64_u32 v[24:25], null, v2, s0, 0
	v_lshlrev_b64 v[22:23], 2, v[22:23]
	s_lshl_b64 s[0:1], s[0:1], 6
	v_add3_u32 v25, v25, v4, v3
	v_add_co_u32 v5, vcc_lo, s5, v22
	v_add_co_ci_u32_e64 v26, null, s6, v23, vcc_lo
	v_lshlrev_b64 v[2:3], 2, v[24:25]
	v_add_co_u32 v22, vcc_lo, v5, v0
	v_add_co_ci_u32_e64 v23, null, v26, v1, vcc_lo
	v_add_co_u32 v24, vcc_lo, s2, v2
	global_load_dword v27, v[22:23], off
	v_add_co_ci_u32_e64 v25, null, s3, v3, vcc_lo
	v_add_co_u32 v2, vcc_lo, v24, v0
	s_lshl_b64 s[2:3], s[14:15], 6
	v_add_co_ci_u32_e64 v3, null, v25, v1, vcc_lo
	s_waitcnt vmcnt(0)
	v_mul_f32_e32 v4, s9, v27
	v_fmac_f32_e32 v4, s4, v19
	global_store_dword v[2:3], v4, off
	global_load_dword v4, v[22:23], off offset:64
	s_waitcnt vmcnt(0)
	v_mul_f32_e32 v4, s9, v4
	v_fmac_f32_e32 v4, s4, v21
	global_store_dword v[2:3], v4, off offset:64
	global_load_dword v4, v[22:23], off offset:128
	s_waitcnt vmcnt(0)
	v_mul_f32_e32 v4, s9, v4
	v_fmac_f32_e32 v4, s4, v20
	v_add_co_u32 v20, vcc_lo, v5, s2
	v_add_co_ci_u32_e64 v21, null, s3, v26, vcc_lo
	global_store_dword v[2:3], v4, off offset:128
	global_load_dword v4, v[22:23], off offset:192
	s_waitcnt vmcnt(0)
	v_mul_f32_e32 v19, s9, v4
	v_add_co_u32 v4, vcc_lo, v20, v0
	v_add_co_ci_u32_e64 v5, null, v21, v1, vcc_lo
	v_fmac_f32_e32 v19, s4, v18
	v_add_co_u32 v18, vcc_lo, v24, s0
	global_store_dword v[2:3], v19, off offset:192
	global_load_dword v2, v[4:5], off
	v_add_co_ci_u32_e64 v19, null, s1, v25, vcc_lo
	s_waitcnt vmcnt(0)
	v_mul_f32_e32 v22, s9, v2
	v_add_co_u32 v2, vcc_lo, v18, v0
	v_add_co_ci_u32_e64 v3, null, v19, v1, vcc_lo
	v_fmac_f32_e32 v22, s4, v17
	global_store_dword v[2:3], v22, off
	global_load_dword v17, v[4:5], off offset:64
	s_waitcnt vmcnt(0)
	v_mul_f32_e32 v17, s9, v17
	v_fmac_f32_e32 v17, s4, v16
	global_store_dword v[2:3], v17, off offset:64
	global_load_dword v16, v[4:5], off offset:128
	s_waitcnt vmcnt(0)
	v_mul_f32_e32 v16, s9, v16
	v_fmac_f32_e32 v16, s4, v15
	global_store_dword v[2:3], v16, off offset:128
	global_load_dword v4, v[4:5], off offset:192
	v_add_co_u32 v16, vcc_lo, v20, s2
	v_add_co_ci_u32_e64 v17, null, s3, v21, vcc_lo
	s_waitcnt vmcnt(0)
	v_mul_f32_e32 v15, s9, v4
	v_add_co_u32 v4, vcc_lo, v16, v0
	v_add_co_ci_u32_e64 v5, null, v17, v1, vcc_lo
	v_fmac_f32_e32 v15, s4, v14
	v_add_co_u32 v14, vcc_lo, v18, s0
	global_store_dword v[2:3], v15, off offset:192
	global_load_dword v2, v[4:5], off
	v_add_co_ci_u32_e64 v15, null, s1, v19, vcc_lo
	s_waitcnt vmcnt(0)
	v_mul_f32_e32 v18, s9, v2
	v_add_co_u32 v2, vcc_lo, v14, v0
	v_add_co_ci_u32_e64 v3, null, v15, v1, vcc_lo
	v_fmac_f32_e32 v18, s4, v13
	global_store_dword v[2:3], v18, off
	global_load_dword v13, v[4:5], off offset:64
	s_waitcnt vmcnt(0)
	v_mul_f32_e32 v13, s9, v13
	v_fmac_f32_e32 v13, s4, v12
	global_store_dword v[2:3], v13, off offset:64
	global_load_dword v12, v[4:5], off offset:128
	s_waitcnt vmcnt(0)
	v_mul_f32_e32 v12, s9, v12
	v_fmac_f32_e32 v12, s4, v11
	global_store_dword v[2:3], v12, off offset:128
	global_load_dword v4, v[4:5], off offset:192
	s_waitcnt vmcnt(0)
	v_mul_f32_e32 v11, s9, v4
	v_add_co_u32 v4, vcc_lo, v16, s2
	v_add_co_ci_u32_e64 v5, null, s3, v17, vcc_lo
	v_fmac_f32_e32 v11, s4, v10
	v_add_co_u32 v4, vcc_lo, v4, v0
	v_add_co_ci_u32_e64 v5, null, v5, v1, vcc_lo
	global_store_dword v[2:3], v11, off offset:192
	v_add_co_u32 v3, vcc_lo, v14, s0
	global_load_dword v2, v[4:5], off
	v_add_co_ci_u32_e64 v10, null, s1, v15, vcc_lo
	v_add_co_u32 v0, vcc_lo, v3, v0
	v_add_co_ci_u32_e64 v1, null, v10, v1, vcc_lo
	s_waitcnt vmcnt(0)
	v_mul_f32_e32 v2, s9, v2
	v_fmac_f32_e32 v2, s4, v9
	global_store_dword v[0:1], v2, off
	global_load_dword v2, v[4:5], off offset:64
	s_waitcnt vmcnt(0)
	v_mul_f32_e32 v2, s9, v2
	v_fmac_f32_e32 v2, s4, v8
	global_store_dword v[0:1], v2, off offset:64
	global_load_dword v2, v[4:5], off offset:128
	s_waitcnt vmcnt(0)
	v_mul_f32_e32 v2, s9, v2
	v_fmac_f32_e32 v2, s4, v7
	global_store_dword v[0:1], v2, off offset:128
	;; [unrolled: 5-line block ×3, first 2 shown]
.LBB390_6:
	s_endpgm
.LBB390_7:
	s_branch .LBB390_5
	.section	.rodata,"a",@progbits
	.p2align	6, 0x0
	.amdhsa_kernel _ZN12_GLOBAL__N_127rocblas_gemm_batched_kernelIfLi16ELi16ELi64ELi64ELi4ELi64ELi4ELi4ELi64ELc78ELc78EKDF16_KffEEvlllT_PT11_llS5_llS3_PT12_llPT13_lli
		.amdhsa_group_segment_fixed_size 2048
		.amdhsa_private_segment_fixed_size 0
		.amdhsa_kernarg_size 140
		.amdhsa_user_sgpr_count 6
		.amdhsa_user_sgpr_private_segment_buffer 1
		.amdhsa_user_sgpr_dispatch_ptr 0
		.amdhsa_user_sgpr_queue_ptr 0
		.amdhsa_user_sgpr_kernarg_segment_ptr 1
		.amdhsa_user_sgpr_dispatch_id 0
		.amdhsa_user_sgpr_flat_scratch_init 0
		.amdhsa_user_sgpr_private_segment_size 0
		.amdhsa_wavefront_size32 1
		.amdhsa_uses_dynamic_stack 0
		.amdhsa_system_sgpr_private_segment_wavefront_offset 0
		.amdhsa_system_sgpr_workgroup_id_x 1
		.amdhsa_system_sgpr_workgroup_id_y 1
		.amdhsa_system_sgpr_workgroup_id_z 1
		.amdhsa_system_sgpr_workgroup_info 0
		.amdhsa_system_vgpr_workitem_id 1
		.amdhsa_next_free_vgpr 58
		.amdhsa_next_free_sgpr 22
		.amdhsa_reserve_vcc 1
		.amdhsa_reserve_flat_scratch 0
		.amdhsa_float_round_mode_32 0
		.amdhsa_float_round_mode_16_64 0
		.amdhsa_float_denorm_mode_32 3
		.amdhsa_float_denorm_mode_16_64 3
		.amdhsa_dx10_clamp 1
		.amdhsa_ieee_mode 1
		.amdhsa_fp16_overflow 0
		.amdhsa_workgroup_processor_mode 1
		.amdhsa_memory_ordered 1
		.amdhsa_forward_progress 1
		.amdhsa_shared_vgpr_count 0
		.amdhsa_exception_fp_ieee_invalid_op 0
		.amdhsa_exception_fp_denorm_src 0
		.amdhsa_exception_fp_ieee_div_zero 0
		.amdhsa_exception_fp_ieee_overflow 0
		.amdhsa_exception_fp_ieee_underflow 0
		.amdhsa_exception_fp_ieee_inexact 0
		.amdhsa_exception_int_div_zero 0
	.end_amdhsa_kernel
	.section	.text._ZN12_GLOBAL__N_127rocblas_gemm_batched_kernelIfLi16ELi16ELi64ELi64ELi4ELi64ELi4ELi4ELi64ELc78ELc78EKDF16_KffEEvlllT_PT11_llS5_llS3_PT12_llPT13_lli,"axG",@progbits,_ZN12_GLOBAL__N_127rocblas_gemm_batched_kernelIfLi16ELi16ELi64ELi64ELi4ELi64ELi4ELi4ELi64ELc78ELc78EKDF16_KffEEvlllT_PT11_llS5_llS3_PT12_llPT13_lli,comdat
.Lfunc_end390:
	.size	_ZN12_GLOBAL__N_127rocblas_gemm_batched_kernelIfLi16ELi16ELi64ELi64ELi4ELi64ELi4ELi4ELi64ELc78ELc78EKDF16_KffEEvlllT_PT11_llS5_llS3_PT12_llPT13_lli, .Lfunc_end390-_ZN12_GLOBAL__N_127rocblas_gemm_batched_kernelIfLi16ELi16ELi64ELi64ELi4ELi64ELi4ELi4ELi64ELc78ELc78EKDF16_KffEEvlllT_PT11_llS5_llS3_PT12_llPT13_lli
                                        ; -- End function
	.set _ZN12_GLOBAL__N_127rocblas_gemm_batched_kernelIfLi16ELi16ELi64ELi64ELi4ELi64ELi4ELi4ELi64ELc78ELc78EKDF16_KffEEvlllT_PT11_llS5_llS3_PT12_llPT13_lli.num_vgpr, 58
	.set _ZN12_GLOBAL__N_127rocblas_gemm_batched_kernelIfLi16ELi16ELi64ELi64ELi4ELi64ELi4ELi4ELi64ELc78ELc78EKDF16_KffEEvlllT_PT11_llS5_llS3_PT12_llPT13_lli.num_agpr, 0
	.set _ZN12_GLOBAL__N_127rocblas_gemm_batched_kernelIfLi16ELi16ELi64ELi64ELi4ELi64ELi4ELi4ELi64ELc78ELc78EKDF16_KffEEvlllT_PT11_llS5_llS3_PT12_llPT13_lli.numbered_sgpr, 22
	.set _ZN12_GLOBAL__N_127rocblas_gemm_batched_kernelIfLi16ELi16ELi64ELi64ELi4ELi64ELi4ELi4ELi64ELc78ELc78EKDF16_KffEEvlllT_PT11_llS5_llS3_PT12_llPT13_lli.num_named_barrier, 0
	.set _ZN12_GLOBAL__N_127rocblas_gemm_batched_kernelIfLi16ELi16ELi64ELi64ELi4ELi64ELi4ELi4ELi64ELc78ELc78EKDF16_KffEEvlllT_PT11_llS5_llS3_PT12_llPT13_lli.private_seg_size, 0
	.set _ZN12_GLOBAL__N_127rocblas_gemm_batched_kernelIfLi16ELi16ELi64ELi64ELi4ELi64ELi4ELi4ELi64ELc78ELc78EKDF16_KffEEvlllT_PT11_llS5_llS3_PT12_llPT13_lli.uses_vcc, 1
	.set _ZN12_GLOBAL__N_127rocblas_gemm_batched_kernelIfLi16ELi16ELi64ELi64ELi4ELi64ELi4ELi4ELi64ELc78ELc78EKDF16_KffEEvlllT_PT11_llS5_llS3_PT12_llPT13_lli.uses_flat_scratch, 0
	.set _ZN12_GLOBAL__N_127rocblas_gemm_batched_kernelIfLi16ELi16ELi64ELi64ELi4ELi64ELi4ELi4ELi64ELc78ELc78EKDF16_KffEEvlllT_PT11_llS5_llS3_PT12_llPT13_lli.has_dyn_sized_stack, 0
	.set _ZN12_GLOBAL__N_127rocblas_gemm_batched_kernelIfLi16ELi16ELi64ELi64ELi4ELi64ELi4ELi4ELi64ELc78ELc78EKDF16_KffEEvlllT_PT11_llS5_llS3_PT12_llPT13_lli.has_recursion, 0
	.set _ZN12_GLOBAL__N_127rocblas_gemm_batched_kernelIfLi16ELi16ELi64ELi64ELi4ELi64ELi4ELi4ELi64ELc78ELc78EKDF16_KffEEvlllT_PT11_llS5_llS3_PT12_llPT13_lli.has_indirect_call, 0
	.section	.AMDGPU.csdata,"",@progbits
; Kernel info:
; codeLenInByte = 2288
; TotalNumSgprs: 24
; NumVgprs: 58
; ScratchSize: 0
; MemoryBound: 0
; FloatMode: 240
; IeeeMode: 1
; LDSByteSize: 2048 bytes/workgroup (compile time only)
; SGPRBlocks: 0
; VGPRBlocks: 7
; NumSGPRsForWavesPerEU: 24
; NumVGPRsForWavesPerEU: 58
; Occupancy: 16
; WaveLimiterHint : 0
; COMPUTE_PGM_RSRC2:SCRATCH_EN: 0
; COMPUTE_PGM_RSRC2:USER_SGPR: 6
; COMPUTE_PGM_RSRC2:TRAP_HANDLER: 0
; COMPUTE_PGM_RSRC2:TGID_X_EN: 1
; COMPUTE_PGM_RSRC2:TGID_Y_EN: 1
; COMPUTE_PGM_RSRC2:TGID_Z_EN: 1
; COMPUTE_PGM_RSRC2:TIDIG_COMP_CNT: 1
	.section	.text._ZN12_GLOBAL__N_127rocblas_gemm_batched_kernelIfLi16ELi16ELi64ELi64ELi4ELi64ELi4ELi4ELi64ELc84ELc78EKDF16_KffEEvlllT_PT11_llS5_llS3_PT12_llPT13_lli,"axG",@progbits,_ZN12_GLOBAL__N_127rocblas_gemm_batched_kernelIfLi16ELi16ELi64ELi64ELi4ELi64ELi4ELi4ELi64ELc84ELc78EKDF16_KffEEvlllT_PT11_llS5_llS3_PT12_llPT13_lli,comdat
	.globl	_ZN12_GLOBAL__N_127rocblas_gemm_batched_kernelIfLi16ELi16ELi64ELi64ELi4ELi64ELi4ELi4ELi64ELc84ELc78EKDF16_KffEEvlllT_PT11_llS5_llS3_PT12_llPT13_lli ; -- Begin function _ZN12_GLOBAL__N_127rocblas_gemm_batched_kernelIfLi16ELi16ELi64ELi64ELi4ELi64ELi4ELi4ELi64ELc84ELc78EKDF16_KffEEvlllT_PT11_llS5_llS3_PT12_llPT13_lli
	.p2align	8
	.type	_ZN12_GLOBAL__N_127rocblas_gemm_batched_kernelIfLi16ELi16ELi64ELi64ELi4ELi64ELi4ELi4ELi64ELc84ELc78EKDF16_KffEEvlllT_PT11_llS5_llS3_PT12_llPT13_lli,@function
_ZN12_GLOBAL__N_127rocblas_gemm_batched_kernelIfLi16ELi16ELi64ELi64ELi4ELi64ELi4ELi4ELi64ELc84ELc78EKDF16_KffEEvlllT_PT11_llS5_llS3_PT12_llPT13_lli: ; @_ZN12_GLOBAL__N_127rocblas_gemm_batched_kernelIfLi16ELi16ELi64ELi64ELi4ELi64ELi4ELi4ELi64ELc84ELc78EKDF16_KffEEvlllT_PT11_llS5_llS3_PT12_llPT13_lli
; %bb.0:
	s_load_dwordx2 s[20:21], s[4:5], 0x10
	s_mov_b32 s0, s7
	v_mov_b32_e32 v19, 0
	v_mov_b32_e32 v21, 0
	;; [unrolled: 1-line block ×16, first 2 shown]
	s_ashr_i32 s7, s6, 31
	s_ashr_i32 s1, s0, 31
	s_waitcnt lgkmcnt(0)
	v_cmp_lt_i64_e64 s2, s[20:21], 1
	s_lshl_b64 s[6:7], s[6:7], 6
	s_lshl_b64 s[10:11], s[0:1], 6
	s_and_b32 vcc_lo, exec_lo, s2
	s_cbranch_vccnz .LBB391_3
; %bb.1:
	v_lshlrev_b32_e32 v7, 4, v1
	s_clause 0x1
	s_load_dwordx4 s[0:3], s[4:5], 0x40
	s_load_dwordx8 s[12:19], s[4:5], 0x20
	v_and_b32_e32 v8, 3, v0
	v_mov_b32_e32 v6, 0
	v_add_nc_u32_e32 v2, v7, v0
	v_add_nc_u32_e32 v25, 0x400, v7
	v_lshlrev_b32_e32 v22, 2, v0
	v_lshlrev_b32_e32 v4, 2, v8
	v_mov_b32_e32 v14, 0
	v_lshrrev_b32_e32 v3, 2, v2
	v_and_b32_e32 v5, 63, v2
	v_lshrrev_b32_e32 v11, 6, v2
	v_mov_b32_e32 v15, 0
	v_mov_b32_e32 v16, 0
	v_add_co_u32 v9, s9, v3, s10
	v_add_co_ci_u32_e64 v10, null, 0, s11, s9
	v_lshl_or_b32 v4, v3, 4, v4
	v_lshlrev_b32_e32 v12, 2, v5
	s_waitcnt lgkmcnt(0)
	v_mul_lo_u32 v13, s1, v9
	v_mul_lo_u32 v10, s0, v10
	v_mad_u64_u32 v[2:3], null, s0, v9, 0
	v_add_co_u32 v5, s0, s6, v5
	v_add_co_ci_u32_e64 v9, null, s7, 0, s0
	v_lshl_or_b32 v23, v11, 8, v12
	v_add_nc_u32_e32 v24, 0x400, v4
	v_mul_lo_u32 v12, s15, v5
	v_add3_u32 v3, v3, v10, v13
	v_mul_lo_u32 v9, s14, v9
	v_mad_u64_u32 v[4:5], null, s14, v5, 0
	s_mul_i32 s0, s3, s8
	s_mul_hi_u32 s1, s2, s8
	v_lshlrev_b64 v[2:3], 1, v[2:3]
	s_add_i32 s1, s1, s0
	s_mul_i32 s0, s2, s8
	v_mov_b32_e32 v10, 0
	v_add3_u32 v5, v5, v9, v12
	s_lshl_b64 s[0:1], s[0:1], 1
	v_mov_b32_e32 v12, 0
	v_add_co_u32 v7, vcc_lo, v2, s0
	v_add_co_ci_u32_e64 v9, null, s1, v3, vcc_lo
	s_mul_i32 s0, s17, s8
	s_mul_hi_u32 s1, s16, s8
	v_lshlrev_b64 v[2:3], 1, v[4:5]
	s_add_i32 s1, s1, s0
	s_mul_i32 s0, s16, s8
	v_lshlrev_b32_e32 v4, 1, v8
	s_lshl_b64 s[0:1], s[0:1], 1
	v_lshlrev_b32_e32 v5, 1, v11
	v_add_co_u32 v2, vcc_lo, v2, s0
	v_add_co_ci_u32_e64 v3, null, s1, v3, vcc_lo
	v_add_co_u32 v4, vcc_lo, v7, v4
	v_add_co_ci_u32_e64 v7, null, 0, v9, vcc_lo
	;; [unrolled: 2-line block ×5, first 2 shown]
	v_mov_b32_e32 v7, 0
	v_mov_b32_e32 v8, 0
	;; [unrolled: 1-line block ×10, first 2 shown]
	s_mov_b64 s[0:1], 0
.LBB391_2:                              ; =>This Inner Loop Header: Depth=1
	global_load_ushort v26, v[4:5], off
	global_load_ushort v27, v[2:3], off
	s_add_u32 s0, s0, 4
	s_addc_u32 s1, s1, 0
	v_add_co_u32 v2, vcc_lo, v2, 8
	v_cmp_lt_i64_e64 s2, s[0:1], s[20:21]
	v_add_co_ci_u32_e64 v3, null, 0, v3, vcc_lo
	v_add_co_u32 v4, vcc_lo, v4, 8
	v_add_co_ci_u32_e64 v5, null, 0, v5, vcc_lo
	s_and_b32 vcc_lo, exec_lo, s2
	s_waitcnt vmcnt(1)
	v_cvt_f32_f16_e32 v26, v26
	s_waitcnt vmcnt(0)
	v_cvt_f32_f16_e32 v27, v27
	ds_write_b32 v23, v26
	ds_write_b32 v24, v27
	s_waitcnt lgkmcnt(0)
	s_barrier
	buffer_gl0_inv
	ds_read_b128 v[26:29], v25
	ds_read2_b32 v[42:43], v22 offset1:16
	ds_read2_b32 v[44:45], v22 offset0:32 offset1:48
	ds_read_b128 v[30:33], v25 offset:256
	ds_read_b128 v[34:37], v25 offset:512
	;; [unrolled: 1-line block ×3, first 2 shown]
	ds_read2_b32 v[46:47], v22 offset0:64 offset1:80
	ds_read2_b32 v[48:49], v22 offset0:96 offset1:112
	;; [unrolled: 1-line block ×6, first 2 shown]
	s_waitcnt lgkmcnt(0)
	s_barrier
	buffer_gl0_inv
	v_fmac_f32_e32 v19, v42, v26
	v_fmac_f32_e32 v21, v43, v26
	;; [unrolled: 1-line block ×64, first 2 shown]
	s_cbranch_vccnz .LBB391_2
.LBB391_3:
	s_clause 0x3
	s_load_dwordx4 s[0:3], s[4:5], 0x78
	s_load_dword s9, s[4:5], 0x50
	s_load_dwordx8 s[12:19], s[4:5], 0x58
	s_load_dword s4, s[4:5], 0x18
	v_add_co_u32 v3, s5, s6, v0
	v_add_co_ci_u32_e64 v4, null, s7, 0, s5
	v_add_co_u32 v2, s5, s10, v1
	v_add_co_ci_u32_e64 v5, null, s11, 0, s5
	v_lshlrev_b64 v[0:1], 2, v[3:4]
	s_waitcnt lgkmcnt(0)
	s_mul_i32 s3, s3, s8
	s_mul_hi_u32 s5, s2, s8
	v_mul_lo_u32 v3, v5, s0
	v_mul_lo_u32 v4, v2, s1
	s_mul_i32 s2, s2, s8
	v_cmp_neq_f32_e64 s6, s9, 0
	s_add_i32 s3, s5, s3
	s_mov_b32 s5, 0
	s_lshl_b64 s[2:3], s[2:3], 2
	s_add_u32 s2, s18, s2
	s_addc_u32 s3, s19, s3
	s_and_b32 vcc_lo, exec_lo, s6
	s_cbranch_vccnz .LBB391_7
; %bb.4:
	v_mad_u64_u32 v[22:23], null, v2, s0, 0
	s_lshl_b64 s[6:7], s[0:1], 6
	v_mul_f32_e32 v26, s4, v19
	v_mul_f32_e32 v27, s4, v21
	;; [unrolled: 1-line block ×5, first 2 shown]
	v_add3_u32 v23, v23, v4, v3
	v_mul_f32_e32 v31, s4, v16
	v_mul_f32_e32 v32, s4, v15
	v_mul_f32_e32 v33, s4, v14
	v_lshlrev_b64 v[22:23], 2, v[22:23]
	v_add_co_u32 v22, vcc_lo, s2, v22
	v_add_co_ci_u32_e64 v23, null, s3, v23, vcc_lo
	v_add_co_u32 v34, vcc_lo, v22, s6
	v_add_co_ci_u32_e64 v35, null, s7, v23, vcc_lo
	v_add_co_u32 v22, vcc_lo, v22, v0
	v_add_co_ci_u32_e64 v23, null, v23, v1, vcc_lo
	v_add_co_u32 v24, vcc_lo, v34, v0
	v_add_co_ci_u32_e64 v25, null, v35, v1, vcc_lo
	global_store_dword v[22:23], v26, off
	global_store_dword v[22:23], v27, off offset:64
	global_store_dword v[22:23], v28, off offset:128
	global_store_dword v[22:23], v29, off offset:192
	global_store_dword v[24:25], v30, off
	global_store_dword v[24:25], v31, off offset:64
	v_add_co_u32 v26, vcc_lo, v34, s6
	v_add_co_ci_u32_e64 v27, null, s7, v35, vcc_lo
	v_mul_f32_e32 v28, s4, v13
	v_add_co_u32 v22, vcc_lo, v26, v0
	v_add_co_ci_u32_e64 v23, null, v27, v1, vcc_lo
	v_mul_f32_e32 v29, s4, v12
	v_mul_f32_e32 v30, s4, v11
	global_store_dword v[24:25], v32, off offset:128
	global_store_dword v[24:25], v33, off offset:192
	global_store_dword v[22:23], v28, off
	global_store_dword v[22:23], v29, off offset:64
	global_store_dword v[22:23], v30, off offset:128
	v_add_co_u32 v24, vcc_lo, v26, s6
	v_add_co_ci_u32_e64 v25, null, s7, v27, vcc_lo
	v_mul_f32_e32 v28, s4, v10
	v_add_co_u32 v24, vcc_lo, v24, v0
	v_mul_f32_e32 v26, s4, v9
	v_add_co_ci_u32_e64 v25, null, v25, v1, vcc_lo
	v_mul_f32_e32 v27, s4, v8
	v_mul_f32_e32 v29, s4, v7
	;; [unrolled: 1-line block ×3, first 2 shown]
	global_store_dword v[22:23], v28, off offset:192
	global_store_dword v[24:25], v26, off
	global_store_dword v[24:25], v27, off offset:64
	global_store_dword v[24:25], v29, off offset:128
	;; [unrolled: 1-line block ×3, first 2 shown]
	s_andn2_b32 vcc_lo, exec_lo, s5
	s_cbranch_vccnz .LBB391_6
.LBB391_5:
	v_mul_lo_u32 v5, v5, s14
	v_mul_lo_u32 v24, v2, s15
	v_mad_u64_u32 v[22:23], null, v2, s14, 0
	s_mul_i32 s5, s17, s8
	s_mul_hi_u32 s7, s16, s8
	s_mul_i32 s6, s16, s8
	s_add_i32 s7, s7, s5
	s_lshl_b64 s[6:7], s[6:7], 2
	v_add3_u32 v23, v23, v24, v5
	s_add_u32 s5, s12, s6
	s_addc_u32 s6, s13, s7
	v_mad_u64_u32 v[24:25], null, v2, s0, 0
	v_lshlrev_b64 v[22:23], 2, v[22:23]
	s_lshl_b64 s[0:1], s[0:1], 6
	v_add3_u32 v25, v25, v4, v3
	v_add_co_u32 v5, vcc_lo, s5, v22
	v_add_co_ci_u32_e64 v26, null, s6, v23, vcc_lo
	v_lshlrev_b64 v[2:3], 2, v[24:25]
	v_add_co_u32 v22, vcc_lo, v5, v0
	v_add_co_ci_u32_e64 v23, null, v26, v1, vcc_lo
	v_add_co_u32 v24, vcc_lo, s2, v2
	global_load_dword v27, v[22:23], off
	v_add_co_ci_u32_e64 v25, null, s3, v3, vcc_lo
	v_add_co_u32 v2, vcc_lo, v24, v0
	s_lshl_b64 s[2:3], s[14:15], 6
	v_add_co_ci_u32_e64 v3, null, v25, v1, vcc_lo
	s_waitcnt vmcnt(0)
	v_mul_f32_e32 v4, s9, v27
	v_fmac_f32_e32 v4, s4, v19
	global_store_dword v[2:3], v4, off
	global_load_dword v4, v[22:23], off offset:64
	s_waitcnt vmcnt(0)
	v_mul_f32_e32 v4, s9, v4
	v_fmac_f32_e32 v4, s4, v21
	global_store_dword v[2:3], v4, off offset:64
	global_load_dword v4, v[22:23], off offset:128
	s_waitcnt vmcnt(0)
	v_mul_f32_e32 v4, s9, v4
	v_fmac_f32_e32 v4, s4, v20
	v_add_co_u32 v20, vcc_lo, v5, s2
	v_add_co_ci_u32_e64 v21, null, s3, v26, vcc_lo
	global_store_dword v[2:3], v4, off offset:128
	global_load_dword v4, v[22:23], off offset:192
	s_waitcnt vmcnt(0)
	v_mul_f32_e32 v19, s9, v4
	v_add_co_u32 v4, vcc_lo, v20, v0
	v_add_co_ci_u32_e64 v5, null, v21, v1, vcc_lo
	v_fmac_f32_e32 v19, s4, v18
	v_add_co_u32 v18, vcc_lo, v24, s0
	global_store_dword v[2:3], v19, off offset:192
	global_load_dword v2, v[4:5], off
	v_add_co_ci_u32_e64 v19, null, s1, v25, vcc_lo
	s_waitcnt vmcnt(0)
	v_mul_f32_e32 v22, s9, v2
	v_add_co_u32 v2, vcc_lo, v18, v0
	v_add_co_ci_u32_e64 v3, null, v19, v1, vcc_lo
	v_fmac_f32_e32 v22, s4, v17
	global_store_dword v[2:3], v22, off
	global_load_dword v17, v[4:5], off offset:64
	s_waitcnt vmcnt(0)
	v_mul_f32_e32 v17, s9, v17
	v_fmac_f32_e32 v17, s4, v16
	global_store_dword v[2:3], v17, off offset:64
	global_load_dword v16, v[4:5], off offset:128
	s_waitcnt vmcnt(0)
	v_mul_f32_e32 v16, s9, v16
	v_fmac_f32_e32 v16, s4, v15
	global_store_dword v[2:3], v16, off offset:128
	global_load_dword v4, v[4:5], off offset:192
	v_add_co_u32 v16, vcc_lo, v20, s2
	v_add_co_ci_u32_e64 v17, null, s3, v21, vcc_lo
	s_waitcnt vmcnt(0)
	v_mul_f32_e32 v15, s9, v4
	v_add_co_u32 v4, vcc_lo, v16, v0
	v_add_co_ci_u32_e64 v5, null, v17, v1, vcc_lo
	v_fmac_f32_e32 v15, s4, v14
	v_add_co_u32 v14, vcc_lo, v18, s0
	global_store_dword v[2:3], v15, off offset:192
	global_load_dword v2, v[4:5], off
	v_add_co_ci_u32_e64 v15, null, s1, v19, vcc_lo
	s_waitcnt vmcnt(0)
	v_mul_f32_e32 v18, s9, v2
	v_add_co_u32 v2, vcc_lo, v14, v0
	v_add_co_ci_u32_e64 v3, null, v15, v1, vcc_lo
	v_fmac_f32_e32 v18, s4, v13
	global_store_dword v[2:3], v18, off
	global_load_dword v13, v[4:5], off offset:64
	s_waitcnt vmcnt(0)
	v_mul_f32_e32 v13, s9, v13
	v_fmac_f32_e32 v13, s4, v12
	global_store_dword v[2:3], v13, off offset:64
	global_load_dword v12, v[4:5], off offset:128
	s_waitcnt vmcnt(0)
	v_mul_f32_e32 v12, s9, v12
	v_fmac_f32_e32 v12, s4, v11
	global_store_dword v[2:3], v12, off offset:128
	global_load_dword v4, v[4:5], off offset:192
	s_waitcnt vmcnt(0)
	v_mul_f32_e32 v11, s9, v4
	v_add_co_u32 v4, vcc_lo, v16, s2
	v_add_co_ci_u32_e64 v5, null, s3, v17, vcc_lo
	v_fmac_f32_e32 v11, s4, v10
	v_add_co_u32 v4, vcc_lo, v4, v0
	v_add_co_ci_u32_e64 v5, null, v5, v1, vcc_lo
	global_store_dword v[2:3], v11, off offset:192
	v_add_co_u32 v3, vcc_lo, v14, s0
	global_load_dword v2, v[4:5], off
	v_add_co_ci_u32_e64 v10, null, s1, v15, vcc_lo
	v_add_co_u32 v0, vcc_lo, v3, v0
	v_add_co_ci_u32_e64 v1, null, v10, v1, vcc_lo
	s_waitcnt vmcnt(0)
	v_mul_f32_e32 v2, s9, v2
	v_fmac_f32_e32 v2, s4, v9
	global_store_dword v[0:1], v2, off
	global_load_dword v2, v[4:5], off offset:64
	s_waitcnt vmcnt(0)
	v_mul_f32_e32 v2, s9, v2
	v_fmac_f32_e32 v2, s4, v8
	global_store_dword v[0:1], v2, off offset:64
	global_load_dword v2, v[4:5], off offset:128
	s_waitcnt vmcnt(0)
	v_mul_f32_e32 v2, s9, v2
	v_fmac_f32_e32 v2, s4, v7
	global_store_dword v[0:1], v2, off offset:128
	;; [unrolled: 5-line block ×3, first 2 shown]
.LBB391_6:
	s_endpgm
.LBB391_7:
	s_branch .LBB391_5
	.section	.rodata,"a",@progbits
	.p2align	6, 0x0
	.amdhsa_kernel _ZN12_GLOBAL__N_127rocblas_gemm_batched_kernelIfLi16ELi16ELi64ELi64ELi4ELi64ELi4ELi4ELi64ELc84ELc78EKDF16_KffEEvlllT_PT11_llS5_llS3_PT12_llPT13_lli
		.amdhsa_group_segment_fixed_size 2048
		.amdhsa_private_segment_fixed_size 0
		.amdhsa_kernarg_size 140
		.amdhsa_user_sgpr_count 6
		.amdhsa_user_sgpr_private_segment_buffer 1
		.amdhsa_user_sgpr_dispatch_ptr 0
		.amdhsa_user_sgpr_queue_ptr 0
		.amdhsa_user_sgpr_kernarg_segment_ptr 1
		.amdhsa_user_sgpr_dispatch_id 0
		.amdhsa_user_sgpr_flat_scratch_init 0
		.amdhsa_user_sgpr_private_segment_size 0
		.amdhsa_wavefront_size32 1
		.amdhsa_uses_dynamic_stack 0
		.amdhsa_system_sgpr_private_segment_wavefront_offset 0
		.amdhsa_system_sgpr_workgroup_id_x 1
		.amdhsa_system_sgpr_workgroup_id_y 1
		.amdhsa_system_sgpr_workgroup_id_z 1
		.amdhsa_system_sgpr_workgroup_info 0
		.amdhsa_system_vgpr_workitem_id 1
		.amdhsa_next_free_vgpr 58
		.amdhsa_next_free_sgpr 22
		.amdhsa_reserve_vcc 1
		.amdhsa_reserve_flat_scratch 0
		.amdhsa_float_round_mode_32 0
		.amdhsa_float_round_mode_16_64 0
		.amdhsa_float_denorm_mode_32 3
		.amdhsa_float_denorm_mode_16_64 3
		.amdhsa_dx10_clamp 1
		.amdhsa_ieee_mode 1
		.amdhsa_fp16_overflow 0
		.amdhsa_workgroup_processor_mode 1
		.amdhsa_memory_ordered 1
		.amdhsa_forward_progress 1
		.amdhsa_shared_vgpr_count 0
		.amdhsa_exception_fp_ieee_invalid_op 0
		.amdhsa_exception_fp_denorm_src 0
		.amdhsa_exception_fp_ieee_div_zero 0
		.amdhsa_exception_fp_ieee_overflow 0
		.amdhsa_exception_fp_ieee_underflow 0
		.amdhsa_exception_fp_ieee_inexact 0
		.amdhsa_exception_int_div_zero 0
	.end_amdhsa_kernel
	.section	.text._ZN12_GLOBAL__N_127rocblas_gemm_batched_kernelIfLi16ELi16ELi64ELi64ELi4ELi64ELi4ELi4ELi64ELc84ELc78EKDF16_KffEEvlllT_PT11_llS5_llS3_PT12_llPT13_lli,"axG",@progbits,_ZN12_GLOBAL__N_127rocblas_gemm_batched_kernelIfLi16ELi16ELi64ELi64ELi4ELi64ELi4ELi4ELi64ELc84ELc78EKDF16_KffEEvlllT_PT11_llS5_llS3_PT12_llPT13_lli,comdat
.Lfunc_end391:
	.size	_ZN12_GLOBAL__N_127rocblas_gemm_batched_kernelIfLi16ELi16ELi64ELi64ELi4ELi64ELi4ELi4ELi64ELc84ELc78EKDF16_KffEEvlllT_PT11_llS5_llS3_PT12_llPT13_lli, .Lfunc_end391-_ZN12_GLOBAL__N_127rocblas_gemm_batched_kernelIfLi16ELi16ELi64ELi64ELi4ELi64ELi4ELi4ELi64ELc84ELc78EKDF16_KffEEvlllT_PT11_llS5_llS3_PT12_llPT13_lli
                                        ; -- End function
	.set _ZN12_GLOBAL__N_127rocblas_gemm_batched_kernelIfLi16ELi16ELi64ELi64ELi4ELi64ELi4ELi4ELi64ELc84ELc78EKDF16_KffEEvlllT_PT11_llS5_llS3_PT12_llPT13_lli.num_vgpr, 58
	.set _ZN12_GLOBAL__N_127rocblas_gemm_batched_kernelIfLi16ELi16ELi64ELi64ELi4ELi64ELi4ELi4ELi64ELc84ELc78EKDF16_KffEEvlllT_PT11_llS5_llS3_PT12_llPT13_lli.num_agpr, 0
	.set _ZN12_GLOBAL__N_127rocblas_gemm_batched_kernelIfLi16ELi16ELi64ELi64ELi4ELi64ELi4ELi4ELi64ELc84ELc78EKDF16_KffEEvlllT_PT11_llS5_llS3_PT12_llPT13_lli.numbered_sgpr, 22
	.set _ZN12_GLOBAL__N_127rocblas_gemm_batched_kernelIfLi16ELi16ELi64ELi64ELi4ELi64ELi4ELi4ELi64ELc84ELc78EKDF16_KffEEvlllT_PT11_llS5_llS3_PT12_llPT13_lli.num_named_barrier, 0
	.set _ZN12_GLOBAL__N_127rocblas_gemm_batched_kernelIfLi16ELi16ELi64ELi64ELi4ELi64ELi4ELi4ELi64ELc84ELc78EKDF16_KffEEvlllT_PT11_llS5_llS3_PT12_llPT13_lli.private_seg_size, 0
	.set _ZN12_GLOBAL__N_127rocblas_gemm_batched_kernelIfLi16ELi16ELi64ELi64ELi4ELi64ELi4ELi4ELi64ELc84ELc78EKDF16_KffEEvlllT_PT11_llS5_llS3_PT12_llPT13_lli.uses_vcc, 1
	.set _ZN12_GLOBAL__N_127rocblas_gemm_batched_kernelIfLi16ELi16ELi64ELi64ELi4ELi64ELi4ELi4ELi64ELc84ELc78EKDF16_KffEEvlllT_PT11_llS5_llS3_PT12_llPT13_lli.uses_flat_scratch, 0
	.set _ZN12_GLOBAL__N_127rocblas_gemm_batched_kernelIfLi16ELi16ELi64ELi64ELi4ELi64ELi4ELi4ELi64ELc84ELc78EKDF16_KffEEvlllT_PT11_llS5_llS3_PT12_llPT13_lli.has_dyn_sized_stack, 0
	.set _ZN12_GLOBAL__N_127rocblas_gemm_batched_kernelIfLi16ELi16ELi64ELi64ELi4ELi64ELi4ELi4ELi64ELc84ELc78EKDF16_KffEEvlllT_PT11_llS5_llS3_PT12_llPT13_lli.has_recursion, 0
	.set _ZN12_GLOBAL__N_127rocblas_gemm_batched_kernelIfLi16ELi16ELi64ELi64ELi4ELi64ELi4ELi4ELi64ELc84ELc78EKDF16_KffEEvlllT_PT11_llS5_llS3_PT12_llPT13_lli.has_indirect_call, 0
	.section	.AMDGPU.csdata,"",@progbits
; Kernel info:
; codeLenInByte = 2328
; TotalNumSgprs: 24
; NumVgprs: 58
; ScratchSize: 0
; MemoryBound: 0
; FloatMode: 240
; IeeeMode: 1
; LDSByteSize: 2048 bytes/workgroup (compile time only)
; SGPRBlocks: 0
; VGPRBlocks: 7
; NumSGPRsForWavesPerEU: 24
; NumVGPRsForWavesPerEU: 58
; Occupancy: 16
; WaveLimiterHint : 0
; COMPUTE_PGM_RSRC2:SCRATCH_EN: 0
; COMPUTE_PGM_RSRC2:USER_SGPR: 6
; COMPUTE_PGM_RSRC2:TRAP_HANDLER: 0
; COMPUTE_PGM_RSRC2:TGID_X_EN: 1
; COMPUTE_PGM_RSRC2:TGID_Y_EN: 1
; COMPUTE_PGM_RSRC2:TGID_Z_EN: 1
; COMPUTE_PGM_RSRC2:TIDIG_COMP_CNT: 1
	.section	.text._ZN12_GLOBAL__N_127rocblas_gemm_batched_kernelIfLi16ELi16ELi64ELi64ELi4ELi64ELi4ELi4ELi64ELc78ELc84EKDF16_KffEEvlllT_PT11_llS5_llS3_PT12_llPT13_lli,"axG",@progbits,_ZN12_GLOBAL__N_127rocblas_gemm_batched_kernelIfLi16ELi16ELi64ELi64ELi4ELi64ELi4ELi4ELi64ELc78ELc84EKDF16_KffEEvlllT_PT11_llS5_llS3_PT12_llPT13_lli,comdat
	.globl	_ZN12_GLOBAL__N_127rocblas_gemm_batched_kernelIfLi16ELi16ELi64ELi64ELi4ELi64ELi4ELi4ELi64ELc78ELc84EKDF16_KffEEvlllT_PT11_llS5_llS3_PT12_llPT13_lli ; -- Begin function _ZN12_GLOBAL__N_127rocblas_gemm_batched_kernelIfLi16ELi16ELi64ELi64ELi4ELi64ELi4ELi4ELi64ELc78ELc84EKDF16_KffEEvlllT_PT11_llS5_llS3_PT12_llPT13_lli
	.p2align	8
	.type	_ZN12_GLOBAL__N_127rocblas_gemm_batched_kernelIfLi16ELi16ELi64ELi64ELi4ELi64ELi4ELi4ELi64ELc78ELc84EKDF16_KffEEvlllT_PT11_llS5_llS3_PT12_llPT13_lli,@function
_ZN12_GLOBAL__N_127rocblas_gemm_batched_kernelIfLi16ELi16ELi64ELi64ELi4ELi64ELi4ELi4ELi64ELc78ELc84EKDF16_KffEEvlllT_PT11_llS5_llS3_PT12_llPT13_lli: ; @_ZN12_GLOBAL__N_127rocblas_gemm_batched_kernelIfLi16ELi16ELi64ELi64ELi4ELi64ELi4ELi4ELi64ELc78ELc84EKDF16_KffEEvlllT_PT11_llS5_llS3_PT12_llPT13_lli
; %bb.0:
	s_load_dwordx2 s[20:21], s[4:5], 0x10
	s_mov_b32 s0, s7
	v_mov_b32_e32 v19, 0
	v_mov_b32_e32 v21, 0
	;; [unrolled: 1-line block ×16, first 2 shown]
	s_ashr_i32 s7, s6, 31
	s_ashr_i32 s1, s0, 31
	s_waitcnt lgkmcnt(0)
	v_cmp_lt_i64_e64 s2, s[20:21], 1
	s_lshl_b64 s[6:7], s[6:7], 6
	s_lshl_b64 s[10:11], s[0:1], 6
	s_and_b32 vcc_lo, exec_lo, s2
	s_cbranch_vccnz .LBB392_3
; %bb.1:
	v_lshlrev_b32_e32 v4, 4, v1
	s_clause 0x1
	s_load_dwordx4 s[0:3], s[4:5], 0x40
	s_load_dwordx8 s[12:19], s[4:5], 0x20
	v_and_b32_e32 v8, 3, v0
	v_lshlrev_b32_e32 v22, 2, v0
	v_add_nc_u32_e32 v3, v4, v0
	v_add_nc_u32_e32 v23, 0x400, v4
	v_lshlrev_b32_e32 v5, 2, v8
	v_lshrrev_b32_e32 v2, 2, v3
	v_and_b32_e32 v10, 63, v3
	v_lshrrev_b32_e32 v9, 6, v3
	v_mov_b32_e32 v3, 0
	v_lshl_or_b32 v5, v2, 4, v5
	v_lshlrev_b32_e32 v6, 2, v10
	v_mov_b32_e32 v11, v3
	v_mov_b32_e32 v12, v3
	v_add_nc_u32_e32 v25, 0x400, v5
	s_waitcnt lgkmcnt(0)
	v_mad_u64_u32 v[4:5], null, s0, v8, v[2:3]
	v_lshl_or_b32 v24, v9, 8, v6
	v_mad_u64_u32 v[6:7], null, s14, v9, s[6:7]
	s_mul_i32 s3, s3, s8
	s_mul_hi_u32 s9, s2, s8
	s_mul_i32 s2, s2, s8
	v_mov_b32_e32 v2, v5
	v_add_co_u32 v4, vcc_lo, v4, s10
	v_mov_b32_e32 v5, v7
	s_add_i32 s3, s9, s3
	v_mad_u64_u32 v[7:8], null, s1, v8, v[2:3]
	s_lshl_b64 s[2:3], s[2:3], 1
	v_mad_u64_u32 v[8:9], null, s15, v9, v[5:6]
	s_mul_i32 s17, s17, s8
	s_mul_hi_u32 s22, s16, s8
	s_add_u32 s9, s18, s2
	v_add_co_ci_u32_e64 v5, null, s11, v7, vcc_lo
	v_add_co_u32 v6, vcc_lo, v6, v10
	v_add_co_ci_u32_e64 v7, null, 0, v8, vcc_lo
	v_lshlrev_b64 v[4:5], 1, v[4:5]
	s_mul_i32 s16, s16, s8
	s_addc_u32 s18, s19, s3
	s_add_i32 s17, s22, s17
	v_lshlrev_b64 v[6:7], 1, v[6:7]
	s_lshl_b64 s[2:3], s[16:17], 1
	s_lshl_b64 s[0:1], s[0:1], 3
	v_add_co_u32 v4, vcc_lo, s9, v4
	s_add_u32 s2, s12, s2
	v_add_co_ci_u32_e64 v5, null, s18, v5, vcc_lo
	s_addc_u32 s3, s13, s3
	v_add_co_u32 v6, vcc_lo, s2, v6
	v_add_co_ci_u32_e64 v7, null, s3, v7, vcc_lo
	v_mov_b32_e32 v2, v3
	v_mov_b32_e32 v8, v3
	;; [unrolled: 1-line block ×13, first 2 shown]
	s_lshl_b64 s[2:3], s[14:15], 3
	s_mov_b64 s[12:13], 0
.LBB392_2:                              ; =>This Inner Loop Header: Depth=1
	global_load_ushort v26, v[6:7], off
	global_load_ushort v27, v[4:5], off
	s_add_u32 s12, s12, 4
	s_addc_u32 s13, s13, 0
	v_add_co_u32 v4, vcc_lo, v4, s0
	v_cmp_lt_i64_e64 s9, s[12:13], s[20:21]
	v_add_co_ci_u32_e64 v5, null, s1, v5, vcc_lo
	v_add_co_u32 v6, vcc_lo, v6, s2
	v_add_co_ci_u32_e64 v7, null, s3, v7, vcc_lo
	s_and_b32 vcc_lo, exec_lo, s9
	s_waitcnt vmcnt(1)
	v_cvt_f32_f16_e32 v26, v26
	s_waitcnt vmcnt(0)
	v_cvt_f32_f16_e32 v27, v27
	ds_write_b32 v24, v26
	ds_write_b32 v25, v27
	s_waitcnt lgkmcnt(0)
	s_barrier
	buffer_gl0_inv
	ds_read_b128 v[26:29], v23
	ds_read2_b32 v[42:43], v22 offset1:16
	ds_read2_b32 v[44:45], v22 offset0:32 offset1:48
	ds_read_b128 v[30:33], v23 offset:256
	ds_read_b128 v[34:37], v23 offset:512
	;; [unrolled: 1-line block ×3, first 2 shown]
	ds_read2_b32 v[46:47], v22 offset0:64 offset1:80
	ds_read2_b32 v[48:49], v22 offset0:96 offset1:112
	;; [unrolled: 1-line block ×6, first 2 shown]
	s_waitcnt lgkmcnt(0)
	s_barrier
	buffer_gl0_inv
	v_fmac_f32_e32 v19, v42, v26
	v_fmac_f32_e32 v21, v43, v26
	;; [unrolled: 1-line block ×64, first 2 shown]
	s_cbranch_vccnz .LBB392_2
.LBB392_3:
	s_clause 0x3
	s_load_dwordx4 s[0:3], s[4:5], 0x78
	s_load_dword s9, s[4:5], 0x50
	s_load_dwordx8 s[12:19], s[4:5], 0x58
	s_load_dword s4, s[4:5], 0x18
	v_add_co_u32 v5, s5, s6, v0
	v_add_co_ci_u32_e64 v6, null, s7, 0, s5
	v_add_co_u32 v4, s5, s10, v1
	v_add_co_ci_u32_e64 v7, null, s11, 0, s5
	v_lshlrev_b64 v[0:1], 2, v[5:6]
	s_waitcnt lgkmcnt(0)
	s_mul_i32 s3, s3, s8
	s_mul_hi_u32 s5, s2, s8
	v_mul_lo_u32 v5, v7, s0
	v_mul_lo_u32 v6, v4, s1
	s_mul_i32 s2, s2, s8
	v_cmp_neq_f32_e64 s6, s9, 0
	s_add_i32 s3, s5, s3
	s_mov_b32 s5, 0
	s_lshl_b64 s[2:3], s[2:3], 2
	s_add_u32 s2, s18, s2
	s_addc_u32 s3, s19, s3
	s_and_b32 vcc_lo, exec_lo, s6
	s_cbranch_vccnz .LBB392_7
; %bb.4:
	v_mad_u64_u32 v[22:23], null, v4, s0, 0
	s_lshl_b64 s[6:7], s[0:1], 6
	v_mul_f32_e32 v26, s4, v19
	v_mul_f32_e32 v27, s4, v21
	v_mul_f32_e32 v28, s4, v20
	v_mul_f32_e32 v29, s4, v18
	v_mul_f32_e32 v30, s4, v17
	v_add3_u32 v23, v23, v6, v5
	v_mul_f32_e32 v31, s4, v16
	v_mul_f32_e32 v32, s4, v15
	;; [unrolled: 1-line block ×3, first 2 shown]
	v_lshlrev_b64 v[22:23], 2, v[22:23]
	v_add_co_u32 v22, vcc_lo, s2, v22
	v_add_co_ci_u32_e64 v23, null, s3, v23, vcc_lo
	v_add_co_u32 v34, vcc_lo, v22, s6
	v_add_co_ci_u32_e64 v35, null, s7, v23, vcc_lo
	;; [unrolled: 2-line block ×4, first 2 shown]
	global_store_dword v[22:23], v26, off
	global_store_dword v[22:23], v27, off offset:64
	global_store_dword v[22:23], v28, off offset:128
	;; [unrolled: 1-line block ×3, first 2 shown]
	global_store_dword v[24:25], v30, off
	global_store_dword v[24:25], v31, off offset:64
	v_add_co_u32 v26, vcc_lo, v34, s6
	v_add_co_ci_u32_e64 v27, null, s7, v35, vcc_lo
	v_mul_f32_e32 v28, s4, v13
	v_add_co_u32 v22, vcc_lo, v26, v0
	v_add_co_ci_u32_e64 v23, null, v27, v1, vcc_lo
	v_mul_f32_e32 v29, s4, v12
	v_mul_f32_e32 v30, s4, v11
	global_store_dword v[24:25], v32, off offset:128
	global_store_dword v[24:25], v33, off offset:192
	global_store_dword v[22:23], v28, off
	global_store_dword v[22:23], v29, off offset:64
	global_store_dword v[22:23], v30, off offset:128
	v_add_co_u32 v24, vcc_lo, v26, s6
	v_add_co_ci_u32_e64 v25, null, s7, v27, vcc_lo
	v_mul_f32_e32 v28, s4, v10
	v_add_co_u32 v24, vcc_lo, v24, v0
	v_mul_f32_e32 v26, s4, v9
	v_add_co_ci_u32_e64 v25, null, v25, v1, vcc_lo
	v_mul_f32_e32 v27, s4, v8
	v_mul_f32_e32 v29, s4, v2
	v_mul_f32_e32 v30, s4, v3
	global_store_dword v[22:23], v28, off offset:192
	global_store_dword v[24:25], v26, off
	global_store_dword v[24:25], v27, off offset:64
	global_store_dword v[24:25], v29, off offset:128
	;; [unrolled: 1-line block ×3, first 2 shown]
	s_andn2_b32 vcc_lo, exec_lo, s5
	s_cbranch_vccnz .LBB392_6
.LBB392_5:
	v_mul_lo_u32 v7, v7, s14
	v_mul_lo_u32 v24, v4, s15
	v_mad_u64_u32 v[22:23], null, v4, s14, 0
	s_mul_i32 s5, s17, s8
	s_mul_hi_u32 s7, s16, s8
	s_mul_i32 s6, s16, s8
	s_add_i32 s7, s7, s5
	s_lshl_b64 s[6:7], s[6:7], 2
	v_add3_u32 v23, v23, v24, v7
	s_add_u32 s5, s12, s6
	s_addc_u32 s6, s13, s7
	v_mad_u64_u32 v[24:25], null, v4, s0, 0
	v_lshlrev_b64 v[22:23], 2, v[22:23]
	s_lshl_b64 s[0:1], s[0:1], 6
	v_add3_u32 v25, v25, v6, v5
	v_add_co_u32 v7, vcc_lo, s5, v22
	v_add_co_ci_u32_e64 v26, null, s6, v23, vcc_lo
	v_lshlrev_b64 v[4:5], 2, v[24:25]
	v_add_co_u32 v22, vcc_lo, v7, v0
	v_add_co_ci_u32_e64 v23, null, v26, v1, vcc_lo
	v_add_co_u32 v24, vcc_lo, s2, v4
	global_load_dword v27, v[22:23], off
	v_add_co_ci_u32_e64 v25, null, s3, v5, vcc_lo
	v_add_co_u32 v4, vcc_lo, v24, v0
	s_lshl_b64 s[2:3], s[14:15], 6
	v_add_co_ci_u32_e64 v5, null, v25, v1, vcc_lo
	s_waitcnt vmcnt(0)
	v_mul_f32_e32 v6, s9, v27
	v_fmac_f32_e32 v6, s4, v19
	global_store_dword v[4:5], v6, off
	global_load_dword v6, v[22:23], off offset:64
	s_waitcnt vmcnt(0)
	v_mul_f32_e32 v6, s9, v6
	v_fmac_f32_e32 v6, s4, v21
	global_store_dword v[4:5], v6, off offset:64
	global_load_dword v6, v[22:23], off offset:128
	s_waitcnt vmcnt(0)
	v_mul_f32_e32 v6, s9, v6
	v_fmac_f32_e32 v6, s4, v20
	v_add_co_u32 v20, vcc_lo, v7, s2
	v_add_co_ci_u32_e64 v21, null, s3, v26, vcc_lo
	global_store_dword v[4:5], v6, off offset:128
	global_load_dword v6, v[22:23], off offset:192
	s_waitcnt vmcnt(0)
	v_mul_f32_e32 v19, s9, v6
	v_add_co_u32 v6, vcc_lo, v20, v0
	v_add_co_ci_u32_e64 v7, null, v21, v1, vcc_lo
	v_fmac_f32_e32 v19, s4, v18
	v_add_co_u32 v18, vcc_lo, v24, s0
	global_store_dword v[4:5], v19, off offset:192
	global_load_dword v4, v[6:7], off
	v_add_co_ci_u32_e64 v19, null, s1, v25, vcc_lo
	s_waitcnt vmcnt(0)
	v_mul_f32_e32 v22, s9, v4
	v_add_co_u32 v4, vcc_lo, v18, v0
	v_add_co_ci_u32_e64 v5, null, v19, v1, vcc_lo
	v_fmac_f32_e32 v22, s4, v17
	global_store_dword v[4:5], v22, off
	global_load_dword v17, v[6:7], off offset:64
	s_waitcnt vmcnt(0)
	v_mul_f32_e32 v17, s9, v17
	v_fmac_f32_e32 v17, s4, v16
	global_store_dword v[4:5], v17, off offset:64
	global_load_dword v16, v[6:7], off offset:128
	s_waitcnt vmcnt(0)
	v_mul_f32_e32 v16, s9, v16
	v_fmac_f32_e32 v16, s4, v15
	global_store_dword v[4:5], v16, off offset:128
	global_load_dword v6, v[6:7], off offset:192
	v_add_co_u32 v16, vcc_lo, v20, s2
	v_add_co_ci_u32_e64 v17, null, s3, v21, vcc_lo
	s_waitcnt vmcnt(0)
	v_mul_f32_e32 v15, s9, v6
	v_add_co_u32 v6, vcc_lo, v16, v0
	v_add_co_ci_u32_e64 v7, null, v17, v1, vcc_lo
	v_fmac_f32_e32 v15, s4, v14
	v_add_co_u32 v14, vcc_lo, v18, s0
	global_store_dword v[4:5], v15, off offset:192
	global_load_dword v4, v[6:7], off
	v_add_co_ci_u32_e64 v15, null, s1, v19, vcc_lo
	s_waitcnt vmcnt(0)
	v_mul_f32_e32 v18, s9, v4
	v_add_co_u32 v4, vcc_lo, v14, v0
	v_add_co_ci_u32_e64 v5, null, v15, v1, vcc_lo
	v_fmac_f32_e32 v18, s4, v13
	global_store_dword v[4:5], v18, off
	global_load_dword v13, v[6:7], off offset:64
	s_waitcnt vmcnt(0)
	v_mul_f32_e32 v13, s9, v13
	v_fmac_f32_e32 v13, s4, v12
	global_store_dword v[4:5], v13, off offset:64
	global_load_dword v12, v[6:7], off offset:128
	s_waitcnt vmcnt(0)
	v_mul_f32_e32 v12, s9, v12
	v_fmac_f32_e32 v12, s4, v11
	global_store_dword v[4:5], v12, off offset:128
	global_load_dword v6, v[6:7], off offset:192
	s_waitcnt vmcnt(0)
	v_mul_f32_e32 v11, s9, v6
	v_add_co_u32 v6, vcc_lo, v16, s2
	v_add_co_ci_u32_e64 v7, null, s3, v17, vcc_lo
	v_fmac_f32_e32 v11, s4, v10
	v_add_co_u32 v6, vcc_lo, v6, v0
	v_add_co_ci_u32_e64 v7, null, v7, v1, vcc_lo
	global_store_dword v[4:5], v11, off offset:192
	v_add_co_u32 v5, vcc_lo, v14, s0
	global_load_dword v4, v[6:7], off
	v_add_co_ci_u32_e64 v10, null, s1, v15, vcc_lo
	v_add_co_u32 v0, vcc_lo, v5, v0
	v_add_co_ci_u32_e64 v1, null, v10, v1, vcc_lo
	s_waitcnt vmcnt(0)
	v_mul_f32_e32 v4, s9, v4
	v_fmac_f32_e32 v4, s4, v9
	global_store_dword v[0:1], v4, off
	global_load_dword v4, v[6:7], off offset:64
	s_waitcnt vmcnt(0)
	v_mul_f32_e32 v4, s9, v4
	v_fmac_f32_e32 v4, s4, v8
	global_store_dword v[0:1], v4, off offset:64
	global_load_dword v4, v[6:7], off offset:128
	s_waitcnt vmcnt(0)
	v_mul_f32_e32 v4, s9, v4
	v_fmac_f32_e32 v4, s4, v2
	global_store_dword v[0:1], v4, off offset:128
	;; [unrolled: 5-line block ×3, first 2 shown]
.LBB392_6:
	s_endpgm
.LBB392_7:
	s_branch .LBB392_5
	.section	.rodata,"a",@progbits
	.p2align	6, 0x0
	.amdhsa_kernel _ZN12_GLOBAL__N_127rocblas_gemm_batched_kernelIfLi16ELi16ELi64ELi64ELi4ELi64ELi4ELi4ELi64ELc78ELc84EKDF16_KffEEvlllT_PT11_llS5_llS3_PT12_llPT13_lli
		.amdhsa_group_segment_fixed_size 2048
		.amdhsa_private_segment_fixed_size 0
		.amdhsa_kernarg_size 140
		.amdhsa_user_sgpr_count 6
		.amdhsa_user_sgpr_private_segment_buffer 1
		.amdhsa_user_sgpr_dispatch_ptr 0
		.amdhsa_user_sgpr_queue_ptr 0
		.amdhsa_user_sgpr_kernarg_segment_ptr 1
		.amdhsa_user_sgpr_dispatch_id 0
		.amdhsa_user_sgpr_flat_scratch_init 0
		.amdhsa_user_sgpr_private_segment_size 0
		.amdhsa_wavefront_size32 1
		.amdhsa_uses_dynamic_stack 0
		.amdhsa_system_sgpr_private_segment_wavefront_offset 0
		.amdhsa_system_sgpr_workgroup_id_x 1
		.amdhsa_system_sgpr_workgroup_id_y 1
		.amdhsa_system_sgpr_workgroup_id_z 1
		.amdhsa_system_sgpr_workgroup_info 0
		.amdhsa_system_vgpr_workitem_id 1
		.amdhsa_next_free_vgpr 58
		.amdhsa_next_free_sgpr 23
		.amdhsa_reserve_vcc 1
		.amdhsa_reserve_flat_scratch 0
		.amdhsa_float_round_mode_32 0
		.amdhsa_float_round_mode_16_64 0
		.amdhsa_float_denorm_mode_32 3
		.amdhsa_float_denorm_mode_16_64 3
		.amdhsa_dx10_clamp 1
		.amdhsa_ieee_mode 1
		.amdhsa_fp16_overflow 0
		.amdhsa_workgroup_processor_mode 1
		.amdhsa_memory_ordered 1
		.amdhsa_forward_progress 1
		.amdhsa_shared_vgpr_count 0
		.amdhsa_exception_fp_ieee_invalid_op 0
		.amdhsa_exception_fp_denorm_src 0
		.amdhsa_exception_fp_ieee_div_zero 0
		.amdhsa_exception_fp_ieee_overflow 0
		.amdhsa_exception_fp_ieee_underflow 0
		.amdhsa_exception_fp_ieee_inexact 0
		.amdhsa_exception_int_div_zero 0
	.end_amdhsa_kernel
	.section	.text._ZN12_GLOBAL__N_127rocblas_gemm_batched_kernelIfLi16ELi16ELi64ELi64ELi4ELi64ELi4ELi4ELi64ELc78ELc84EKDF16_KffEEvlllT_PT11_llS5_llS3_PT12_llPT13_lli,"axG",@progbits,_ZN12_GLOBAL__N_127rocblas_gemm_batched_kernelIfLi16ELi16ELi64ELi64ELi4ELi64ELi4ELi4ELi64ELc78ELc84EKDF16_KffEEvlllT_PT11_llS5_llS3_PT12_llPT13_lli,comdat
.Lfunc_end392:
	.size	_ZN12_GLOBAL__N_127rocblas_gemm_batched_kernelIfLi16ELi16ELi64ELi64ELi4ELi64ELi4ELi4ELi64ELc78ELc84EKDF16_KffEEvlllT_PT11_llS5_llS3_PT12_llPT13_lli, .Lfunc_end392-_ZN12_GLOBAL__N_127rocblas_gemm_batched_kernelIfLi16ELi16ELi64ELi64ELi4ELi64ELi4ELi4ELi64ELc78ELc84EKDF16_KffEEvlllT_PT11_llS5_llS3_PT12_llPT13_lli
                                        ; -- End function
	.set _ZN12_GLOBAL__N_127rocblas_gemm_batched_kernelIfLi16ELi16ELi64ELi64ELi4ELi64ELi4ELi4ELi64ELc78ELc84EKDF16_KffEEvlllT_PT11_llS5_llS3_PT12_llPT13_lli.num_vgpr, 58
	.set _ZN12_GLOBAL__N_127rocblas_gemm_batched_kernelIfLi16ELi16ELi64ELi64ELi4ELi64ELi4ELi4ELi64ELc78ELc84EKDF16_KffEEvlllT_PT11_llS5_llS3_PT12_llPT13_lli.num_agpr, 0
	.set _ZN12_GLOBAL__N_127rocblas_gemm_batched_kernelIfLi16ELi16ELi64ELi64ELi4ELi64ELi4ELi4ELi64ELc78ELc84EKDF16_KffEEvlllT_PT11_llS5_llS3_PT12_llPT13_lli.numbered_sgpr, 23
	.set _ZN12_GLOBAL__N_127rocblas_gemm_batched_kernelIfLi16ELi16ELi64ELi64ELi4ELi64ELi4ELi4ELi64ELc78ELc84EKDF16_KffEEvlllT_PT11_llS5_llS3_PT12_llPT13_lli.num_named_barrier, 0
	.set _ZN12_GLOBAL__N_127rocblas_gemm_batched_kernelIfLi16ELi16ELi64ELi64ELi4ELi64ELi4ELi4ELi64ELc78ELc84EKDF16_KffEEvlllT_PT11_llS5_llS3_PT12_llPT13_lli.private_seg_size, 0
	.set _ZN12_GLOBAL__N_127rocblas_gemm_batched_kernelIfLi16ELi16ELi64ELi64ELi4ELi64ELi4ELi4ELi64ELc78ELc84EKDF16_KffEEvlllT_PT11_llS5_llS3_PT12_llPT13_lli.uses_vcc, 1
	.set _ZN12_GLOBAL__N_127rocblas_gemm_batched_kernelIfLi16ELi16ELi64ELi64ELi4ELi64ELi4ELi4ELi64ELc78ELc84EKDF16_KffEEvlllT_PT11_llS5_llS3_PT12_llPT13_lli.uses_flat_scratch, 0
	.set _ZN12_GLOBAL__N_127rocblas_gemm_batched_kernelIfLi16ELi16ELi64ELi64ELi4ELi64ELi4ELi4ELi64ELc78ELc84EKDF16_KffEEvlllT_PT11_llS5_llS3_PT12_llPT13_lli.has_dyn_sized_stack, 0
	.set _ZN12_GLOBAL__N_127rocblas_gemm_batched_kernelIfLi16ELi16ELi64ELi64ELi4ELi64ELi4ELi4ELi64ELc78ELc84EKDF16_KffEEvlllT_PT11_llS5_llS3_PT12_llPT13_lli.has_recursion, 0
	.set _ZN12_GLOBAL__N_127rocblas_gemm_batched_kernelIfLi16ELi16ELi64ELi64ELi4ELi64ELi4ELi4ELi64ELc78ELc84EKDF16_KffEEvlllT_PT11_llS5_llS3_PT12_llPT13_lli.has_indirect_call, 0
	.section	.AMDGPU.csdata,"",@progbits
; Kernel info:
; codeLenInByte = 2256
; TotalNumSgprs: 25
; NumVgprs: 58
; ScratchSize: 0
; MemoryBound: 0
; FloatMode: 240
; IeeeMode: 1
; LDSByteSize: 2048 bytes/workgroup (compile time only)
; SGPRBlocks: 0
; VGPRBlocks: 7
; NumSGPRsForWavesPerEU: 25
; NumVGPRsForWavesPerEU: 58
; Occupancy: 16
; WaveLimiterHint : 0
; COMPUTE_PGM_RSRC2:SCRATCH_EN: 0
; COMPUTE_PGM_RSRC2:USER_SGPR: 6
; COMPUTE_PGM_RSRC2:TRAP_HANDLER: 0
; COMPUTE_PGM_RSRC2:TGID_X_EN: 1
; COMPUTE_PGM_RSRC2:TGID_Y_EN: 1
; COMPUTE_PGM_RSRC2:TGID_Z_EN: 1
; COMPUTE_PGM_RSRC2:TIDIG_COMP_CNT: 1
	.section	.text._ZN12_GLOBAL__N_127rocblas_gemm_batched_kernelIfLi16ELi16ELi64ELi64ELi4ELi64ELi4ELi4ELi64ELc84ELc84EKDF16_KffEEvlllT_PT11_llS5_llS3_PT12_llPT13_lli,"axG",@progbits,_ZN12_GLOBAL__N_127rocblas_gemm_batched_kernelIfLi16ELi16ELi64ELi64ELi4ELi64ELi4ELi4ELi64ELc84ELc84EKDF16_KffEEvlllT_PT11_llS5_llS3_PT12_llPT13_lli,comdat
	.globl	_ZN12_GLOBAL__N_127rocblas_gemm_batched_kernelIfLi16ELi16ELi64ELi64ELi4ELi64ELi4ELi4ELi64ELc84ELc84EKDF16_KffEEvlllT_PT11_llS5_llS3_PT12_llPT13_lli ; -- Begin function _ZN12_GLOBAL__N_127rocblas_gemm_batched_kernelIfLi16ELi16ELi64ELi64ELi4ELi64ELi4ELi4ELi64ELc84ELc84EKDF16_KffEEvlllT_PT11_llS5_llS3_PT12_llPT13_lli
	.p2align	8
	.type	_ZN12_GLOBAL__N_127rocblas_gemm_batched_kernelIfLi16ELi16ELi64ELi64ELi4ELi64ELi4ELi4ELi64ELc84ELc84EKDF16_KffEEvlllT_PT11_llS5_llS3_PT12_llPT13_lli,@function
_ZN12_GLOBAL__N_127rocblas_gemm_batched_kernelIfLi16ELi16ELi64ELi64ELi4ELi64ELi4ELi4ELi64ELc84ELc84EKDF16_KffEEvlllT_PT11_llS5_llS3_PT12_llPT13_lli: ; @_ZN12_GLOBAL__N_127rocblas_gemm_batched_kernelIfLi16ELi16ELi64ELi64ELi4ELi64ELi4ELi4ELi64ELc84ELc84EKDF16_KffEEvlllT_PT11_llS5_llS3_PT12_llPT13_lli
; %bb.0:
	s_load_dwordx2 s[20:21], s[4:5], 0x10
	s_mov_b32 s0, s7
	v_mov_b32_e32 v19, 0
	v_mov_b32_e32 v21, 0
	;; [unrolled: 1-line block ×16, first 2 shown]
	s_ashr_i32 s7, s6, 31
	s_ashr_i32 s1, s0, 31
	s_waitcnt lgkmcnt(0)
	v_cmp_lt_i64_e64 s2, s[20:21], 1
	s_lshl_b64 s[6:7], s[6:7], 6
	s_lshl_b64 s[10:11], s[0:1], 6
	s_and_b32 vcc_lo, exec_lo, s2
	s_cbranch_vccnz .LBB393_3
; %bb.1:
	v_lshlrev_b32_e32 v4, 4, v1
	s_clause 0x1
	s_load_dwordx4 s[0:3], s[4:5], 0x40
	s_load_dwordx8 s[12:19], s[4:5], 0x20
	v_and_b32_e32 v8, 3, v0
	v_mov_b32_e32 v3, 0
	v_add_nc_u32_e32 v5, v4, v0
	v_add_nc_u32_e32 v23, 0x400, v4
	v_lshlrev_b32_e32 v22, 2, v0
	v_lshlrev_b32_e32 v6, 2, v8
	v_mov_b32_e32 v13, v3
	v_and_b32_e32 v7, 63, v5
	v_lshrrev_b32_e32 v2, 2, v5
	v_lshrrev_b32_e32 v10, 6, v5
	v_mov_b32_e32 v14, v3
	v_mov_b32_e32 v15, v3
	v_lshlrev_b32_e32 v4, 2, v7
	v_lshl_or_b32 v9, v2, 4, v6
	v_add_co_u32 v6, s9, s6, v7
	v_add_co_ci_u32_e64 v7, null, s7, 0, s9
	v_lshl_or_b32 v24, v10, 8, v4
	s_waitcnt lgkmcnt(0)
	v_mad_u64_u32 v[4:5], null, s0, v8, v[2:3]
	v_mul_lo_u32 v11, s15, v6
	v_mul_lo_u32 v12, s14, v7
	v_mad_u64_u32 v[6:7], null, s14, v6, 0
	s_mul_i32 s3, s3, s8
	s_mul_hi_u32 s9, s2, s8
	v_mov_b32_e32 v2, v5
	s_mul_i32 s2, s2, s8
	s_add_i32 s3, s9, s3
	v_add_nc_u32_e32 v25, 0x400, v9
	v_add3_u32 v7, v7, v12, v11
	v_mad_u64_u32 v[8:9], null, s1, v8, v[2:3]
	s_lshl_b64 s[2:3], s[2:3], 1
	v_lshlrev_b32_e32 v2, 1, v10
	s_add_u32 s9, s18, s2
	s_addc_u32 s14, s19, s3
	s_mul_i32 s2, s17, s8
	s_mul_hi_u32 s3, s16, s8
	v_lshlrev_b64 v[5:6], 1, v[6:7]
	v_add_co_u32 v7, vcc_lo, v4, s10
	s_add_i32 s3, s3, s2
	s_mul_i32 s2, s16, s8
	v_add_co_ci_u32_e64 v8, null, s11, v8, vcc_lo
	s_lshl_b64 s[2:3], s[2:3], 1
	v_mov_b32_e32 v10, v3
	v_add_co_u32 v9, vcc_lo, v5, s2
	v_add_co_ci_u32_e64 v6, null, s3, v6, vcc_lo
	v_lshlrev_b64 v[4:5], 1, v[7:8]
	v_add_co_u32 v2, vcc_lo, v9, v2
	v_add_co_ci_u32_e64 v7, null, 0, v6, vcc_lo
	v_mov_b32_e32 v8, v3
	v_add_co_u32 v4, vcc_lo, s9, v4
	v_add_co_ci_u32_e64 v5, null, s14, v5, vcc_lo
	v_add_co_u32 v6, vcc_lo, s12, v2
	v_add_co_ci_u32_e64 v7, null, s13, v7, vcc_lo
	v_mov_b32_e32 v2, v3
	v_mov_b32_e32 v9, v3
	;; [unrolled: 1-line block ×10, first 2 shown]
	s_lshl_b64 s[0:1], s[0:1], 3
	s_mov_b64 s[2:3], 0
.LBB393_2:                              ; =>This Inner Loop Header: Depth=1
	global_load_ushort v26, v[6:7], off
	global_load_ushort v27, v[4:5], off
	s_add_u32 s2, s2, 4
	s_addc_u32 s3, s3, 0
	v_add_co_u32 v4, vcc_lo, v4, s0
	v_cmp_lt_i64_e64 s9, s[2:3], s[20:21]
	v_add_co_ci_u32_e64 v5, null, s1, v5, vcc_lo
	v_add_co_u32 v6, vcc_lo, v6, 8
	v_add_co_ci_u32_e64 v7, null, 0, v7, vcc_lo
	s_and_b32 vcc_lo, exec_lo, s9
	s_waitcnt vmcnt(1)
	v_cvt_f32_f16_e32 v26, v26
	s_waitcnt vmcnt(0)
	v_cvt_f32_f16_e32 v27, v27
	ds_write_b32 v24, v26
	ds_write_b32 v25, v27
	s_waitcnt lgkmcnt(0)
	s_barrier
	buffer_gl0_inv
	ds_read_b128 v[26:29], v23
	ds_read2_b32 v[42:43], v22 offset1:16
	ds_read2_b32 v[44:45], v22 offset0:32 offset1:48
	ds_read_b128 v[30:33], v23 offset:256
	ds_read_b128 v[34:37], v23 offset:512
	;; [unrolled: 1-line block ×3, first 2 shown]
	ds_read2_b32 v[46:47], v22 offset0:64 offset1:80
	ds_read2_b32 v[48:49], v22 offset0:96 offset1:112
	;; [unrolled: 1-line block ×6, first 2 shown]
	s_waitcnt lgkmcnt(0)
	s_barrier
	buffer_gl0_inv
	v_fmac_f32_e32 v19, v42, v26
	v_fmac_f32_e32 v21, v43, v26
	;; [unrolled: 1-line block ×64, first 2 shown]
	s_cbranch_vccnz .LBB393_2
.LBB393_3:
	s_clause 0x3
	s_load_dwordx4 s[0:3], s[4:5], 0x78
	s_load_dword s9, s[4:5], 0x50
	s_load_dwordx8 s[12:19], s[4:5], 0x58
	s_load_dword s4, s[4:5], 0x18
	v_add_co_u32 v5, s5, s6, v0
	v_add_co_ci_u32_e64 v6, null, s7, 0, s5
	v_add_co_u32 v4, s5, s10, v1
	v_add_co_ci_u32_e64 v7, null, s11, 0, s5
	v_lshlrev_b64 v[0:1], 2, v[5:6]
	s_waitcnt lgkmcnt(0)
	s_mul_i32 s3, s3, s8
	s_mul_hi_u32 s5, s2, s8
	v_mul_lo_u32 v5, v7, s0
	v_mul_lo_u32 v6, v4, s1
	s_mul_i32 s2, s2, s8
	v_cmp_neq_f32_e64 s6, s9, 0
	s_add_i32 s3, s5, s3
	s_mov_b32 s5, 0
	s_lshl_b64 s[2:3], s[2:3], 2
	s_add_u32 s2, s18, s2
	s_addc_u32 s3, s19, s3
	s_and_b32 vcc_lo, exec_lo, s6
	s_cbranch_vccnz .LBB393_7
; %bb.4:
	v_mad_u64_u32 v[22:23], null, v4, s0, 0
	s_lshl_b64 s[6:7], s[0:1], 6
	v_mul_f32_e32 v26, s4, v19
	v_mul_f32_e32 v27, s4, v21
	;; [unrolled: 1-line block ×5, first 2 shown]
	v_add3_u32 v23, v23, v6, v5
	v_mul_f32_e32 v31, s4, v16
	v_mul_f32_e32 v32, s4, v15
	;; [unrolled: 1-line block ×3, first 2 shown]
	v_lshlrev_b64 v[22:23], 2, v[22:23]
	v_add_co_u32 v22, vcc_lo, s2, v22
	v_add_co_ci_u32_e64 v23, null, s3, v23, vcc_lo
	v_add_co_u32 v34, vcc_lo, v22, s6
	v_add_co_ci_u32_e64 v35, null, s7, v23, vcc_lo
	;; [unrolled: 2-line block ×4, first 2 shown]
	global_store_dword v[22:23], v26, off
	global_store_dword v[22:23], v27, off offset:64
	global_store_dword v[22:23], v28, off offset:128
	;; [unrolled: 1-line block ×3, first 2 shown]
	global_store_dword v[24:25], v30, off
	global_store_dword v[24:25], v31, off offset:64
	v_add_co_u32 v26, vcc_lo, v34, s6
	v_add_co_ci_u32_e64 v27, null, s7, v35, vcc_lo
	v_mul_f32_e32 v28, s4, v13
	v_add_co_u32 v22, vcc_lo, v26, v0
	v_add_co_ci_u32_e64 v23, null, v27, v1, vcc_lo
	v_mul_f32_e32 v29, s4, v12
	v_mul_f32_e32 v30, s4, v11
	global_store_dword v[24:25], v32, off offset:128
	global_store_dword v[24:25], v33, off offset:192
	global_store_dword v[22:23], v28, off
	global_store_dword v[22:23], v29, off offset:64
	global_store_dword v[22:23], v30, off offset:128
	v_add_co_u32 v24, vcc_lo, v26, s6
	v_add_co_ci_u32_e64 v25, null, s7, v27, vcc_lo
	v_mul_f32_e32 v28, s4, v10
	v_add_co_u32 v24, vcc_lo, v24, v0
	v_mul_f32_e32 v26, s4, v9
	v_add_co_ci_u32_e64 v25, null, v25, v1, vcc_lo
	v_mul_f32_e32 v27, s4, v8
	v_mul_f32_e32 v29, s4, v2
	;; [unrolled: 1-line block ×3, first 2 shown]
	global_store_dword v[22:23], v28, off offset:192
	global_store_dword v[24:25], v26, off
	global_store_dword v[24:25], v27, off offset:64
	global_store_dword v[24:25], v29, off offset:128
	;; [unrolled: 1-line block ×3, first 2 shown]
	s_andn2_b32 vcc_lo, exec_lo, s5
	s_cbranch_vccnz .LBB393_6
.LBB393_5:
	v_mul_lo_u32 v7, v7, s14
	v_mul_lo_u32 v24, v4, s15
	v_mad_u64_u32 v[22:23], null, v4, s14, 0
	s_mul_i32 s5, s17, s8
	s_mul_hi_u32 s7, s16, s8
	s_mul_i32 s6, s16, s8
	s_add_i32 s7, s7, s5
	s_lshl_b64 s[6:7], s[6:7], 2
	v_add3_u32 v23, v23, v24, v7
	s_add_u32 s5, s12, s6
	s_addc_u32 s6, s13, s7
	v_mad_u64_u32 v[24:25], null, v4, s0, 0
	v_lshlrev_b64 v[22:23], 2, v[22:23]
	s_lshl_b64 s[0:1], s[0:1], 6
	v_add3_u32 v25, v25, v6, v5
	v_add_co_u32 v7, vcc_lo, s5, v22
	v_add_co_ci_u32_e64 v26, null, s6, v23, vcc_lo
	v_lshlrev_b64 v[4:5], 2, v[24:25]
	v_add_co_u32 v22, vcc_lo, v7, v0
	v_add_co_ci_u32_e64 v23, null, v26, v1, vcc_lo
	v_add_co_u32 v24, vcc_lo, s2, v4
	global_load_dword v27, v[22:23], off
	v_add_co_ci_u32_e64 v25, null, s3, v5, vcc_lo
	v_add_co_u32 v4, vcc_lo, v24, v0
	s_lshl_b64 s[2:3], s[14:15], 6
	v_add_co_ci_u32_e64 v5, null, v25, v1, vcc_lo
	s_waitcnt vmcnt(0)
	v_mul_f32_e32 v6, s9, v27
	v_fmac_f32_e32 v6, s4, v19
	global_store_dword v[4:5], v6, off
	global_load_dword v6, v[22:23], off offset:64
	s_waitcnt vmcnt(0)
	v_mul_f32_e32 v6, s9, v6
	v_fmac_f32_e32 v6, s4, v21
	global_store_dword v[4:5], v6, off offset:64
	global_load_dword v6, v[22:23], off offset:128
	s_waitcnt vmcnt(0)
	v_mul_f32_e32 v6, s9, v6
	v_fmac_f32_e32 v6, s4, v20
	v_add_co_u32 v20, vcc_lo, v7, s2
	v_add_co_ci_u32_e64 v21, null, s3, v26, vcc_lo
	global_store_dword v[4:5], v6, off offset:128
	global_load_dword v6, v[22:23], off offset:192
	s_waitcnt vmcnt(0)
	v_mul_f32_e32 v19, s9, v6
	v_add_co_u32 v6, vcc_lo, v20, v0
	v_add_co_ci_u32_e64 v7, null, v21, v1, vcc_lo
	v_fmac_f32_e32 v19, s4, v18
	v_add_co_u32 v18, vcc_lo, v24, s0
	global_store_dword v[4:5], v19, off offset:192
	global_load_dword v4, v[6:7], off
	v_add_co_ci_u32_e64 v19, null, s1, v25, vcc_lo
	s_waitcnt vmcnt(0)
	v_mul_f32_e32 v22, s9, v4
	v_add_co_u32 v4, vcc_lo, v18, v0
	v_add_co_ci_u32_e64 v5, null, v19, v1, vcc_lo
	v_fmac_f32_e32 v22, s4, v17
	global_store_dword v[4:5], v22, off
	global_load_dword v17, v[6:7], off offset:64
	s_waitcnt vmcnt(0)
	v_mul_f32_e32 v17, s9, v17
	v_fmac_f32_e32 v17, s4, v16
	global_store_dword v[4:5], v17, off offset:64
	global_load_dword v16, v[6:7], off offset:128
	s_waitcnt vmcnt(0)
	v_mul_f32_e32 v16, s9, v16
	v_fmac_f32_e32 v16, s4, v15
	global_store_dword v[4:5], v16, off offset:128
	global_load_dword v6, v[6:7], off offset:192
	v_add_co_u32 v16, vcc_lo, v20, s2
	v_add_co_ci_u32_e64 v17, null, s3, v21, vcc_lo
	s_waitcnt vmcnt(0)
	v_mul_f32_e32 v15, s9, v6
	v_add_co_u32 v6, vcc_lo, v16, v0
	v_add_co_ci_u32_e64 v7, null, v17, v1, vcc_lo
	v_fmac_f32_e32 v15, s4, v14
	v_add_co_u32 v14, vcc_lo, v18, s0
	global_store_dword v[4:5], v15, off offset:192
	global_load_dword v4, v[6:7], off
	v_add_co_ci_u32_e64 v15, null, s1, v19, vcc_lo
	s_waitcnt vmcnt(0)
	v_mul_f32_e32 v18, s9, v4
	v_add_co_u32 v4, vcc_lo, v14, v0
	v_add_co_ci_u32_e64 v5, null, v15, v1, vcc_lo
	v_fmac_f32_e32 v18, s4, v13
	global_store_dword v[4:5], v18, off
	global_load_dword v13, v[6:7], off offset:64
	s_waitcnt vmcnt(0)
	v_mul_f32_e32 v13, s9, v13
	v_fmac_f32_e32 v13, s4, v12
	global_store_dword v[4:5], v13, off offset:64
	global_load_dword v12, v[6:7], off offset:128
	s_waitcnt vmcnt(0)
	v_mul_f32_e32 v12, s9, v12
	v_fmac_f32_e32 v12, s4, v11
	global_store_dword v[4:5], v12, off offset:128
	global_load_dword v6, v[6:7], off offset:192
	s_waitcnt vmcnt(0)
	v_mul_f32_e32 v11, s9, v6
	v_add_co_u32 v6, vcc_lo, v16, s2
	v_add_co_ci_u32_e64 v7, null, s3, v17, vcc_lo
	v_fmac_f32_e32 v11, s4, v10
	v_add_co_u32 v6, vcc_lo, v6, v0
	v_add_co_ci_u32_e64 v7, null, v7, v1, vcc_lo
	global_store_dword v[4:5], v11, off offset:192
	v_add_co_u32 v5, vcc_lo, v14, s0
	global_load_dword v4, v[6:7], off
	v_add_co_ci_u32_e64 v10, null, s1, v15, vcc_lo
	v_add_co_u32 v0, vcc_lo, v5, v0
	v_add_co_ci_u32_e64 v1, null, v10, v1, vcc_lo
	s_waitcnt vmcnt(0)
	v_mul_f32_e32 v4, s9, v4
	v_fmac_f32_e32 v4, s4, v9
	global_store_dword v[0:1], v4, off
	global_load_dword v4, v[6:7], off offset:64
	s_waitcnt vmcnt(0)
	v_mul_f32_e32 v4, s9, v4
	v_fmac_f32_e32 v4, s4, v8
	global_store_dword v[0:1], v4, off offset:64
	global_load_dword v4, v[6:7], off offset:128
	s_waitcnt vmcnt(0)
	v_mul_f32_e32 v4, s9, v4
	v_fmac_f32_e32 v4, s4, v2
	global_store_dword v[0:1], v4, off offset:128
	;; [unrolled: 5-line block ×3, first 2 shown]
.LBB393_6:
	s_endpgm
.LBB393_7:
	s_branch .LBB393_5
	.section	.rodata,"a",@progbits
	.p2align	6, 0x0
	.amdhsa_kernel _ZN12_GLOBAL__N_127rocblas_gemm_batched_kernelIfLi16ELi16ELi64ELi64ELi4ELi64ELi4ELi4ELi64ELc84ELc84EKDF16_KffEEvlllT_PT11_llS5_llS3_PT12_llPT13_lli
		.amdhsa_group_segment_fixed_size 2048
		.amdhsa_private_segment_fixed_size 0
		.amdhsa_kernarg_size 140
		.amdhsa_user_sgpr_count 6
		.amdhsa_user_sgpr_private_segment_buffer 1
		.amdhsa_user_sgpr_dispatch_ptr 0
		.amdhsa_user_sgpr_queue_ptr 0
		.amdhsa_user_sgpr_kernarg_segment_ptr 1
		.amdhsa_user_sgpr_dispatch_id 0
		.amdhsa_user_sgpr_flat_scratch_init 0
		.amdhsa_user_sgpr_private_segment_size 0
		.amdhsa_wavefront_size32 1
		.amdhsa_uses_dynamic_stack 0
		.amdhsa_system_sgpr_private_segment_wavefront_offset 0
		.amdhsa_system_sgpr_workgroup_id_x 1
		.amdhsa_system_sgpr_workgroup_id_y 1
		.amdhsa_system_sgpr_workgroup_id_z 1
		.amdhsa_system_sgpr_workgroup_info 0
		.amdhsa_system_vgpr_workitem_id 1
		.amdhsa_next_free_vgpr 58
		.amdhsa_next_free_sgpr 22
		.amdhsa_reserve_vcc 1
		.amdhsa_reserve_flat_scratch 0
		.amdhsa_float_round_mode_32 0
		.amdhsa_float_round_mode_16_64 0
		.amdhsa_float_denorm_mode_32 3
		.amdhsa_float_denorm_mode_16_64 3
		.amdhsa_dx10_clamp 1
		.amdhsa_ieee_mode 1
		.amdhsa_fp16_overflow 0
		.amdhsa_workgroup_processor_mode 1
		.amdhsa_memory_ordered 1
		.amdhsa_forward_progress 1
		.amdhsa_shared_vgpr_count 0
		.amdhsa_exception_fp_ieee_invalid_op 0
		.amdhsa_exception_fp_denorm_src 0
		.amdhsa_exception_fp_ieee_div_zero 0
		.amdhsa_exception_fp_ieee_overflow 0
		.amdhsa_exception_fp_ieee_underflow 0
		.amdhsa_exception_fp_ieee_inexact 0
		.amdhsa_exception_int_div_zero 0
	.end_amdhsa_kernel
	.section	.text._ZN12_GLOBAL__N_127rocblas_gemm_batched_kernelIfLi16ELi16ELi64ELi64ELi4ELi64ELi4ELi4ELi64ELc84ELc84EKDF16_KffEEvlllT_PT11_llS5_llS3_PT12_llPT13_lli,"axG",@progbits,_ZN12_GLOBAL__N_127rocblas_gemm_batched_kernelIfLi16ELi16ELi64ELi64ELi4ELi64ELi4ELi4ELi64ELc84ELc84EKDF16_KffEEvlllT_PT11_llS5_llS3_PT12_llPT13_lli,comdat
.Lfunc_end393:
	.size	_ZN12_GLOBAL__N_127rocblas_gemm_batched_kernelIfLi16ELi16ELi64ELi64ELi4ELi64ELi4ELi4ELi64ELc84ELc84EKDF16_KffEEvlllT_PT11_llS5_llS3_PT12_llPT13_lli, .Lfunc_end393-_ZN12_GLOBAL__N_127rocblas_gemm_batched_kernelIfLi16ELi16ELi64ELi64ELi4ELi64ELi4ELi4ELi64ELc84ELc84EKDF16_KffEEvlllT_PT11_llS5_llS3_PT12_llPT13_lli
                                        ; -- End function
	.set _ZN12_GLOBAL__N_127rocblas_gemm_batched_kernelIfLi16ELi16ELi64ELi64ELi4ELi64ELi4ELi4ELi64ELc84ELc84EKDF16_KffEEvlllT_PT11_llS5_llS3_PT12_llPT13_lli.num_vgpr, 58
	.set _ZN12_GLOBAL__N_127rocblas_gemm_batched_kernelIfLi16ELi16ELi64ELi64ELi4ELi64ELi4ELi4ELi64ELc84ELc84EKDF16_KffEEvlllT_PT11_llS5_llS3_PT12_llPT13_lli.num_agpr, 0
	.set _ZN12_GLOBAL__N_127rocblas_gemm_batched_kernelIfLi16ELi16ELi64ELi64ELi4ELi64ELi4ELi4ELi64ELc84ELc84EKDF16_KffEEvlllT_PT11_llS5_llS3_PT12_llPT13_lli.numbered_sgpr, 22
	.set _ZN12_GLOBAL__N_127rocblas_gemm_batched_kernelIfLi16ELi16ELi64ELi64ELi4ELi64ELi4ELi4ELi64ELc84ELc84EKDF16_KffEEvlllT_PT11_llS5_llS3_PT12_llPT13_lli.num_named_barrier, 0
	.set _ZN12_GLOBAL__N_127rocblas_gemm_batched_kernelIfLi16ELi16ELi64ELi64ELi4ELi64ELi4ELi4ELi64ELc84ELc84EKDF16_KffEEvlllT_PT11_llS5_llS3_PT12_llPT13_lli.private_seg_size, 0
	.set _ZN12_GLOBAL__N_127rocblas_gemm_batched_kernelIfLi16ELi16ELi64ELi64ELi4ELi64ELi4ELi4ELi64ELc84ELc84EKDF16_KffEEvlllT_PT11_llS5_llS3_PT12_llPT13_lli.uses_vcc, 1
	.set _ZN12_GLOBAL__N_127rocblas_gemm_batched_kernelIfLi16ELi16ELi64ELi64ELi4ELi64ELi4ELi4ELi64ELc84ELc84EKDF16_KffEEvlllT_PT11_llS5_llS3_PT12_llPT13_lli.uses_flat_scratch, 0
	.set _ZN12_GLOBAL__N_127rocblas_gemm_batched_kernelIfLi16ELi16ELi64ELi64ELi4ELi64ELi4ELi4ELi64ELc84ELc84EKDF16_KffEEvlllT_PT11_llS5_llS3_PT12_llPT13_lli.has_dyn_sized_stack, 0
	.set _ZN12_GLOBAL__N_127rocblas_gemm_batched_kernelIfLi16ELi16ELi64ELi64ELi4ELi64ELi4ELi4ELi64ELc84ELc84EKDF16_KffEEvlllT_PT11_llS5_llS3_PT12_llPT13_lli.has_recursion, 0
	.set _ZN12_GLOBAL__N_127rocblas_gemm_batched_kernelIfLi16ELi16ELi64ELi64ELi4ELi64ELi4ELi4ELi64ELc84ELc84EKDF16_KffEEvlllT_PT11_llS5_llS3_PT12_llPT13_lli.has_indirect_call, 0
	.section	.AMDGPU.csdata,"",@progbits
; Kernel info:
; codeLenInByte = 2292
; TotalNumSgprs: 24
; NumVgprs: 58
; ScratchSize: 0
; MemoryBound: 0
; FloatMode: 240
; IeeeMode: 1
; LDSByteSize: 2048 bytes/workgroup (compile time only)
; SGPRBlocks: 0
; VGPRBlocks: 7
; NumSGPRsForWavesPerEU: 24
; NumVGPRsForWavesPerEU: 58
; Occupancy: 16
; WaveLimiterHint : 0
; COMPUTE_PGM_RSRC2:SCRATCH_EN: 0
; COMPUTE_PGM_RSRC2:USER_SGPR: 6
; COMPUTE_PGM_RSRC2:TRAP_HANDLER: 0
; COMPUTE_PGM_RSRC2:TGID_X_EN: 1
; COMPUTE_PGM_RSRC2:TGID_Y_EN: 1
; COMPUTE_PGM_RSRC2:TGID_Z_EN: 1
; COMPUTE_PGM_RSRC2:TIDIG_COMP_CNT: 1
	.section	.text._ZN12_GLOBAL__N_127rocblas_gemm_batched_kernelIfLi16ELi16ELi64ELi64ELi4ELi64ELi4ELi4ELi64ELc67ELc67EKDF16_KffEEvlllT_PT11_llS5_llS3_PT12_llPT13_lli,"axG",@progbits,_ZN12_GLOBAL__N_127rocblas_gemm_batched_kernelIfLi16ELi16ELi64ELi64ELi4ELi64ELi4ELi4ELi64ELc67ELc67EKDF16_KffEEvlllT_PT11_llS5_llS3_PT12_llPT13_lli,comdat
	.globl	_ZN12_GLOBAL__N_127rocblas_gemm_batched_kernelIfLi16ELi16ELi64ELi64ELi4ELi64ELi4ELi4ELi64ELc67ELc67EKDF16_KffEEvlllT_PT11_llS5_llS3_PT12_llPT13_lli ; -- Begin function _ZN12_GLOBAL__N_127rocblas_gemm_batched_kernelIfLi16ELi16ELi64ELi64ELi4ELi64ELi4ELi4ELi64ELc67ELc67EKDF16_KffEEvlllT_PT11_llS5_llS3_PT12_llPT13_lli
	.p2align	8
	.type	_ZN12_GLOBAL__N_127rocblas_gemm_batched_kernelIfLi16ELi16ELi64ELi64ELi4ELi64ELi4ELi4ELi64ELc67ELc67EKDF16_KffEEvlllT_PT11_llS5_llS3_PT12_llPT13_lli,@function
_ZN12_GLOBAL__N_127rocblas_gemm_batched_kernelIfLi16ELi16ELi64ELi64ELi4ELi64ELi4ELi4ELi64ELc67ELc67EKDF16_KffEEvlllT_PT11_llS5_llS3_PT12_llPT13_lli: ; @_ZN12_GLOBAL__N_127rocblas_gemm_batched_kernelIfLi16ELi16ELi64ELi64ELi4ELi64ELi4ELi4ELi64ELc67ELc67EKDF16_KffEEvlllT_PT11_llS5_llS3_PT12_llPT13_lli
; %bb.0:
	s_load_dwordx2 s[20:21], s[4:5], 0x10
	s_mov_b32 s0, s7
	v_mov_b32_e32 v19, 0
	v_mov_b32_e32 v21, 0
	;; [unrolled: 1-line block ×16, first 2 shown]
	s_ashr_i32 s7, s6, 31
	s_ashr_i32 s1, s0, 31
	s_waitcnt lgkmcnt(0)
	v_cmp_lt_i64_e64 s2, s[20:21], 1
	s_lshl_b64 s[6:7], s[6:7], 6
	s_lshl_b64 s[10:11], s[0:1], 6
	s_and_b32 vcc_lo, exec_lo, s2
	s_cbranch_vccnz .LBB394_3
; %bb.1:
	v_lshlrev_b32_e32 v4, 4, v1
	s_clause 0x1
	s_load_dwordx4 s[0:3], s[4:5], 0x40
	s_load_dwordx8 s[12:19], s[4:5], 0x20
	v_and_b32_e32 v8, 3, v0
	v_mov_b32_e32 v3, 0
	v_add_nc_u32_e32 v5, v4, v0
	v_add_nc_u32_e32 v23, 0x400, v4
	v_lshlrev_b32_e32 v22, 2, v0
	v_lshlrev_b32_e32 v6, 2, v8
	v_mov_b32_e32 v13, v3
	v_and_b32_e32 v7, 63, v5
	v_lshrrev_b32_e32 v2, 2, v5
	v_lshrrev_b32_e32 v10, 6, v5
	v_mov_b32_e32 v14, v3
	v_mov_b32_e32 v15, v3
	v_lshlrev_b32_e32 v4, 2, v7
	v_lshl_or_b32 v9, v2, 4, v6
	v_add_co_u32 v6, s9, s6, v7
	v_add_co_ci_u32_e64 v7, null, s7, 0, s9
	v_lshl_or_b32 v24, v10, 8, v4
	s_waitcnt lgkmcnt(0)
	v_mad_u64_u32 v[4:5], null, s0, v8, v[2:3]
	v_mul_lo_u32 v11, s15, v6
	v_mul_lo_u32 v12, s14, v7
	v_mad_u64_u32 v[6:7], null, s14, v6, 0
	s_mul_i32 s3, s3, s8
	s_mul_hi_u32 s9, s2, s8
	v_mov_b32_e32 v2, v5
	s_mul_i32 s2, s2, s8
	s_add_i32 s3, s9, s3
	v_add_nc_u32_e32 v25, 0x400, v9
	v_add3_u32 v7, v7, v12, v11
	v_mad_u64_u32 v[8:9], null, s1, v8, v[2:3]
	s_lshl_b64 s[2:3], s[2:3], 1
	v_lshlrev_b32_e32 v2, 1, v10
	s_add_u32 s9, s18, s2
	s_addc_u32 s14, s19, s3
	s_mul_i32 s2, s17, s8
	s_mul_hi_u32 s3, s16, s8
	v_lshlrev_b64 v[5:6], 1, v[6:7]
	v_add_co_u32 v7, vcc_lo, v4, s10
	s_add_i32 s3, s3, s2
	s_mul_i32 s2, s16, s8
	v_add_co_ci_u32_e64 v8, null, s11, v8, vcc_lo
	s_lshl_b64 s[2:3], s[2:3], 1
	v_mov_b32_e32 v10, v3
	v_add_co_u32 v9, vcc_lo, v5, s2
	v_add_co_ci_u32_e64 v6, null, s3, v6, vcc_lo
	v_lshlrev_b64 v[4:5], 1, v[7:8]
	v_add_co_u32 v2, vcc_lo, v9, v2
	v_add_co_ci_u32_e64 v7, null, 0, v6, vcc_lo
	v_mov_b32_e32 v8, v3
	v_add_co_u32 v4, vcc_lo, s9, v4
	v_add_co_ci_u32_e64 v5, null, s14, v5, vcc_lo
	v_add_co_u32 v6, vcc_lo, s12, v2
	v_add_co_ci_u32_e64 v7, null, s13, v7, vcc_lo
	v_mov_b32_e32 v2, v3
	v_mov_b32_e32 v9, v3
	;; [unrolled: 1-line block ×10, first 2 shown]
	s_lshl_b64 s[0:1], s[0:1], 3
	s_mov_b64 s[2:3], 0
.LBB394_2:                              ; =>This Inner Loop Header: Depth=1
	global_load_ushort v26, v[6:7], off
	global_load_ushort v27, v[4:5], off
	s_add_u32 s2, s2, 4
	s_addc_u32 s3, s3, 0
	v_add_co_u32 v4, vcc_lo, v4, s0
	v_cmp_lt_i64_e64 s9, s[2:3], s[20:21]
	v_add_co_ci_u32_e64 v5, null, s1, v5, vcc_lo
	v_add_co_u32 v6, vcc_lo, v6, 8
	v_add_co_ci_u32_e64 v7, null, 0, v7, vcc_lo
	s_and_b32 vcc_lo, exec_lo, s9
	s_waitcnt vmcnt(1)
	v_cvt_f32_f16_e32 v26, v26
	s_waitcnt vmcnt(0)
	v_cvt_f32_f16_e32 v27, v27
	ds_write_b32 v24, v26
	ds_write_b32 v25, v27
	s_waitcnt lgkmcnt(0)
	s_barrier
	buffer_gl0_inv
	ds_read_b128 v[26:29], v23
	ds_read2_b32 v[42:43], v22 offset1:16
	ds_read2_b32 v[44:45], v22 offset0:32 offset1:48
	ds_read_b128 v[30:33], v23 offset:256
	ds_read_b128 v[34:37], v23 offset:512
	;; [unrolled: 1-line block ×3, first 2 shown]
	ds_read2_b32 v[46:47], v22 offset0:64 offset1:80
	ds_read2_b32 v[48:49], v22 offset0:96 offset1:112
	;; [unrolled: 1-line block ×6, first 2 shown]
	s_waitcnt lgkmcnt(0)
	s_barrier
	buffer_gl0_inv
	v_fmac_f32_e32 v19, v42, v26
	v_fmac_f32_e32 v21, v43, v26
	;; [unrolled: 1-line block ×64, first 2 shown]
	s_cbranch_vccnz .LBB394_2
.LBB394_3:
	s_clause 0x3
	s_load_dwordx4 s[0:3], s[4:5], 0x78
	s_load_dword s9, s[4:5], 0x50
	s_load_dwordx8 s[12:19], s[4:5], 0x58
	s_load_dword s4, s[4:5], 0x18
	v_add_co_u32 v5, s5, s6, v0
	v_add_co_ci_u32_e64 v6, null, s7, 0, s5
	v_add_co_u32 v4, s5, s10, v1
	v_add_co_ci_u32_e64 v7, null, s11, 0, s5
	v_lshlrev_b64 v[0:1], 2, v[5:6]
	s_waitcnt lgkmcnt(0)
	s_mul_i32 s3, s3, s8
	s_mul_hi_u32 s5, s2, s8
	v_mul_lo_u32 v5, v7, s0
	v_mul_lo_u32 v6, v4, s1
	s_mul_i32 s2, s2, s8
	v_cmp_neq_f32_e64 s6, s9, 0
	s_add_i32 s3, s5, s3
	s_mov_b32 s5, 0
	s_lshl_b64 s[2:3], s[2:3], 2
	s_add_u32 s2, s18, s2
	s_addc_u32 s3, s19, s3
	s_and_b32 vcc_lo, exec_lo, s6
	s_cbranch_vccnz .LBB394_7
; %bb.4:
	v_mad_u64_u32 v[22:23], null, v4, s0, 0
	s_lshl_b64 s[6:7], s[0:1], 6
	v_mul_f32_e32 v26, s4, v19
	v_mul_f32_e32 v27, s4, v21
	;; [unrolled: 1-line block ×5, first 2 shown]
	v_add3_u32 v23, v23, v6, v5
	v_mul_f32_e32 v31, s4, v16
	v_mul_f32_e32 v32, s4, v15
	;; [unrolled: 1-line block ×3, first 2 shown]
	v_lshlrev_b64 v[22:23], 2, v[22:23]
	v_add_co_u32 v22, vcc_lo, s2, v22
	v_add_co_ci_u32_e64 v23, null, s3, v23, vcc_lo
	v_add_co_u32 v34, vcc_lo, v22, s6
	v_add_co_ci_u32_e64 v35, null, s7, v23, vcc_lo
	v_add_co_u32 v22, vcc_lo, v22, v0
	v_add_co_ci_u32_e64 v23, null, v23, v1, vcc_lo
	v_add_co_u32 v24, vcc_lo, v34, v0
	v_add_co_ci_u32_e64 v25, null, v35, v1, vcc_lo
	global_store_dword v[22:23], v26, off
	global_store_dword v[22:23], v27, off offset:64
	global_store_dword v[22:23], v28, off offset:128
	;; [unrolled: 1-line block ×3, first 2 shown]
	global_store_dword v[24:25], v30, off
	global_store_dword v[24:25], v31, off offset:64
	v_add_co_u32 v26, vcc_lo, v34, s6
	v_add_co_ci_u32_e64 v27, null, s7, v35, vcc_lo
	v_mul_f32_e32 v28, s4, v13
	v_add_co_u32 v22, vcc_lo, v26, v0
	v_add_co_ci_u32_e64 v23, null, v27, v1, vcc_lo
	v_mul_f32_e32 v29, s4, v12
	v_mul_f32_e32 v30, s4, v11
	global_store_dword v[24:25], v32, off offset:128
	global_store_dword v[24:25], v33, off offset:192
	global_store_dword v[22:23], v28, off
	global_store_dword v[22:23], v29, off offset:64
	global_store_dword v[22:23], v30, off offset:128
	v_add_co_u32 v24, vcc_lo, v26, s6
	v_add_co_ci_u32_e64 v25, null, s7, v27, vcc_lo
	v_mul_f32_e32 v28, s4, v10
	v_add_co_u32 v24, vcc_lo, v24, v0
	v_mul_f32_e32 v26, s4, v9
	v_add_co_ci_u32_e64 v25, null, v25, v1, vcc_lo
	v_mul_f32_e32 v27, s4, v8
	v_mul_f32_e32 v29, s4, v2
	v_mul_f32_e32 v30, s4, v3
	global_store_dword v[22:23], v28, off offset:192
	global_store_dword v[24:25], v26, off
	global_store_dword v[24:25], v27, off offset:64
	global_store_dword v[24:25], v29, off offset:128
	;; [unrolled: 1-line block ×3, first 2 shown]
	s_andn2_b32 vcc_lo, exec_lo, s5
	s_cbranch_vccnz .LBB394_6
.LBB394_5:
	v_mul_lo_u32 v7, v7, s14
	v_mul_lo_u32 v24, v4, s15
	v_mad_u64_u32 v[22:23], null, v4, s14, 0
	s_mul_i32 s5, s17, s8
	s_mul_hi_u32 s7, s16, s8
	s_mul_i32 s6, s16, s8
	s_add_i32 s7, s7, s5
	s_lshl_b64 s[6:7], s[6:7], 2
	v_add3_u32 v23, v23, v24, v7
	s_add_u32 s5, s12, s6
	s_addc_u32 s6, s13, s7
	v_mad_u64_u32 v[24:25], null, v4, s0, 0
	v_lshlrev_b64 v[22:23], 2, v[22:23]
	s_lshl_b64 s[0:1], s[0:1], 6
	v_add3_u32 v25, v25, v6, v5
	v_add_co_u32 v7, vcc_lo, s5, v22
	v_add_co_ci_u32_e64 v26, null, s6, v23, vcc_lo
	v_lshlrev_b64 v[4:5], 2, v[24:25]
	v_add_co_u32 v22, vcc_lo, v7, v0
	v_add_co_ci_u32_e64 v23, null, v26, v1, vcc_lo
	v_add_co_u32 v24, vcc_lo, s2, v4
	global_load_dword v27, v[22:23], off
	v_add_co_ci_u32_e64 v25, null, s3, v5, vcc_lo
	v_add_co_u32 v4, vcc_lo, v24, v0
	s_lshl_b64 s[2:3], s[14:15], 6
	v_add_co_ci_u32_e64 v5, null, v25, v1, vcc_lo
	s_waitcnt vmcnt(0)
	v_mul_f32_e32 v6, s9, v27
	v_fmac_f32_e32 v6, s4, v19
	global_store_dword v[4:5], v6, off
	global_load_dword v6, v[22:23], off offset:64
	s_waitcnt vmcnt(0)
	v_mul_f32_e32 v6, s9, v6
	v_fmac_f32_e32 v6, s4, v21
	global_store_dword v[4:5], v6, off offset:64
	global_load_dword v6, v[22:23], off offset:128
	s_waitcnt vmcnt(0)
	v_mul_f32_e32 v6, s9, v6
	v_fmac_f32_e32 v6, s4, v20
	v_add_co_u32 v20, vcc_lo, v7, s2
	v_add_co_ci_u32_e64 v21, null, s3, v26, vcc_lo
	global_store_dword v[4:5], v6, off offset:128
	global_load_dword v6, v[22:23], off offset:192
	s_waitcnt vmcnt(0)
	v_mul_f32_e32 v19, s9, v6
	v_add_co_u32 v6, vcc_lo, v20, v0
	v_add_co_ci_u32_e64 v7, null, v21, v1, vcc_lo
	v_fmac_f32_e32 v19, s4, v18
	v_add_co_u32 v18, vcc_lo, v24, s0
	global_store_dword v[4:5], v19, off offset:192
	global_load_dword v4, v[6:7], off
	v_add_co_ci_u32_e64 v19, null, s1, v25, vcc_lo
	s_waitcnt vmcnt(0)
	v_mul_f32_e32 v22, s9, v4
	v_add_co_u32 v4, vcc_lo, v18, v0
	v_add_co_ci_u32_e64 v5, null, v19, v1, vcc_lo
	v_fmac_f32_e32 v22, s4, v17
	global_store_dword v[4:5], v22, off
	global_load_dword v17, v[6:7], off offset:64
	s_waitcnt vmcnt(0)
	v_mul_f32_e32 v17, s9, v17
	v_fmac_f32_e32 v17, s4, v16
	global_store_dword v[4:5], v17, off offset:64
	global_load_dword v16, v[6:7], off offset:128
	s_waitcnt vmcnt(0)
	v_mul_f32_e32 v16, s9, v16
	v_fmac_f32_e32 v16, s4, v15
	global_store_dword v[4:5], v16, off offset:128
	global_load_dword v6, v[6:7], off offset:192
	v_add_co_u32 v16, vcc_lo, v20, s2
	v_add_co_ci_u32_e64 v17, null, s3, v21, vcc_lo
	s_waitcnt vmcnt(0)
	v_mul_f32_e32 v15, s9, v6
	v_add_co_u32 v6, vcc_lo, v16, v0
	v_add_co_ci_u32_e64 v7, null, v17, v1, vcc_lo
	v_fmac_f32_e32 v15, s4, v14
	v_add_co_u32 v14, vcc_lo, v18, s0
	global_store_dword v[4:5], v15, off offset:192
	global_load_dword v4, v[6:7], off
	v_add_co_ci_u32_e64 v15, null, s1, v19, vcc_lo
	s_waitcnt vmcnt(0)
	v_mul_f32_e32 v18, s9, v4
	v_add_co_u32 v4, vcc_lo, v14, v0
	v_add_co_ci_u32_e64 v5, null, v15, v1, vcc_lo
	v_fmac_f32_e32 v18, s4, v13
	global_store_dword v[4:5], v18, off
	global_load_dword v13, v[6:7], off offset:64
	s_waitcnt vmcnt(0)
	v_mul_f32_e32 v13, s9, v13
	v_fmac_f32_e32 v13, s4, v12
	global_store_dword v[4:5], v13, off offset:64
	global_load_dword v12, v[6:7], off offset:128
	s_waitcnt vmcnt(0)
	v_mul_f32_e32 v12, s9, v12
	v_fmac_f32_e32 v12, s4, v11
	global_store_dword v[4:5], v12, off offset:128
	global_load_dword v6, v[6:7], off offset:192
	s_waitcnt vmcnt(0)
	v_mul_f32_e32 v11, s9, v6
	v_add_co_u32 v6, vcc_lo, v16, s2
	v_add_co_ci_u32_e64 v7, null, s3, v17, vcc_lo
	v_fmac_f32_e32 v11, s4, v10
	v_add_co_u32 v6, vcc_lo, v6, v0
	v_add_co_ci_u32_e64 v7, null, v7, v1, vcc_lo
	global_store_dword v[4:5], v11, off offset:192
	v_add_co_u32 v5, vcc_lo, v14, s0
	global_load_dword v4, v[6:7], off
	v_add_co_ci_u32_e64 v10, null, s1, v15, vcc_lo
	v_add_co_u32 v0, vcc_lo, v5, v0
	v_add_co_ci_u32_e64 v1, null, v10, v1, vcc_lo
	s_waitcnt vmcnt(0)
	v_mul_f32_e32 v4, s9, v4
	v_fmac_f32_e32 v4, s4, v9
	global_store_dword v[0:1], v4, off
	global_load_dword v4, v[6:7], off offset:64
	s_waitcnt vmcnt(0)
	v_mul_f32_e32 v4, s9, v4
	v_fmac_f32_e32 v4, s4, v8
	global_store_dword v[0:1], v4, off offset:64
	global_load_dword v4, v[6:7], off offset:128
	s_waitcnt vmcnt(0)
	v_mul_f32_e32 v4, s9, v4
	v_fmac_f32_e32 v4, s4, v2
	global_store_dword v[0:1], v4, off offset:128
	;; [unrolled: 5-line block ×3, first 2 shown]
.LBB394_6:
	s_endpgm
.LBB394_7:
	s_branch .LBB394_5
	.section	.rodata,"a",@progbits
	.p2align	6, 0x0
	.amdhsa_kernel _ZN12_GLOBAL__N_127rocblas_gemm_batched_kernelIfLi16ELi16ELi64ELi64ELi4ELi64ELi4ELi4ELi64ELc67ELc67EKDF16_KffEEvlllT_PT11_llS5_llS3_PT12_llPT13_lli
		.amdhsa_group_segment_fixed_size 2048
		.amdhsa_private_segment_fixed_size 0
		.amdhsa_kernarg_size 140
		.amdhsa_user_sgpr_count 6
		.amdhsa_user_sgpr_private_segment_buffer 1
		.amdhsa_user_sgpr_dispatch_ptr 0
		.amdhsa_user_sgpr_queue_ptr 0
		.amdhsa_user_sgpr_kernarg_segment_ptr 1
		.amdhsa_user_sgpr_dispatch_id 0
		.amdhsa_user_sgpr_flat_scratch_init 0
		.amdhsa_user_sgpr_private_segment_size 0
		.amdhsa_wavefront_size32 1
		.amdhsa_uses_dynamic_stack 0
		.amdhsa_system_sgpr_private_segment_wavefront_offset 0
		.amdhsa_system_sgpr_workgroup_id_x 1
		.amdhsa_system_sgpr_workgroup_id_y 1
		.amdhsa_system_sgpr_workgroup_id_z 1
		.amdhsa_system_sgpr_workgroup_info 0
		.amdhsa_system_vgpr_workitem_id 1
		.amdhsa_next_free_vgpr 58
		.amdhsa_next_free_sgpr 22
		.amdhsa_reserve_vcc 1
		.amdhsa_reserve_flat_scratch 0
		.amdhsa_float_round_mode_32 0
		.amdhsa_float_round_mode_16_64 0
		.amdhsa_float_denorm_mode_32 3
		.amdhsa_float_denorm_mode_16_64 3
		.amdhsa_dx10_clamp 1
		.amdhsa_ieee_mode 1
		.amdhsa_fp16_overflow 0
		.amdhsa_workgroup_processor_mode 1
		.amdhsa_memory_ordered 1
		.amdhsa_forward_progress 1
		.amdhsa_shared_vgpr_count 0
		.amdhsa_exception_fp_ieee_invalid_op 0
		.amdhsa_exception_fp_denorm_src 0
		.amdhsa_exception_fp_ieee_div_zero 0
		.amdhsa_exception_fp_ieee_overflow 0
		.amdhsa_exception_fp_ieee_underflow 0
		.amdhsa_exception_fp_ieee_inexact 0
		.amdhsa_exception_int_div_zero 0
	.end_amdhsa_kernel
	.section	.text._ZN12_GLOBAL__N_127rocblas_gemm_batched_kernelIfLi16ELi16ELi64ELi64ELi4ELi64ELi4ELi4ELi64ELc67ELc67EKDF16_KffEEvlllT_PT11_llS5_llS3_PT12_llPT13_lli,"axG",@progbits,_ZN12_GLOBAL__N_127rocblas_gemm_batched_kernelIfLi16ELi16ELi64ELi64ELi4ELi64ELi4ELi4ELi64ELc67ELc67EKDF16_KffEEvlllT_PT11_llS5_llS3_PT12_llPT13_lli,comdat
.Lfunc_end394:
	.size	_ZN12_GLOBAL__N_127rocblas_gemm_batched_kernelIfLi16ELi16ELi64ELi64ELi4ELi64ELi4ELi4ELi64ELc67ELc67EKDF16_KffEEvlllT_PT11_llS5_llS3_PT12_llPT13_lli, .Lfunc_end394-_ZN12_GLOBAL__N_127rocblas_gemm_batched_kernelIfLi16ELi16ELi64ELi64ELi4ELi64ELi4ELi4ELi64ELc67ELc67EKDF16_KffEEvlllT_PT11_llS5_llS3_PT12_llPT13_lli
                                        ; -- End function
	.set _ZN12_GLOBAL__N_127rocblas_gemm_batched_kernelIfLi16ELi16ELi64ELi64ELi4ELi64ELi4ELi4ELi64ELc67ELc67EKDF16_KffEEvlllT_PT11_llS5_llS3_PT12_llPT13_lli.num_vgpr, 58
	.set _ZN12_GLOBAL__N_127rocblas_gemm_batched_kernelIfLi16ELi16ELi64ELi64ELi4ELi64ELi4ELi4ELi64ELc67ELc67EKDF16_KffEEvlllT_PT11_llS5_llS3_PT12_llPT13_lli.num_agpr, 0
	.set _ZN12_GLOBAL__N_127rocblas_gemm_batched_kernelIfLi16ELi16ELi64ELi64ELi4ELi64ELi4ELi4ELi64ELc67ELc67EKDF16_KffEEvlllT_PT11_llS5_llS3_PT12_llPT13_lli.numbered_sgpr, 22
	.set _ZN12_GLOBAL__N_127rocblas_gemm_batched_kernelIfLi16ELi16ELi64ELi64ELi4ELi64ELi4ELi4ELi64ELc67ELc67EKDF16_KffEEvlllT_PT11_llS5_llS3_PT12_llPT13_lli.num_named_barrier, 0
	.set _ZN12_GLOBAL__N_127rocblas_gemm_batched_kernelIfLi16ELi16ELi64ELi64ELi4ELi64ELi4ELi4ELi64ELc67ELc67EKDF16_KffEEvlllT_PT11_llS5_llS3_PT12_llPT13_lli.private_seg_size, 0
	.set _ZN12_GLOBAL__N_127rocblas_gemm_batched_kernelIfLi16ELi16ELi64ELi64ELi4ELi64ELi4ELi4ELi64ELc67ELc67EKDF16_KffEEvlllT_PT11_llS5_llS3_PT12_llPT13_lli.uses_vcc, 1
	.set _ZN12_GLOBAL__N_127rocblas_gemm_batched_kernelIfLi16ELi16ELi64ELi64ELi4ELi64ELi4ELi4ELi64ELc67ELc67EKDF16_KffEEvlllT_PT11_llS5_llS3_PT12_llPT13_lli.uses_flat_scratch, 0
	.set _ZN12_GLOBAL__N_127rocblas_gemm_batched_kernelIfLi16ELi16ELi64ELi64ELi4ELi64ELi4ELi4ELi64ELc67ELc67EKDF16_KffEEvlllT_PT11_llS5_llS3_PT12_llPT13_lli.has_dyn_sized_stack, 0
	.set _ZN12_GLOBAL__N_127rocblas_gemm_batched_kernelIfLi16ELi16ELi64ELi64ELi4ELi64ELi4ELi4ELi64ELc67ELc67EKDF16_KffEEvlllT_PT11_llS5_llS3_PT12_llPT13_lli.has_recursion, 0
	.set _ZN12_GLOBAL__N_127rocblas_gemm_batched_kernelIfLi16ELi16ELi64ELi64ELi4ELi64ELi4ELi4ELi64ELc67ELc67EKDF16_KffEEvlllT_PT11_llS5_llS3_PT12_llPT13_lli.has_indirect_call, 0
	.section	.AMDGPU.csdata,"",@progbits
; Kernel info:
; codeLenInByte = 2292
; TotalNumSgprs: 24
; NumVgprs: 58
; ScratchSize: 0
; MemoryBound: 0
; FloatMode: 240
; IeeeMode: 1
; LDSByteSize: 2048 bytes/workgroup (compile time only)
; SGPRBlocks: 0
; VGPRBlocks: 7
; NumSGPRsForWavesPerEU: 24
; NumVGPRsForWavesPerEU: 58
; Occupancy: 16
; WaveLimiterHint : 0
; COMPUTE_PGM_RSRC2:SCRATCH_EN: 0
; COMPUTE_PGM_RSRC2:USER_SGPR: 6
; COMPUTE_PGM_RSRC2:TRAP_HANDLER: 0
; COMPUTE_PGM_RSRC2:TGID_X_EN: 1
; COMPUTE_PGM_RSRC2:TGID_Y_EN: 1
; COMPUTE_PGM_RSRC2:TGID_Z_EN: 1
; COMPUTE_PGM_RSRC2:TIDIG_COMP_CNT: 1
	.section	.text._ZN12_GLOBAL__N_127rocblas_gemm_batched_kernelIfLi16ELi16ELi64ELi64ELi4ELi64ELi4ELi4ELi64ELc67ELc78EKDF16_KffEEvlllT_PT11_llS5_llS3_PT12_llPT13_lli,"axG",@progbits,_ZN12_GLOBAL__N_127rocblas_gemm_batched_kernelIfLi16ELi16ELi64ELi64ELi4ELi64ELi4ELi4ELi64ELc67ELc78EKDF16_KffEEvlllT_PT11_llS5_llS3_PT12_llPT13_lli,comdat
	.globl	_ZN12_GLOBAL__N_127rocblas_gemm_batched_kernelIfLi16ELi16ELi64ELi64ELi4ELi64ELi4ELi4ELi64ELc67ELc78EKDF16_KffEEvlllT_PT11_llS5_llS3_PT12_llPT13_lli ; -- Begin function _ZN12_GLOBAL__N_127rocblas_gemm_batched_kernelIfLi16ELi16ELi64ELi64ELi4ELi64ELi4ELi4ELi64ELc67ELc78EKDF16_KffEEvlllT_PT11_llS5_llS3_PT12_llPT13_lli
	.p2align	8
	.type	_ZN12_GLOBAL__N_127rocblas_gemm_batched_kernelIfLi16ELi16ELi64ELi64ELi4ELi64ELi4ELi4ELi64ELc67ELc78EKDF16_KffEEvlllT_PT11_llS5_llS3_PT12_llPT13_lli,@function
_ZN12_GLOBAL__N_127rocblas_gemm_batched_kernelIfLi16ELi16ELi64ELi64ELi4ELi64ELi4ELi4ELi64ELc67ELc78EKDF16_KffEEvlllT_PT11_llS5_llS3_PT12_llPT13_lli: ; @_ZN12_GLOBAL__N_127rocblas_gemm_batched_kernelIfLi16ELi16ELi64ELi64ELi4ELi64ELi4ELi4ELi64ELc67ELc78EKDF16_KffEEvlllT_PT11_llS5_llS3_PT12_llPT13_lli
; %bb.0:
	s_load_dwordx2 s[20:21], s[4:5], 0x10
	s_mov_b32 s0, s7
	v_mov_b32_e32 v19, 0
	v_mov_b32_e32 v21, 0
	;; [unrolled: 1-line block ×16, first 2 shown]
	s_ashr_i32 s7, s6, 31
	s_ashr_i32 s1, s0, 31
	s_waitcnt lgkmcnt(0)
	v_cmp_lt_i64_e64 s2, s[20:21], 1
	s_lshl_b64 s[6:7], s[6:7], 6
	s_lshl_b64 s[10:11], s[0:1], 6
	s_and_b32 vcc_lo, exec_lo, s2
	s_cbranch_vccnz .LBB395_3
; %bb.1:
	v_lshlrev_b32_e32 v7, 4, v1
	s_clause 0x1
	s_load_dwordx4 s[0:3], s[4:5], 0x40
	s_load_dwordx8 s[12:19], s[4:5], 0x20
	v_and_b32_e32 v8, 3, v0
	v_mov_b32_e32 v6, 0
	v_add_nc_u32_e32 v2, v7, v0
	v_add_nc_u32_e32 v25, 0x400, v7
	v_lshlrev_b32_e32 v22, 2, v0
	v_lshlrev_b32_e32 v4, 2, v8
	v_mov_b32_e32 v14, 0
	v_lshrrev_b32_e32 v3, 2, v2
	v_and_b32_e32 v5, 63, v2
	v_lshrrev_b32_e32 v11, 6, v2
	v_mov_b32_e32 v15, 0
	v_mov_b32_e32 v16, 0
	v_add_co_u32 v9, s9, v3, s10
	v_add_co_ci_u32_e64 v10, null, 0, s11, s9
	v_lshl_or_b32 v4, v3, 4, v4
	v_lshlrev_b32_e32 v12, 2, v5
	s_waitcnt lgkmcnt(0)
	v_mul_lo_u32 v13, s1, v9
	v_mul_lo_u32 v10, s0, v10
	v_mad_u64_u32 v[2:3], null, s0, v9, 0
	v_add_co_u32 v5, s0, s6, v5
	v_add_co_ci_u32_e64 v9, null, s7, 0, s0
	v_lshl_or_b32 v23, v11, 8, v12
	v_add_nc_u32_e32 v24, 0x400, v4
	v_mul_lo_u32 v12, s15, v5
	v_add3_u32 v3, v3, v10, v13
	v_mul_lo_u32 v9, s14, v9
	v_mad_u64_u32 v[4:5], null, s14, v5, 0
	s_mul_i32 s0, s3, s8
	s_mul_hi_u32 s1, s2, s8
	v_lshlrev_b64 v[2:3], 1, v[2:3]
	s_add_i32 s1, s1, s0
	s_mul_i32 s0, s2, s8
	v_mov_b32_e32 v10, 0
	v_add3_u32 v5, v5, v9, v12
	s_lshl_b64 s[0:1], s[0:1], 1
	v_mov_b32_e32 v12, 0
	v_add_co_u32 v7, vcc_lo, v2, s0
	v_add_co_ci_u32_e64 v9, null, s1, v3, vcc_lo
	s_mul_i32 s0, s17, s8
	s_mul_hi_u32 s1, s16, s8
	v_lshlrev_b64 v[2:3], 1, v[4:5]
	s_add_i32 s1, s1, s0
	s_mul_i32 s0, s16, s8
	v_lshlrev_b32_e32 v4, 1, v8
	s_lshl_b64 s[0:1], s[0:1], 1
	v_lshlrev_b32_e32 v5, 1, v11
	v_add_co_u32 v2, vcc_lo, v2, s0
	v_add_co_ci_u32_e64 v3, null, s1, v3, vcc_lo
	v_add_co_u32 v4, vcc_lo, v7, v4
	v_add_co_ci_u32_e64 v7, null, 0, v9, vcc_lo
	;; [unrolled: 2-line block ×5, first 2 shown]
	v_mov_b32_e32 v7, 0
	v_mov_b32_e32 v8, 0
	;; [unrolled: 1-line block ×10, first 2 shown]
	s_mov_b64 s[0:1], 0
.LBB395_2:                              ; =>This Inner Loop Header: Depth=1
	global_load_ushort v26, v[4:5], off
	global_load_ushort v27, v[2:3], off
	s_add_u32 s0, s0, 4
	s_addc_u32 s1, s1, 0
	v_add_co_u32 v2, vcc_lo, v2, 8
	v_cmp_lt_i64_e64 s2, s[0:1], s[20:21]
	v_add_co_ci_u32_e64 v3, null, 0, v3, vcc_lo
	v_add_co_u32 v4, vcc_lo, v4, 8
	v_add_co_ci_u32_e64 v5, null, 0, v5, vcc_lo
	s_and_b32 vcc_lo, exec_lo, s2
	s_waitcnt vmcnt(1)
	v_cvt_f32_f16_e32 v26, v26
	s_waitcnt vmcnt(0)
	v_cvt_f32_f16_e32 v27, v27
	ds_write_b32 v23, v26
	ds_write_b32 v24, v27
	s_waitcnt lgkmcnt(0)
	s_barrier
	buffer_gl0_inv
	ds_read_b128 v[26:29], v25
	ds_read2_b32 v[42:43], v22 offset1:16
	ds_read2_b32 v[44:45], v22 offset0:32 offset1:48
	ds_read_b128 v[30:33], v25 offset:256
	ds_read_b128 v[34:37], v25 offset:512
	;; [unrolled: 1-line block ×3, first 2 shown]
	ds_read2_b32 v[46:47], v22 offset0:64 offset1:80
	ds_read2_b32 v[48:49], v22 offset0:96 offset1:112
	;; [unrolled: 1-line block ×6, first 2 shown]
	s_waitcnt lgkmcnt(0)
	s_barrier
	buffer_gl0_inv
	v_fmac_f32_e32 v19, v42, v26
	v_fmac_f32_e32 v21, v43, v26
	;; [unrolled: 1-line block ×64, first 2 shown]
	s_cbranch_vccnz .LBB395_2
.LBB395_3:
	s_clause 0x3
	s_load_dwordx4 s[0:3], s[4:5], 0x78
	s_load_dword s9, s[4:5], 0x50
	s_load_dwordx8 s[12:19], s[4:5], 0x58
	s_load_dword s4, s[4:5], 0x18
	v_add_co_u32 v3, s5, s6, v0
	v_add_co_ci_u32_e64 v4, null, s7, 0, s5
	v_add_co_u32 v2, s5, s10, v1
	v_add_co_ci_u32_e64 v5, null, s11, 0, s5
	v_lshlrev_b64 v[0:1], 2, v[3:4]
	s_waitcnt lgkmcnt(0)
	s_mul_i32 s3, s3, s8
	s_mul_hi_u32 s5, s2, s8
	v_mul_lo_u32 v3, v5, s0
	v_mul_lo_u32 v4, v2, s1
	s_mul_i32 s2, s2, s8
	v_cmp_neq_f32_e64 s6, s9, 0
	s_add_i32 s3, s5, s3
	s_mov_b32 s5, 0
	s_lshl_b64 s[2:3], s[2:3], 2
	s_add_u32 s2, s18, s2
	s_addc_u32 s3, s19, s3
	s_and_b32 vcc_lo, exec_lo, s6
	s_cbranch_vccnz .LBB395_7
; %bb.4:
	v_mad_u64_u32 v[22:23], null, v2, s0, 0
	s_lshl_b64 s[6:7], s[0:1], 6
	v_mul_f32_e32 v26, s4, v19
	v_mul_f32_e32 v27, s4, v21
	;; [unrolled: 1-line block ×5, first 2 shown]
	v_add3_u32 v23, v23, v4, v3
	v_mul_f32_e32 v31, s4, v16
	v_mul_f32_e32 v32, s4, v15
	;; [unrolled: 1-line block ×3, first 2 shown]
	v_lshlrev_b64 v[22:23], 2, v[22:23]
	v_add_co_u32 v22, vcc_lo, s2, v22
	v_add_co_ci_u32_e64 v23, null, s3, v23, vcc_lo
	v_add_co_u32 v34, vcc_lo, v22, s6
	v_add_co_ci_u32_e64 v35, null, s7, v23, vcc_lo
	;; [unrolled: 2-line block ×4, first 2 shown]
	global_store_dword v[22:23], v26, off
	global_store_dword v[22:23], v27, off offset:64
	global_store_dword v[22:23], v28, off offset:128
	;; [unrolled: 1-line block ×3, first 2 shown]
	global_store_dword v[24:25], v30, off
	global_store_dword v[24:25], v31, off offset:64
	v_add_co_u32 v26, vcc_lo, v34, s6
	v_add_co_ci_u32_e64 v27, null, s7, v35, vcc_lo
	v_mul_f32_e32 v28, s4, v13
	v_add_co_u32 v22, vcc_lo, v26, v0
	v_add_co_ci_u32_e64 v23, null, v27, v1, vcc_lo
	v_mul_f32_e32 v29, s4, v12
	v_mul_f32_e32 v30, s4, v11
	global_store_dword v[24:25], v32, off offset:128
	global_store_dword v[24:25], v33, off offset:192
	global_store_dword v[22:23], v28, off
	global_store_dword v[22:23], v29, off offset:64
	global_store_dword v[22:23], v30, off offset:128
	v_add_co_u32 v24, vcc_lo, v26, s6
	v_add_co_ci_u32_e64 v25, null, s7, v27, vcc_lo
	v_mul_f32_e32 v28, s4, v10
	v_add_co_u32 v24, vcc_lo, v24, v0
	v_mul_f32_e32 v26, s4, v9
	v_add_co_ci_u32_e64 v25, null, v25, v1, vcc_lo
	v_mul_f32_e32 v27, s4, v8
	v_mul_f32_e32 v29, s4, v7
	v_mul_f32_e32 v30, s4, v6
	global_store_dword v[22:23], v28, off offset:192
	global_store_dword v[24:25], v26, off
	global_store_dword v[24:25], v27, off offset:64
	global_store_dword v[24:25], v29, off offset:128
	;; [unrolled: 1-line block ×3, first 2 shown]
	s_andn2_b32 vcc_lo, exec_lo, s5
	s_cbranch_vccnz .LBB395_6
.LBB395_5:
	v_mul_lo_u32 v5, v5, s14
	v_mul_lo_u32 v24, v2, s15
	v_mad_u64_u32 v[22:23], null, v2, s14, 0
	s_mul_i32 s5, s17, s8
	s_mul_hi_u32 s7, s16, s8
	s_mul_i32 s6, s16, s8
	s_add_i32 s7, s7, s5
	s_lshl_b64 s[6:7], s[6:7], 2
	v_add3_u32 v23, v23, v24, v5
	s_add_u32 s5, s12, s6
	s_addc_u32 s6, s13, s7
	v_mad_u64_u32 v[24:25], null, v2, s0, 0
	v_lshlrev_b64 v[22:23], 2, v[22:23]
	s_lshl_b64 s[0:1], s[0:1], 6
	v_add3_u32 v25, v25, v4, v3
	v_add_co_u32 v5, vcc_lo, s5, v22
	v_add_co_ci_u32_e64 v26, null, s6, v23, vcc_lo
	v_lshlrev_b64 v[2:3], 2, v[24:25]
	v_add_co_u32 v22, vcc_lo, v5, v0
	v_add_co_ci_u32_e64 v23, null, v26, v1, vcc_lo
	v_add_co_u32 v24, vcc_lo, s2, v2
	global_load_dword v27, v[22:23], off
	v_add_co_ci_u32_e64 v25, null, s3, v3, vcc_lo
	v_add_co_u32 v2, vcc_lo, v24, v0
	s_lshl_b64 s[2:3], s[14:15], 6
	v_add_co_ci_u32_e64 v3, null, v25, v1, vcc_lo
	s_waitcnt vmcnt(0)
	v_mul_f32_e32 v4, s9, v27
	v_fmac_f32_e32 v4, s4, v19
	global_store_dword v[2:3], v4, off
	global_load_dword v4, v[22:23], off offset:64
	s_waitcnt vmcnt(0)
	v_mul_f32_e32 v4, s9, v4
	v_fmac_f32_e32 v4, s4, v21
	global_store_dword v[2:3], v4, off offset:64
	global_load_dword v4, v[22:23], off offset:128
	s_waitcnt vmcnt(0)
	v_mul_f32_e32 v4, s9, v4
	v_fmac_f32_e32 v4, s4, v20
	v_add_co_u32 v20, vcc_lo, v5, s2
	v_add_co_ci_u32_e64 v21, null, s3, v26, vcc_lo
	global_store_dword v[2:3], v4, off offset:128
	global_load_dword v4, v[22:23], off offset:192
	s_waitcnt vmcnt(0)
	v_mul_f32_e32 v19, s9, v4
	v_add_co_u32 v4, vcc_lo, v20, v0
	v_add_co_ci_u32_e64 v5, null, v21, v1, vcc_lo
	v_fmac_f32_e32 v19, s4, v18
	v_add_co_u32 v18, vcc_lo, v24, s0
	global_store_dword v[2:3], v19, off offset:192
	global_load_dword v2, v[4:5], off
	v_add_co_ci_u32_e64 v19, null, s1, v25, vcc_lo
	s_waitcnt vmcnt(0)
	v_mul_f32_e32 v22, s9, v2
	v_add_co_u32 v2, vcc_lo, v18, v0
	v_add_co_ci_u32_e64 v3, null, v19, v1, vcc_lo
	v_fmac_f32_e32 v22, s4, v17
	global_store_dword v[2:3], v22, off
	global_load_dword v17, v[4:5], off offset:64
	s_waitcnt vmcnt(0)
	v_mul_f32_e32 v17, s9, v17
	v_fmac_f32_e32 v17, s4, v16
	global_store_dword v[2:3], v17, off offset:64
	global_load_dword v16, v[4:5], off offset:128
	s_waitcnt vmcnt(0)
	v_mul_f32_e32 v16, s9, v16
	v_fmac_f32_e32 v16, s4, v15
	global_store_dword v[2:3], v16, off offset:128
	global_load_dword v4, v[4:5], off offset:192
	v_add_co_u32 v16, vcc_lo, v20, s2
	v_add_co_ci_u32_e64 v17, null, s3, v21, vcc_lo
	s_waitcnt vmcnt(0)
	v_mul_f32_e32 v15, s9, v4
	v_add_co_u32 v4, vcc_lo, v16, v0
	v_add_co_ci_u32_e64 v5, null, v17, v1, vcc_lo
	v_fmac_f32_e32 v15, s4, v14
	v_add_co_u32 v14, vcc_lo, v18, s0
	global_store_dword v[2:3], v15, off offset:192
	global_load_dword v2, v[4:5], off
	v_add_co_ci_u32_e64 v15, null, s1, v19, vcc_lo
	s_waitcnt vmcnt(0)
	v_mul_f32_e32 v18, s9, v2
	v_add_co_u32 v2, vcc_lo, v14, v0
	v_add_co_ci_u32_e64 v3, null, v15, v1, vcc_lo
	v_fmac_f32_e32 v18, s4, v13
	global_store_dword v[2:3], v18, off
	global_load_dword v13, v[4:5], off offset:64
	s_waitcnt vmcnt(0)
	v_mul_f32_e32 v13, s9, v13
	v_fmac_f32_e32 v13, s4, v12
	global_store_dword v[2:3], v13, off offset:64
	global_load_dword v12, v[4:5], off offset:128
	s_waitcnt vmcnt(0)
	v_mul_f32_e32 v12, s9, v12
	v_fmac_f32_e32 v12, s4, v11
	global_store_dword v[2:3], v12, off offset:128
	global_load_dword v4, v[4:5], off offset:192
	s_waitcnt vmcnt(0)
	v_mul_f32_e32 v11, s9, v4
	v_add_co_u32 v4, vcc_lo, v16, s2
	v_add_co_ci_u32_e64 v5, null, s3, v17, vcc_lo
	v_fmac_f32_e32 v11, s4, v10
	v_add_co_u32 v4, vcc_lo, v4, v0
	v_add_co_ci_u32_e64 v5, null, v5, v1, vcc_lo
	global_store_dword v[2:3], v11, off offset:192
	v_add_co_u32 v3, vcc_lo, v14, s0
	global_load_dword v2, v[4:5], off
	v_add_co_ci_u32_e64 v10, null, s1, v15, vcc_lo
	v_add_co_u32 v0, vcc_lo, v3, v0
	v_add_co_ci_u32_e64 v1, null, v10, v1, vcc_lo
	s_waitcnt vmcnt(0)
	v_mul_f32_e32 v2, s9, v2
	v_fmac_f32_e32 v2, s4, v9
	global_store_dword v[0:1], v2, off
	global_load_dword v2, v[4:5], off offset:64
	s_waitcnt vmcnt(0)
	v_mul_f32_e32 v2, s9, v2
	v_fmac_f32_e32 v2, s4, v8
	global_store_dword v[0:1], v2, off offset:64
	global_load_dword v2, v[4:5], off offset:128
	s_waitcnt vmcnt(0)
	v_mul_f32_e32 v2, s9, v2
	v_fmac_f32_e32 v2, s4, v7
	global_store_dword v[0:1], v2, off offset:128
	;; [unrolled: 5-line block ×3, first 2 shown]
.LBB395_6:
	s_endpgm
.LBB395_7:
	s_branch .LBB395_5
	.section	.rodata,"a",@progbits
	.p2align	6, 0x0
	.amdhsa_kernel _ZN12_GLOBAL__N_127rocblas_gemm_batched_kernelIfLi16ELi16ELi64ELi64ELi4ELi64ELi4ELi4ELi64ELc67ELc78EKDF16_KffEEvlllT_PT11_llS5_llS3_PT12_llPT13_lli
		.amdhsa_group_segment_fixed_size 2048
		.amdhsa_private_segment_fixed_size 0
		.amdhsa_kernarg_size 140
		.amdhsa_user_sgpr_count 6
		.amdhsa_user_sgpr_private_segment_buffer 1
		.amdhsa_user_sgpr_dispatch_ptr 0
		.amdhsa_user_sgpr_queue_ptr 0
		.amdhsa_user_sgpr_kernarg_segment_ptr 1
		.amdhsa_user_sgpr_dispatch_id 0
		.amdhsa_user_sgpr_flat_scratch_init 0
		.amdhsa_user_sgpr_private_segment_size 0
		.amdhsa_wavefront_size32 1
		.amdhsa_uses_dynamic_stack 0
		.amdhsa_system_sgpr_private_segment_wavefront_offset 0
		.amdhsa_system_sgpr_workgroup_id_x 1
		.amdhsa_system_sgpr_workgroup_id_y 1
		.amdhsa_system_sgpr_workgroup_id_z 1
		.amdhsa_system_sgpr_workgroup_info 0
		.amdhsa_system_vgpr_workitem_id 1
		.amdhsa_next_free_vgpr 58
		.amdhsa_next_free_sgpr 22
		.amdhsa_reserve_vcc 1
		.amdhsa_reserve_flat_scratch 0
		.amdhsa_float_round_mode_32 0
		.amdhsa_float_round_mode_16_64 0
		.amdhsa_float_denorm_mode_32 3
		.amdhsa_float_denorm_mode_16_64 3
		.amdhsa_dx10_clamp 1
		.amdhsa_ieee_mode 1
		.amdhsa_fp16_overflow 0
		.amdhsa_workgroup_processor_mode 1
		.amdhsa_memory_ordered 1
		.amdhsa_forward_progress 1
		.amdhsa_shared_vgpr_count 0
		.amdhsa_exception_fp_ieee_invalid_op 0
		.amdhsa_exception_fp_denorm_src 0
		.amdhsa_exception_fp_ieee_div_zero 0
		.amdhsa_exception_fp_ieee_overflow 0
		.amdhsa_exception_fp_ieee_underflow 0
		.amdhsa_exception_fp_ieee_inexact 0
		.amdhsa_exception_int_div_zero 0
	.end_amdhsa_kernel
	.section	.text._ZN12_GLOBAL__N_127rocblas_gemm_batched_kernelIfLi16ELi16ELi64ELi64ELi4ELi64ELi4ELi4ELi64ELc67ELc78EKDF16_KffEEvlllT_PT11_llS5_llS3_PT12_llPT13_lli,"axG",@progbits,_ZN12_GLOBAL__N_127rocblas_gemm_batched_kernelIfLi16ELi16ELi64ELi64ELi4ELi64ELi4ELi4ELi64ELc67ELc78EKDF16_KffEEvlllT_PT11_llS5_llS3_PT12_llPT13_lli,comdat
.Lfunc_end395:
	.size	_ZN12_GLOBAL__N_127rocblas_gemm_batched_kernelIfLi16ELi16ELi64ELi64ELi4ELi64ELi4ELi4ELi64ELc67ELc78EKDF16_KffEEvlllT_PT11_llS5_llS3_PT12_llPT13_lli, .Lfunc_end395-_ZN12_GLOBAL__N_127rocblas_gemm_batched_kernelIfLi16ELi16ELi64ELi64ELi4ELi64ELi4ELi4ELi64ELc67ELc78EKDF16_KffEEvlllT_PT11_llS5_llS3_PT12_llPT13_lli
                                        ; -- End function
	.set _ZN12_GLOBAL__N_127rocblas_gemm_batched_kernelIfLi16ELi16ELi64ELi64ELi4ELi64ELi4ELi4ELi64ELc67ELc78EKDF16_KffEEvlllT_PT11_llS5_llS3_PT12_llPT13_lli.num_vgpr, 58
	.set _ZN12_GLOBAL__N_127rocblas_gemm_batched_kernelIfLi16ELi16ELi64ELi64ELi4ELi64ELi4ELi4ELi64ELc67ELc78EKDF16_KffEEvlllT_PT11_llS5_llS3_PT12_llPT13_lli.num_agpr, 0
	.set _ZN12_GLOBAL__N_127rocblas_gemm_batched_kernelIfLi16ELi16ELi64ELi64ELi4ELi64ELi4ELi4ELi64ELc67ELc78EKDF16_KffEEvlllT_PT11_llS5_llS3_PT12_llPT13_lli.numbered_sgpr, 22
	.set _ZN12_GLOBAL__N_127rocblas_gemm_batched_kernelIfLi16ELi16ELi64ELi64ELi4ELi64ELi4ELi4ELi64ELc67ELc78EKDF16_KffEEvlllT_PT11_llS5_llS3_PT12_llPT13_lli.num_named_barrier, 0
	.set _ZN12_GLOBAL__N_127rocblas_gemm_batched_kernelIfLi16ELi16ELi64ELi64ELi4ELi64ELi4ELi4ELi64ELc67ELc78EKDF16_KffEEvlllT_PT11_llS5_llS3_PT12_llPT13_lli.private_seg_size, 0
	.set _ZN12_GLOBAL__N_127rocblas_gemm_batched_kernelIfLi16ELi16ELi64ELi64ELi4ELi64ELi4ELi4ELi64ELc67ELc78EKDF16_KffEEvlllT_PT11_llS5_llS3_PT12_llPT13_lli.uses_vcc, 1
	.set _ZN12_GLOBAL__N_127rocblas_gemm_batched_kernelIfLi16ELi16ELi64ELi64ELi4ELi64ELi4ELi4ELi64ELc67ELc78EKDF16_KffEEvlllT_PT11_llS5_llS3_PT12_llPT13_lli.uses_flat_scratch, 0
	.set _ZN12_GLOBAL__N_127rocblas_gemm_batched_kernelIfLi16ELi16ELi64ELi64ELi4ELi64ELi4ELi4ELi64ELc67ELc78EKDF16_KffEEvlllT_PT11_llS5_llS3_PT12_llPT13_lli.has_dyn_sized_stack, 0
	.set _ZN12_GLOBAL__N_127rocblas_gemm_batched_kernelIfLi16ELi16ELi64ELi64ELi4ELi64ELi4ELi4ELi64ELc67ELc78EKDF16_KffEEvlllT_PT11_llS5_llS3_PT12_llPT13_lli.has_recursion, 0
	.set _ZN12_GLOBAL__N_127rocblas_gemm_batched_kernelIfLi16ELi16ELi64ELi64ELi4ELi64ELi4ELi4ELi64ELc67ELc78EKDF16_KffEEvlllT_PT11_llS5_llS3_PT12_llPT13_lli.has_indirect_call, 0
	.section	.AMDGPU.csdata,"",@progbits
; Kernel info:
; codeLenInByte = 2328
; TotalNumSgprs: 24
; NumVgprs: 58
; ScratchSize: 0
; MemoryBound: 0
; FloatMode: 240
; IeeeMode: 1
; LDSByteSize: 2048 bytes/workgroup (compile time only)
; SGPRBlocks: 0
; VGPRBlocks: 7
; NumSGPRsForWavesPerEU: 24
; NumVGPRsForWavesPerEU: 58
; Occupancy: 16
; WaveLimiterHint : 0
; COMPUTE_PGM_RSRC2:SCRATCH_EN: 0
; COMPUTE_PGM_RSRC2:USER_SGPR: 6
; COMPUTE_PGM_RSRC2:TRAP_HANDLER: 0
; COMPUTE_PGM_RSRC2:TGID_X_EN: 1
; COMPUTE_PGM_RSRC2:TGID_Y_EN: 1
; COMPUTE_PGM_RSRC2:TGID_Z_EN: 1
; COMPUTE_PGM_RSRC2:TIDIG_COMP_CNT: 1
	.section	.text._ZN12_GLOBAL__N_127rocblas_gemm_batched_kernelIfLi16ELi16ELi64ELi64ELi4ELi64ELi4ELi4ELi64ELc67ELc84EKDF16_KffEEvlllT_PT11_llS5_llS3_PT12_llPT13_lli,"axG",@progbits,_ZN12_GLOBAL__N_127rocblas_gemm_batched_kernelIfLi16ELi16ELi64ELi64ELi4ELi64ELi4ELi4ELi64ELc67ELc84EKDF16_KffEEvlllT_PT11_llS5_llS3_PT12_llPT13_lli,comdat
	.globl	_ZN12_GLOBAL__N_127rocblas_gemm_batched_kernelIfLi16ELi16ELi64ELi64ELi4ELi64ELi4ELi4ELi64ELc67ELc84EKDF16_KffEEvlllT_PT11_llS5_llS3_PT12_llPT13_lli ; -- Begin function _ZN12_GLOBAL__N_127rocblas_gemm_batched_kernelIfLi16ELi16ELi64ELi64ELi4ELi64ELi4ELi4ELi64ELc67ELc84EKDF16_KffEEvlllT_PT11_llS5_llS3_PT12_llPT13_lli
	.p2align	8
	.type	_ZN12_GLOBAL__N_127rocblas_gemm_batched_kernelIfLi16ELi16ELi64ELi64ELi4ELi64ELi4ELi4ELi64ELc67ELc84EKDF16_KffEEvlllT_PT11_llS5_llS3_PT12_llPT13_lli,@function
_ZN12_GLOBAL__N_127rocblas_gemm_batched_kernelIfLi16ELi16ELi64ELi64ELi4ELi64ELi4ELi4ELi64ELc67ELc84EKDF16_KffEEvlllT_PT11_llS5_llS3_PT12_llPT13_lli: ; @_ZN12_GLOBAL__N_127rocblas_gemm_batched_kernelIfLi16ELi16ELi64ELi64ELi4ELi64ELi4ELi4ELi64ELc67ELc84EKDF16_KffEEvlllT_PT11_llS5_llS3_PT12_llPT13_lli
; %bb.0:
	s_load_dwordx2 s[20:21], s[4:5], 0x10
	s_mov_b32 s0, s7
	v_mov_b32_e32 v19, 0
	v_mov_b32_e32 v21, 0
	v_mov_b32_e32 v20, 0
	v_mov_b32_e32 v18, 0
	v_mov_b32_e32 v17, 0
	v_mov_b32_e32 v16, 0
	v_mov_b32_e32 v15, 0
	v_mov_b32_e32 v14, 0
	v_mov_b32_e32 v13, 0
	v_mov_b32_e32 v12, 0
	v_mov_b32_e32 v11, 0
	v_mov_b32_e32 v10, 0
	v_mov_b32_e32 v9, 0
	v_mov_b32_e32 v8, 0
	v_mov_b32_e32 v2, 0
	v_mov_b32_e32 v3, 0
	s_ashr_i32 s7, s6, 31
	s_ashr_i32 s1, s0, 31
	s_waitcnt lgkmcnt(0)
	v_cmp_lt_i64_e64 s2, s[20:21], 1
	s_lshl_b64 s[6:7], s[6:7], 6
	s_lshl_b64 s[10:11], s[0:1], 6
	s_and_b32 vcc_lo, exec_lo, s2
	s_cbranch_vccnz .LBB396_3
; %bb.1:
	v_lshlrev_b32_e32 v4, 4, v1
	s_clause 0x1
	s_load_dwordx4 s[0:3], s[4:5], 0x40
	s_load_dwordx8 s[12:19], s[4:5], 0x20
	v_and_b32_e32 v8, 3, v0
	v_mov_b32_e32 v3, 0
	v_add_nc_u32_e32 v5, v4, v0
	v_add_nc_u32_e32 v23, 0x400, v4
	v_lshlrev_b32_e32 v22, 2, v0
	v_lshlrev_b32_e32 v6, 2, v8
	v_mov_b32_e32 v13, v3
	v_and_b32_e32 v7, 63, v5
	v_lshrrev_b32_e32 v2, 2, v5
	v_lshrrev_b32_e32 v10, 6, v5
	v_mov_b32_e32 v14, v3
	v_mov_b32_e32 v15, v3
	v_lshlrev_b32_e32 v4, 2, v7
	v_lshl_or_b32 v9, v2, 4, v6
	v_add_co_u32 v6, s9, s6, v7
	v_add_co_ci_u32_e64 v7, null, s7, 0, s9
	v_lshl_or_b32 v24, v10, 8, v4
	s_waitcnt lgkmcnt(0)
	v_mad_u64_u32 v[4:5], null, s0, v8, v[2:3]
	v_mul_lo_u32 v11, s15, v6
	v_mul_lo_u32 v12, s14, v7
	v_mad_u64_u32 v[6:7], null, s14, v6, 0
	s_mul_i32 s3, s3, s8
	s_mul_hi_u32 s9, s2, s8
	v_mov_b32_e32 v2, v5
	s_mul_i32 s2, s2, s8
	s_add_i32 s3, s9, s3
	v_add_nc_u32_e32 v25, 0x400, v9
	v_add3_u32 v7, v7, v12, v11
	v_mad_u64_u32 v[8:9], null, s1, v8, v[2:3]
	s_lshl_b64 s[2:3], s[2:3], 1
	v_lshlrev_b32_e32 v2, 1, v10
	s_add_u32 s9, s18, s2
	s_addc_u32 s14, s19, s3
	s_mul_i32 s2, s17, s8
	s_mul_hi_u32 s3, s16, s8
	v_lshlrev_b64 v[5:6], 1, v[6:7]
	v_add_co_u32 v7, vcc_lo, v4, s10
	s_add_i32 s3, s3, s2
	s_mul_i32 s2, s16, s8
	v_add_co_ci_u32_e64 v8, null, s11, v8, vcc_lo
	s_lshl_b64 s[2:3], s[2:3], 1
	v_mov_b32_e32 v10, v3
	v_add_co_u32 v9, vcc_lo, v5, s2
	v_add_co_ci_u32_e64 v6, null, s3, v6, vcc_lo
	v_lshlrev_b64 v[4:5], 1, v[7:8]
	v_add_co_u32 v2, vcc_lo, v9, v2
	v_add_co_ci_u32_e64 v7, null, 0, v6, vcc_lo
	v_mov_b32_e32 v8, v3
	v_add_co_u32 v4, vcc_lo, s9, v4
	v_add_co_ci_u32_e64 v5, null, s14, v5, vcc_lo
	v_add_co_u32 v6, vcc_lo, s12, v2
	v_add_co_ci_u32_e64 v7, null, s13, v7, vcc_lo
	v_mov_b32_e32 v2, v3
	v_mov_b32_e32 v9, v3
	;; [unrolled: 1-line block ×10, first 2 shown]
	s_lshl_b64 s[0:1], s[0:1], 3
	s_mov_b64 s[2:3], 0
.LBB396_2:                              ; =>This Inner Loop Header: Depth=1
	global_load_ushort v26, v[6:7], off
	global_load_ushort v27, v[4:5], off
	s_add_u32 s2, s2, 4
	s_addc_u32 s3, s3, 0
	v_add_co_u32 v4, vcc_lo, v4, s0
	v_cmp_lt_i64_e64 s9, s[2:3], s[20:21]
	v_add_co_ci_u32_e64 v5, null, s1, v5, vcc_lo
	v_add_co_u32 v6, vcc_lo, v6, 8
	v_add_co_ci_u32_e64 v7, null, 0, v7, vcc_lo
	s_and_b32 vcc_lo, exec_lo, s9
	s_waitcnt vmcnt(1)
	v_cvt_f32_f16_e32 v26, v26
	s_waitcnt vmcnt(0)
	v_cvt_f32_f16_e32 v27, v27
	ds_write_b32 v24, v26
	ds_write_b32 v25, v27
	s_waitcnt lgkmcnt(0)
	s_barrier
	buffer_gl0_inv
	ds_read_b128 v[26:29], v23
	ds_read2_b32 v[42:43], v22 offset1:16
	ds_read2_b32 v[44:45], v22 offset0:32 offset1:48
	ds_read_b128 v[30:33], v23 offset:256
	ds_read_b128 v[34:37], v23 offset:512
	;; [unrolled: 1-line block ×3, first 2 shown]
	ds_read2_b32 v[46:47], v22 offset0:64 offset1:80
	ds_read2_b32 v[48:49], v22 offset0:96 offset1:112
	;; [unrolled: 1-line block ×6, first 2 shown]
	s_waitcnt lgkmcnt(0)
	s_barrier
	buffer_gl0_inv
	v_fmac_f32_e32 v19, v42, v26
	v_fmac_f32_e32 v21, v43, v26
	;; [unrolled: 1-line block ×64, first 2 shown]
	s_cbranch_vccnz .LBB396_2
.LBB396_3:
	s_clause 0x3
	s_load_dwordx4 s[0:3], s[4:5], 0x78
	s_load_dword s9, s[4:5], 0x50
	s_load_dwordx8 s[12:19], s[4:5], 0x58
	s_load_dword s4, s[4:5], 0x18
	v_add_co_u32 v5, s5, s6, v0
	v_add_co_ci_u32_e64 v6, null, s7, 0, s5
	v_add_co_u32 v4, s5, s10, v1
	v_add_co_ci_u32_e64 v7, null, s11, 0, s5
	v_lshlrev_b64 v[0:1], 2, v[5:6]
	s_waitcnt lgkmcnt(0)
	s_mul_i32 s3, s3, s8
	s_mul_hi_u32 s5, s2, s8
	v_mul_lo_u32 v5, v7, s0
	v_mul_lo_u32 v6, v4, s1
	s_mul_i32 s2, s2, s8
	v_cmp_neq_f32_e64 s6, s9, 0
	s_add_i32 s3, s5, s3
	s_mov_b32 s5, 0
	s_lshl_b64 s[2:3], s[2:3], 2
	s_add_u32 s2, s18, s2
	s_addc_u32 s3, s19, s3
	s_and_b32 vcc_lo, exec_lo, s6
	s_cbranch_vccnz .LBB396_7
; %bb.4:
	v_mad_u64_u32 v[22:23], null, v4, s0, 0
	s_lshl_b64 s[6:7], s[0:1], 6
	v_mul_f32_e32 v26, s4, v19
	v_mul_f32_e32 v27, s4, v21
	;; [unrolled: 1-line block ×5, first 2 shown]
	v_add3_u32 v23, v23, v6, v5
	v_mul_f32_e32 v31, s4, v16
	v_mul_f32_e32 v32, s4, v15
	v_mul_f32_e32 v33, s4, v14
	v_lshlrev_b64 v[22:23], 2, v[22:23]
	v_add_co_u32 v22, vcc_lo, s2, v22
	v_add_co_ci_u32_e64 v23, null, s3, v23, vcc_lo
	v_add_co_u32 v34, vcc_lo, v22, s6
	v_add_co_ci_u32_e64 v35, null, s7, v23, vcc_lo
	;; [unrolled: 2-line block ×4, first 2 shown]
	global_store_dword v[22:23], v26, off
	global_store_dword v[22:23], v27, off offset:64
	global_store_dword v[22:23], v28, off offset:128
	;; [unrolled: 1-line block ×3, first 2 shown]
	global_store_dword v[24:25], v30, off
	global_store_dword v[24:25], v31, off offset:64
	v_add_co_u32 v26, vcc_lo, v34, s6
	v_add_co_ci_u32_e64 v27, null, s7, v35, vcc_lo
	v_mul_f32_e32 v28, s4, v13
	v_add_co_u32 v22, vcc_lo, v26, v0
	v_add_co_ci_u32_e64 v23, null, v27, v1, vcc_lo
	v_mul_f32_e32 v29, s4, v12
	v_mul_f32_e32 v30, s4, v11
	global_store_dword v[24:25], v32, off offset:128
	global_store_dword v[24:25], v33, off offset:192
	global_store_dword v[22:23], v28, off
	global_store_dword v[22:23], v29, off offset:64
	global_store_dword v[22:23], v30, off offset:128
	v_add_co_u32 v24, vcc_lo, v26, s6
	v_add_co_ci_u32_e64 v25, null, s7, v27, vcc_lo
	v_mul_f32_e32 v28, s4, v10
	v_add_co_u32 v24, vcc_lo, v24, v0
	v_mul_f32_e32 v26, s4, v9
	v_add_co_ci_u32_e64 v25, null, v25, v1, vcc_lo
	v_mul_f32_e32 v27, s4, v8
	v_mul_f32_e32 v29, s4, v2
	;; [unrolled: 1-line block ×3, first 2 shown]
	global_store_dword v[22:23], v28, off offset:192
	global_store_dword v[24:25], v26, off
	global_store_dword v[24:25], v27, off offset:64
	global_store_dword v[24:25], v29, off offset:128
	;; [unrolled: 1-line block ×3, first 2 shown]
	s_andn2_b32 vcc_lo, exec_lo, s5
	s_cbranch_vccnz .LBB396_6
.LBB396_5:
	v_mul_lo_u32 v7, v7, s14
	v_mul_lo_u32 v24, v4, s15
	v_mad_u64_u32 v[22:23], null, v4, s14, 0
	s_mul_i32 s5, s17, s8
	s_mul_hi_u32 s7, s16, s8
	s_mul_i32 s6, s16, s8
	s_add_i32 s7, s7, s5
	s_lshl_b64 s[6:7], s[6:7], 2
	v_add3_u32 v23, v23, v24, v7
	s_add_u32 s5, s12, s6
	s_addc_u32 s6, s13, s7
	v_mad_u64_u32 v[24:25], null, v4, s0, 0
	v_lshlrev_b64 v[22:23], 2, v[22:23]
	s_lshl_b64 s[0:1], s[0:1], 6
	v_add3_u32 v25, v25, v6, v5
	v_add_co_u32 v7, vcc_lo, s5, v22
	v_add_co_ci_u32_e64 v26, null, s6, v23, vcc_lo
	v_lshlrev_b64 v[4:5], 2, v[24:25]
	v_add_co_u32 v22, vcc_lo, v7, v0
	v_add_co_ci_u32_e64 v23, null, v26, v1, vcc_lo
	v_add_co_u32 v24, vcc_lo, s2, v4
	global_load_dword v27, v[22:23], off
	v_add_co_ci_u32_e64 v25, null, s3, v5, vcc_lo
	v_add_co_u32 v4, vcc_lo, v24, v0
	s_lshl_b64 s[2:3], s[14:15], 6
	v_add_co_ci_u32_e64 v5, null, v25, v1, vcc_lo
	s_waitcnt vmcnt(0)
	v_mul_f32_e32 v6, s9, v27
	v_fmac_f32_e32 v6, s4, v19
	global_store_dword v[4:5], v6, off
	global_load_dword v6, v[22:23], off offset:64
	s_waitcnt vmcnt(0)
	v_mul_f32_e32 v6, s9, v6
	v_fmac_f32_e32 v6, s4, v21
	global_store_dword v[4:5], v6, off offset:64
	global_load_dword v6, v[22:23], off offset:128
	s_waitcnt vmcnt(0)
	v_mul_f32_e32 v6, s9, v6
	v_fmac_f32_e32 v6, s4, v20
	v_add_co_u32 v20, vcc_lo, v7, s2
	v_add_co_ci_u32_e64 v21, null, s3, v26, vcc_lo
	global_store_dword v[4:5], v6, off offset:128
	global_load_dword v6, v[22:23], off offset:192
	s_waitcnt vmcnt(0)
	v_mul_f32_e32 v19, s9, v6
	v_add_co_u32 v6, vcc_lo, v20, v0
	v_add_co_ci_u32_e64 v7, null, v21, v1, vcc_lo
	v_fmac_f32_e32 v19, s4, v18
	v_add_co_u32 v18, vcc_lo, v24, s0
	global_store_dword v[4:5], v19, off offset:192
	global_load_dword v4, v[6:7], off
	v_add_co_ci_u32_e64 v19, null, s1, v25, vcc_lo
	s_waitcnt vmcnt(0)
	v_mul_f32_e32 v22, s9, v4
	v_add_co_u32 v4, vcc_lo, v18, v0
	v_add_co_ci_u32_e64 v5, null, v19, v1, vcc_lo
	v_fmac_f32_e32 v22, s4, v17
	global_store_dword v[4:5], v22, off
	global_load_dword v17, v[6:7], off offset:64
	s_waitcnt vmcnt(0)
	v_mul_f32_e32 v17, s9, v17
	v_fmac_f32_e32 v17, s4, v16
	global_store_dword v[4:5], v17, off offset:64
	global_load_dword v16, v[6:7], off offset:128
	s_waitcnt vmcnt(0)
	v_mul_f32_e32 v16, s9, v16
	v_fmac_f32_e32 v16, s4, v15
	global_store_dword v[4:5], v16, off offset:128
	global_load_dword v6, v[6:7], off offset:192
	v_add_co_u32 v16, vcc_lo, v20, s2
	v_add_co_ci_u32_e64 v17, null, s3, v21, vcc_lo
	s_waitcnt vmcnt(0)
	v_mul_f32_e32 v15, s9, v6
	v_add_co_u32 v6, vcc_lo, v16, v0
	v_add_co_ci_u32_e64 v7, null, v17, v1, vcc_lo
	v_fmac_f32_e32 v15, s4, v14
	v_add_co_u32 v14, vcc_lo, v18, s0
	global_store_dword v[4:5], v15, off offset:192
	global_load_dword v4, v[6:7], off
	v_add_co_ci_u32_e64 v15, null, s1, v19, vcc_lo
	s_waitcnt vmcnt(0)
	v_mul_f32_e32 v18, s9, v4
	v_add_co_u32 v4, vcc_lo, v14, v0
	v_add_co_ci_u32_e64 v5, null, v15, v1, vcc_lo
	v_fmac_f32_e32 v18, s4, v13
	global_store_dword v[4:5], v18, off
	global_load_dword v13, v[6:7], off offset:64
	s_waitcnt vmcnt(0)
	v_mul_f32_e32 v13, s9, v13
	v_fmac_f32_e32 v13, s4, v12
	global_store_dword v[4:5], v13, off offset:64
	global_load_dword v12, v[6:7], off offset:128
	s_waitcnt vmcnt(0)
	v_mul_f32_e32 v12, s9, v12
	v_fmac_f32_e32 v12, s4, v11
	global_store_dword v[4:5], v12, off offset:128
	global_load_dword v6, v[6:7], off offset:192
	s_waitcnt vmcnt(0)
	v_mul_f32_e32 v11, s9, v6
	v_add_co_u32 v6, vcc_lo, v16, s2
	v_add_co_ci_u32_e64 v7, null, s3, v17, vcc_lo
	v_fmac_f32_e32 v11, s4, v10
	v_add_co_u32 v6, vcc_lo, v6, v0
	v_add_co_ci_u32_e64 v7, null, v7, v1, vcc_lo
	global_store_dword v[4:5], v11, off offset:192
	v_add_co_u32 v5, vcc_lo, v14, s0
	global_load_dword v4, v[6:7], off
	v_add_co_ci_u32_e64 v10, null, s1, v15, vcc_lo
	v_add_co_u32 v0, vcc_lo, v5, v0
	v_add_co_ci_u32_e64 v1, null, v10, v1, vcc_lo
	s_waitcnt vmcnt(0)
	v_mul_f32_e32 v4, s9, v4
	v_fmac_f32_e32 v4, s4, v9
	global_store_dword v[0:1], v4, off
	global_load_dword v4, v[6:7], off offset:64
	s_waitcnt vmcnt(0)
	v_mul_f32_e32 v4, s9, v4
	v_fmac_f32_e32 v4, s4, v8
	global_store_dword v[0:1], v4, off offset:64
	global_load_dword v4, v[6:7], off offset:128
	s_waitcnt vmcnt(0)
	v_mul_f32_e32 v4, s9, v4
	v_fmac_f32_e32 v4, s4, v2
	global_store_dword v[0:1], v4, off offset:128
	;; [unrolled: 5-line block ×3, first 2 shown]
.LBB396_6:
	s_endpgm
.LBB396_7:
	s_branch .LBB396_5
	.section	.rodata,"a",@progbits
	.p2align	6, 0x0
	.amdhsa_kernel _ZN12_GLOBAL__N_127rocblas_gemm_batched_kernelIfLi16ELi16ELi64ELi64ELi4ELi64ELi4ELi4ELi64ELc67ELc84EKDF16_KffEEvlllT_PT11_llS5_llS3_PT12_llPT13_lli
		.amdhsa_group_segment_fixed_size 2048
		.amdhsa_private_segment_fixed_size 0
		.amdhsa_kernarg_size 140
		.amdhsa_user_sgpr_count 6
		.amdhsa_user_sgpr_private_segment_buffer 1
		.amdhsa_user_sgpr_dispatch_ptr 0
		.amdhsa_user_sgpr_queue_ptr 0
		.amdhsa_user_sgpr_kernarg_segment_ptr 1
		.amdhsa_user_sgpr_dispatch_id 0
		.amdhsa_user_sgpr_flat_scratch_init 0
		.amdhsa_user_sgpr_private_segment_size 0
		.amdhsa_wavefront_size32 1
		.amdhsa_uses_dynamic_stack 0
		.amdhsa_system_sgpr_private_segment_wavefront_offset 0
		.amdhsa_system_sgpr_workgroup_id_x 1
		.amdhsa_system_sgpr_workgroup_id_y 1
		.amdhsa_system_sgpr_workgroup_id_z 1
		.amdhsa_system_sgpr_workgroup_info 0
		.amdhsa_system_vgpr_workitem_id 1
		.amdhsa_next_free_vgpr 58
		.amdhsa_next_free_sgpr 22
		.amdhsa_reserve_vcc 1
		.amdhsa_reserve_flat_scratch 0
		.amdhsa_float_round_mode_32 0
		.amdhsa_float_round_mode_16_64 0
		.amdhsa_float_denorm_mode_32 3
		.amdhsa_float_denorm_mode_16_64 3
		.amdhsa_dx10_clamp 1
		.amdhsa_ieee_mode 1
		.amdhsa_fp16_overflow 0
		.amdhsa_workgroup_processor_mode 1
		.amdhsa_memory_ordered 1
		.amdhsa_forward_progress 1
		.amdhsa_shared_vgpr_count 0
		.amdhsa_exception_fp_ieee_invalid_op 0
		.amdhsa_exception_fp_denorm_src 0
		.amdhsa_exception_fp_ieee_div_zero 0
		.amdhsa_exception_fp_ieee_overflow 0
		.amdhsa_exception_fp_ieee_underflow 0
		.amdhsa_exception_fp_ieee_inexact 0
		.amdhsa_exception_int_div_zero 0
	.end_amdhsa_kernel
	.section	.text._ZN12_GLOBAL__N_127rocblas_gemm_batched_kernelIfLi16ELi16ELi64ELi64ELi4ELi64ELi4ELi4ELi64ELc67ELc84EKDF16_KffEEvlllT_PT11_llS5_llS3_PT12_llPT13_lli,"axG",@progbits,_ZN12_GLOBAL__N_127rocblas_gemm_batched_kernelIfLi16ELi16ELi64ELi64ELi4ELi64ELi4ELi4ELi64ELc67ELc84EKDF16_KffEEvlllT_PT11_llS5_llS3_PT12_llPT13_lli,comdat
.Lfunc_end396:
	.size	_ZN12_GLOBAL__N_127rocblas_gemm_batched_kernelIfLi16ELi16ELi64ELi64ELi4ELi64ELi4ELi4ELi64ELc67ELc84EKDF16_KffEEvlllT_PT11_llS5_llS3_PT12_llPT13_lli, .Lfunc_end396-_ZN12_GLOBAL__N_127rocblas_gemm_batched_kernelIfLi16ELi16ELi64ELi64ELi4ELi64ELi4ELi4ELi64ELc67ELc84EKDF16_KffEEvlllT_PT11_llS5_llS3_PT12_llPT13_lli
                                        ; -- End function
	.set _ZN12_GLOBAL__N_127rocblas_gemm_batched_kernelIfLi16ELi16ELi64ELi64ELi4ELi64ELi4ELi4ELi64ELc67ELc84EKDF16_KffEEvlllT_PT11_llS5_llS3_PT12_llPT13_lli.num_vgpr, 58
	.set _ZN12_GLOBAL__N_127rocblas_gemm_batched_kernelIfLi16ELi16ELi64ELi64ELi4ELi64ELi4ELi4ELi64ELc67ELc84EKDF16_KffEEvlllT_PT11_llS5_llS3_PT12_llPT13_lli.num_agpr, 0
	.set _ZN12_GLOBAL__N_127rocblas_gemm_batched_kernelIfLi16ELi16ELi64ELi64ELi4ELi64ELi4ELi4ELi64ELc67ELc84EKDF16_KffEEvlllT_PT11_llS5_llS3_PT12_llPT13_lli.numbered_sgpr, 22
	.set _ZN12_GLOBAL__N_127rocblas_gemm_batched_kernelIfLi16ELi16ELi64ELi64ELi4ELi64ELi4ELi4ELi64ELc67ELc84EKDF16_KffEEvlllT_PT11_llS5_llS3_PT12_llPT13_lli.num_named_barrier, 0
	.set _ZN12_GLOBAL__N_127rocblas_gemm_batched_kernelIfLi16ELi16ELi64ELi64ELi4ELi64ELi4ELi4ELi64ELc67ELc84EKDF16_KffEEvlllT_PT11_llS5_llS3_PT12_llPT13_lli.private_seg_size, 0
	.set _ZN12_GLOBAL__N_127rocblas_gemm_batched_kernelIfLi16ELi16ELi64ELi64ELi4ELi64ELi4ELi4ELi64ELc67ELc84EKDF16_KffEEvlllT_PT11_llS5_llS3_PT12_llPT13_lli.uses_vcc, 1
	.set _ZN12_GLOBAL__N_127rocblas_gemm_batched_kernelIfLi16ELi16ELi64ELi64ELi4ELi64ELi4ELi4ELi64ELc67ELc84EKDF16_KffEEvlllT_PT11_llS5_llS3_PT12_llPT13_lli.uses_flat_scratch, 0
	.set _ZN12_GLOBAL__N_127rocblas_gemm_batched_kernelIfLi16ELi16ELi64ELi64ELi4ELi64ELi4ELi4ELi64ELc67ELc84EKDF16_KffEEvlllT_PT11_llS5_llS3_PT12_llPT13_lli.has_dyn_sized_stack, 0
	.set _ZN12_GLOBAL__N_127rocblas_gemm_batched_kernelIfLi16ELi16ELi64ELi64ELi4ELi64ELi4ELi4ELi64ELc67ELc84EKDF16_KffEEvlllT_PT11_llS5_llS3_PT12_llPT13_lli.has_recursion, 0
	.set _ZN12_GLOBAL__N_127rocblas_gemm_batched_kernelIfLi16ELi16ELi64ELi64ELi4ELi64ELi4ELi4ELi64ELc67ELc84EKDF16_KffEEvlllT_PT11_llS5_llS3_PT12_llPT13_lli.has_indirect_call, 0
	.section	.AMDGPU.csdata,"",@progbits
; Kernel info:
; codeLenInByte = 2292
; TotalNumSgprs: 24
; NumVgprs: 58
; ScratchSize: 0
; MemoryBound: 0
; FloatMode: 240
; IeeeMode: 1
; LDSByteSize: 2048 bytes/workgroup (compile time only)
; SGPRBlocks: 0
; VGPRBlocks: 7
; NumSGPRsForWavesPerEU: 24
; NumVGPRsForWavesPerEU: 58
; Occupancy: 16
; WaveLimiterHint : 0
; COMPUTE_PGM_RSRC2:SCRATCH_EN: 0
; COMPUTE_PGM_RSRC2:USER_SGPR: 6
; COMPUTE_PGM_RSRC2:TRAP_HANDLER: 0
; COMPUTE_PGM_RSRC2:TGID_X_EN: 1
; COMPUTE_PGM_RSRC2:TGID_Y_EN: 1
; COMPUTE_PGM_RSRC2:TGID_Z_EN: 1
; COMPUTE_PGM_RSRC2:TIDIG_COMP_CNT: 1
	.section	.text._ZN12_GLOBAL__N_127rocblas_gemm_batched_kernelIfLi16ELi16ELi64ELi64ELi4ELi64ELi4ELi4ELi64ELc78ELc67EKDF16_KffEEvlllT_PT11_llS5_llS3_PT12_llPT13_lli,"axG",@progbits,_ZN12_GLOBAL__N_127rocblas_gemm_batched_kernelIfLi16ELi16ELi64ELi64ELi4ELi64ELi4ELi4ELi64ELc78ELc67EKDF16_KffEEvlllT_PT11_llS5_llS3_PT12_llPT13_lli,comdat
	.globl	_ZN12_GLOBAL__N_127rocblas_gemm_batched_kernelIfLi16ELi16ELi64ELi64ELi4ELi64ELi4ELi4ELi64ELc78ELc67EKDF16_KffEEvlllT_PT11_llS5_llS3_PT12_llPT13_lli ; -- Begin function _ZN12_GLOBAL__N_127rocblas_gemm_batched_kernelIfLi16ELi16ELi64ELi64ELi4ELi64ELi4ELi4ELi64ELc78ELc67EKDF16_KffEEvlllT_PT11_llS5_llS3_PT12_llPT13_lli
	.p2align	8
	.type	_ZN12_GLOBAL__N_127rocblas_gemm_batched_kernelIfLi16ELi16ELi64ELi64ELi4ELi64ELi4ELi4ELi64ELc78ELc67EKDF16_KffEEvlllT_PT11_llS5_llS3_PT12_llPT13_lli,@function
_ZN12_GLOBAL__N_127rocblas_gemm_batched_kernelIfLi16ELi16ELi64ELi64ELi4ELi64ELi4ELi4ELi64ELc78ELc67EKDF16_KffEEvlllT_PT11_llS5_llS3_PT12_llPT13_lli: ; @_ZN12_GLOBAL__N_127rocblas_gemm_batched_kernelIfLi16ELi16ELi64ELi64ELi4ELi64ELi4ELi4ELi64ELc78ELc67EKDF16_KffEEvlllT_PT11_llS5_llS3_PT12_llPT13_lli
; %bb.0:
	s_load_dwordx2 s[20:21], s[4:5], 0x10
	s_mov_b32 s0, s7
	v_mov_b32_e32 v19, 0
	v_mov_b32_e32 v21, 0
	;; [unrolled: 1-line block ×16, first 2 shown]
	s_ashr_i32 s7, s6, 31
	s_ashr_i32 s1, s0, 31
	s_waitcnt lgkmcnt(0)
	v_cmp_lt_i64_e64 s2, s[20:21], 1
	s_lshl_b64 s[6:7], s[6:7], 6
	s_lshl_b64 s[10:11], s[0:1], 6
	s_and_b32 vcc_lo, exec_lo, s2
	s_cbranch_vccnz .LBB397_3
; %bb.1:
	v_lshlrev_b32_e32 v4, 4, v1
	s_clause 0x1
	s_load_dwordx4 s[0:3], s[4:5], 0x40
	s_load_dwordx8 s[12:19], s[4:5], 0x20
	v_and_b32_e32 v8, 3, v0
	v_lshlrev_b32_e32 v22, 2, v0
	v_add_nc_u32_e32 v3, v4, v0
	v_add_nc_u32_e32 v23, 0x400, v4
	v_lshlrev_b32_e32 v5, 2, v8
	v_lshrrev_b32_e32 v2, 2, v3
	v_and_b32_e32 v10, 63, v3
	v_lshrrev_b32_e32 v9, 6, v3
	v_mov_b32_e32 v3, 0
	v_lshl_or_b32 v5, v2, 4, v5
	v_lshlrev_b32_e32 v6, 2, v10
	v_mov_b32_e32 v11, v3
	v_mov_b32_e32 v12, v3
	v_add_nc_u32_e32 v25, 0x400, v5
	s_waitcnt lgkmcnt(0)
	v_mad_u64_u32 v[4:5], null, s0, v8, v[2:3]
	v_lshl_or_b32 v24, v9, 8, v6
	v_mad_u64_u32 v[6:7], null, s14, v9, s[6:7]
	s_mul_i32 s3, s3, s8
	s_mul_hi_u32 s9, s2, s8
	s_mul_i32 s2, s2, s8
	v_mov_b32_e32 v2, v5
	v_add_co_u32 v4, vcc_lo, v4, s10
	v_mov_b32_e32 v5, v7
	s_add_i32 s3, s9, s3
	v_mad_u64_u32 v[7:8], null, s1, v8, v[2:3]
	s_lshl_b64 s[2:3], s[2:3], 1
	v_mad_u64_u32 v[8:9], null, s15, v9, v[5:6]
	s_mul_i32 s17, s17, s8
	s_mul_hi_u32 s22, s16, s8
	s_add_u32 s9, s18, s2
	v_add_co_ci_u32_e64 v5, null, s11, v7, vcc_lo
	v_add_co_u32 v6, vcc_lo, v6, v10
	v_add_co_ci_u32_e64 v7, null, 0, v8, vcc_lo
	v_lshlrev_b64 v[4:5], 1, v[4:5]
	s_mul_i32 s16, s16, s8
	s_addc_u32 s18, s19, s3
	s_add_i32 s17, s22, s17
	v_lshlrev_b64 v[6:7], 1, v[6:7]
	s_lshl_b64 s[2:3], s[16:17], 1
	s_lshl_b64 s[0:1], s[0:1], 3
	v_add_co_u32 v4, vcc_lo, s9, v4
	s_add_u32 s2, s12, s2
	v_add_co_ci_u32_e64 v5, null, s18, v5, vcc_lo
	s_addc_u32 s3, s13, s3
	v_add_co_u32 v6, vcc_lo, s2, v6
	v_add_co_ci_u32_e64 v7, null, s3, v7, vcc_lo
	v_mov_b32_e32 v2, v3
	v_mov_b32_e32 v8, v3
	;; [unrolled: 1-line block ×13, first 2 shown]
	s_lshl_b64 s[2:3], s[14:15], 3
	s_mov_b64 s[12:13], 0
.LBB397_2:                              ; =>This Inner Loop Header: Depth=1
	global_load_ushort v26, v[6:7], off
	global_load_ushort v27, v[4:5], off
	s_add_u32 s12, s12, 4
	s_addc_u32 s13, s13, 0
	v_add_co_u32 v4, vcc_lo, v4, s0
	v_cmp_lt_i64_e64 s9, s[12:13], s[20:21]
	v_add_co_ci_u32_e64 v5, null, s1, v5, vcc_lo
	v_add_co_u32 v6, vcc_lo, v6, s2
	v_add_co_ci_u32_e64 v7, null, s3, v7, vcc_lo
	s_and_b32 vcc_lo, exec_lo, s9
	s_waitcnt vmcnt(1)
	v_cvt_f32_f16_e32 v26, v26
	s_waitcnt vmcnt(0)
	v_cvt_f32_f16_e32 v27, v27
	ds_write_b32 v24, v26
	ds_write_b32 v25, v27
	s_waitcnt lgkmcnt(0)
	s_barrier
	buffer_gl0_inv
	ds_read_b128 v[26:29], v23
	ds_read2_b32 v[42:43], v22 offset1:16
	ds_read2_b32 v[44:45], v22 offset0:32 offset1:48
	ds_read_b128 v[30:33], v23 offset:256
	ds_read_b128 v[34:37], v23 offset:512
	;; [unrolled: 1-line block ×3, first 2 shown]
	ds_read2_b32 v[46:47], v22 offset0:64 offset1:80
	ds_read2_b32 v[48:49], v22 offset0:96 offset1:112
	;; [unrolled: 1-line block ×6, first 2 shown]
	s_waitcnt lgkmcnt(0)
	s_barrier
	buffer_gl0_inv
	v_fmac_f32_e32 v19, v42, v26
	v_fmac_f32_e32 v21, v43, v26
	;; [unrolled: 1-line block ×64, first 2 shown]
	s_cbranch_vccnz .LBB397_2
.LBB397_3:
	s_clause 0x3
	s_load_dwordx4 s[0:3], s[4:5], 0x78
	s_load_dword s9, s[4:5], 0x50
	s_load_dwordx8 s[12:19], s[4:5], 0x58
	s_load_dword s4, s[4:5], 0x18
	v_add_co_u32 v5, s5, s6, v0
	v_add_co_ci_u32_e64 v6, null, s7, 0, s5
	v_add_co_u32 v4, s5, s10, v1
	v_add_co_ci_u32_e64 v7, null, s11, 0, s5
	v_lshlrev_b64 v[0:1], 2, v[5:6]
	s_waitcnt lgkmcnt(0)
	s_mul_i32 s3, s3, s8
	s_mul_hi_u32 s5, s2, s8
	v_mul_lo_u32 v5, v7, s0
	v_mul_lo_u32 v6, v4, s1
	s_mul_i32 s2, s2, s8
	v_cmp_neq_f32_e64 s6, s9, 0
	s_add_i32 s3, s5, s3
	s_mov_b32 s5, 0
	s_lshl_b64 s[2:3], s[2:3], 2
	s_add_u32 s2, s18, s2
	s_addc_u32 s3, s19, s3
	s_and_b32 vcc_lo, exec_lo, s6
	s_cbranch_vccnz .LBB397_7
; %bb.4:
	v_mad_u64_u32 v[22:23], null, v4, s0, 0
	s_lshl_b64 s[6:7], s[0:1], 6
	v_mul_f32_e32 v26, s4, v19
	v_mul_f32_e32 v27, s4, v21
	;; [unrolled: 1-line block ×5, first 2 shown]
	v_add3_u32 v23, v23, v6, v5
	v_mul_f32_e32 v31, s4, v16
	v_mul_f32_e32 v32, s4, v15
	;; [unrolled: 1-line block ×3, first 2 shown]
	v_lshlrev_b64 v[22:23], 2, v[22:23]
	v_add_co_u32 v22, vcc_lo, s2, v22
	v_add_co_ci_u32_e64 v23, null, s3, v23, vcc_lo
	v_add_co_u32 v34, vcc_lo, v22, s6
	v_add_co_ci_u32_e64 v35, null, s7, v23, vcc_lo
	;; [unrolled: 2-line block ×4, first 2 shown]
	global_store_dword v[22:23], v26, off
	global_store_dword v[22:23], v27, off offset:64
	global_store_dword v[22:23], v28, off offset:128
	;; [unrolled: 1-line block ×3, first 2 shown]
	global_store_dword v[24:25], v30, off
	global_store_dword v[24:25], v31, off offset:64
	v_add_co_u32 v26, vcc_lo, v34, s6
	v_add_co_ci_u32_e64 v27, null, s7, v35, vcc_lo
	v_mul_f32_e32 v28, s4, v13
	v_add_co_u32 v22, vcc_lo, v26, v0
	v_add_co_ci_u32_e64 v23, null, v27, v1, vcc_lo
	v_mul_f32_e32 v29, s4, v12
	v_mul_f32_e32 v30, s4, v11
	global_store_dword v[24:25], v32, off offset:128
	global_store_dword v[24:25], v33, off offset:192
	global_store_dword v[22:23], v28, off
	global_store_dword v[22:23], v29, off offset:64
	global_store_dword v[22:23], v30, off offset:128
	v_add_co_u32 v24, vcc_lo, v26, s6
	v_add_co_ci_u32_e64 v25, null, s7, v27, vcc_lo
	v_mul_f32_e32 v28, s4, v10
	v_add_co_u32 v24, vcc_lo, v24, v0
	v_mul_f32_e32 v26, s4, v9
	v_add_co_ci_u32_e64 v25, null, v25, v1, vcc_lo
	v_mul_f32_e32 v27, s4, v8
	v_mul_f32_e32 v29, s4, v2
	;; [unrolled: 1-line block ×3, first 2 shown]
	global_store_dword v[22:23], v28, off offset:192
	global_store_dword v[24:25], v26, off
	global_store_dword v[24:25], v27, off offset:64
	global_store_dword v[24:25], v29, off offset:128
	;; [unrolled: 1-line block ×3, first 2 shown]
	s_andn2_b32 vcc_lo, exec_lo, s5
	s_cbranch_vccnz .LBB397_6
.LBB397_5:
	v_mul_lo_u32 v7, v7, s14
	v_mul_lo_u32 v24, v4, s15
	v_mad_u64_u32 v[22:23], null, v4, s14, 0
	s_mul_i32 s5, s17, s8
	s_mul_hi_u32 s7, s16, s8
	s_mul_i32 s6, s16, s8
	s_add_i32 s7, s7, s5
	s_lshl_b64 s[6:7], s[6:7], 2
	v_add3_u32 v23, v23, v24, v7
	s_add_u32 s5, s12, s6
	s_addc_u32 s6, s13, s7
	v_mad_u64_u32 v[24:25], null, v4, s0, 0
	v_lshlrev_b64 v[22:23], 2, v[22:23]
	s_lshl_b64 s[0:1], s[0:1], 6
	v_add3_u32 v25, v25, v6, v5
	v_add_co_u32 v7, vcc_lo, s5, v22
	v_add_co_ci_u32_e64 v26, null, s6, v23, vcc_lo
	v_lshlrev_b64 v[4:5], 2, v[24:25]
	v_add_co_u32 v22, vcc_lo, v7, v0
	v_add_co_ci_u32_e64 v23, null, v26, v1, vcc_lo
	v_add_co_u32 v24, vcc_lo, s2, v4
	global_load_dword v27, v[22:23], off
	v_add_co_ci_u32_e64 v25, null, s3, v5, vcc_lo
	v_add_co_u32 v4, vcc_lo, v24, v0
	s_lshl_b64 s[2:3], s[14:15], 6
	v_add_co_ci_u32_e64 v5, null, v25, v1, vcc_lo
	s_waitcnt vmcnt(0)
	v_mul_f32_e32 v6, s9, v27
	v_fmac_f32_e32 v6, s4, v19
	global_store_dword v[4:5], v6, off
	global_load_dword v6, v[22:23], off offset:64
	s_waitcnt vmcnt(0)
	v_mul_f32_e32 v6, s9, v6
	v_fmac_f32_e32 v6, s4, v21
	global_store_dword v[4:5], v6, off offset:64
	global_load_dword v6, v[22:23], off offset:128
	s_waitcnt vmcnt(0)
	v_mul_f32_e32 v6, s9, v6
	v_fmac_f32_e32 v6, s4, v20
	v_add_co_u32 v20, vcc_lo, v7, s2
	v_add_co_ci_u32_e64 v21, null, s3, v26, vcc_lo
	global_store_dword v[4:5], v6, off offset:128
	global_load_dword v6, v[22:23], off offset:192
	s_waitcnt vmcnt(0)
	v_mul_f32_e32 v19, s9, v6
	v_add_co_u32 v6, vcc_lo, v20, v0
	v_add_co_ci_u32_e64 v7, null, v21, v1, vcc_lo
	v_fmac_f32_e32 v19, s4, v18
	v_add_co_u32 v18, vcc_lo, v24, s0
	global_store_dword v[4:5], v19, off offset:192
	global_load_dword v4, v[6:7], off
	v_add_co_ci_u32_e64 v19, null, s1, v25, vcc_lo
	s_waitcnt vmcnt(0)
	v_mul_f32_e32 v22, s9, v4
	v_add_co_u32 v4, vcc_lo, v18, v0
	v_add_co_ci_u32_e64 v5, null, v19, v1, vcc_lo
	v_fmac_f32_e32 v22, s4, v17
	global_store_dword v[4:5], v22, off
	global_load_dword v17, v[6:7], off offset:64
	s_waitcnt vmcnt(0)
	v_mul_f32_e32 v17, s9, v17
	v_fmac_f32_e32 v17, s4, v16
	global_store_dword v[4:5], v17, off offset:64
	global_load_dword v16, v[6:7], off offset:128
	s_waitcnt vmcnt(0)
	v_mul_f32_e32 v16, s9, v16
	v_fmac_f32_e32 v16, s4, v15
	global_store_dword v[4:5], v16, off offset:128
	global_load_dword v6, v[6:7], off offset:192
	v_add_co_u32 v16, vcc_lo, v20, s2
	v_add_co_ci_u32_e64 v17, null, s3, v21, vcc_lo
	s_waitcnt vmcnt(0)
	v_mul_f32_e32 v15, s9, v6
	v_add_co_u32 v6, vcc_lo, v16, v0
	v_add_co_ci_u32_e64 v7, null, v17, v1, vcc_lo
	v_fmac_f32_e32 v15, s4, v14
	v_add_co_u32 v14, vcc_lo, v18, s0
	global_store_dword v[4:5], v15, off offset:192
	global_load_dword v4, v[6:7], off
	v_add_co_ci_u32_e64 v15, null, s1, v19, vcc_lo
	s_waitcnt vmcnt(0)
	v_mul_f32_e32 v18, s9, v4
	v_add_co_u32 v4, vcc_lo, v14, v0
	v_add_co_ci_u32_e64 v5, null, v15, v1, vcc_lo
	v_fmac_f32_e32 v18, s4, v13
	global_store_dword v[4:5], v18, off
	global_load_dword v13, v[6:7], off offset:64
	s_waitcnt vmcnt(0)
	v_mul_f32_e32 v13, s9, v13
	v_fmac_f32_e32 v13, s4, v12
	global_store_dword v[4:5], v13, off offset:64
	global_load_dword v12, v[6:7], off offset:128
	s_waitcnt vmcnt(0)
	v_mul_f32_e32 v12, s9, v12
	v_fmac_f32_e32 v12, s4, v11
	global_store_dword v[4:5], v12, off offset:128
	global_load_dword v6, v[6:7], off offset:192
	s_waitcnt vmcnt(0)
	v_mul_f32_e32 v11, s9, v6
	v_add_co_u32 v6, vcc_lo, v16, s2
	v_add_co_ci_u32_e64 v7, null, s3, v17, vcc_lo
	v_fmac_f32_e32 v11, s4, v10
	v_add_co_u32 v6, vcc_lo, v6, v0
	v_add_co_ci_u32_e64 v7, null, v7, v1, vcc_lo
	global_store_dword v[4:5], v11, off offset:192
	v_add_co_u32 v5, vcc_lo, v14, s0
	global_load_dword v4, v[6:7], off
	v_add_co_ci_u32_e64 v10, null, s1, v15, vcc_lo
	v_add_co_u32 v0, vcc_lo, v5, v0
	v_add_co_ci_u32_e64 v1, null, v10, v1, vcc_lo
	s_waitcnt vmcnt(0)
	v_mul_f32_e32 v4, s9, v4
	v_fmac_f32_e32 v4, s4, v9
	global_store_dword v[0:1], v4, off
	global_load_dword v4, v[6:7], off offset:64
	s_waitcnt vmcnt(0)
	v_mul_f32_e32 v4, s9, v4
	v_fmac_f32_e32 v4, s4, v8
	global_store_dword v[0:1], v4, off offset:64
	global_load_dword v4, v[6:7], off offset:128
	s_waitcnt vmcnt(0)
	v_mul_f32_e32 v4, s9, v4
	v_fmac_f32_e32 v4, s4, v2
	global_store_dword v[0:1], v4, off offset:128
	;; [unrolled: 5-line block ×3, first 2 shown]
.LBB397_6:
	s_endpgm
.LBB397_7:
	s_branch .LBB397_5
	.section	.rodata,"a",@progbits
	.p2align	6, 0x0
	.amdhsa_kernel _ZN12_GLOBAL__N_127rocblas_gemm_batched_kernelIfLi16ELi16ELi64ELi64ELi4ELi64ELi4ELi4ELi64ELc78ELc67EKDF16_KffEEvlllT_PT11_llS5_llS3_PT12_llPT13_lli
		.amdhsa_group_segment_fixed_size 2048
		.amdhsa_private_segment_fixed_size 0
		.amdhsa_kernarg_size 140
		.amdhsa_user_sgpr_count 6
		.amdhsa_user_sgpr_private_segment_buffer 1
		.amdhsa_user_sgpr_dispatch_ptr 0
		.amdhsa_user_sgpr_queue_ptr 0
		.amdhsa_user_sgpr_kernarg_segment_ptr 1
		.amdhsa_user_sgpr_dispatch_id 0
		.amdhsa_user_sgpr_flat_scratch_init 0
		.amdhsa_user_sgpr_private_segment_size 0
		.amdhsa_wavefront_size32 1
		.amdhsa_uses_dynamic_stack 0
		.amdhsa_system_sgpr_private_segment_wavefront_offset 0
		.amdhsa_system_sgpr_workgroup_id_x 1
		.amdhsa_system_sgpr_workgroup_id_y 1
		.amdhsa_system_sgpr_workgroup_id_z 1
		.amdhsa_system_sgpr_workgroup_info 0
		.amdhsa_system_vgpr_workitem_id 1
		.amdhsa_next_free_vgpr 58
		.amdhsa_next_free_sgpr 23
		.amdhsa_reserve_vcc 1
		.amdhsa_reserve_flat_scratch 0
		.amdhsa_float_round_mode_32 0
		.amdhsa_float_round_mode_16_64 0
		.amdhsa_float_denorm_mode_32 3
		.amdhsa_float_denorm_mode_16_64 3
		.amdhsa_dx10_clamp 1
		.amdhsa_ieee_mode 1
		.amdhsa_fp16_overflow 0
		.amdhsa_workgroup_processor_mode 1
		.amdhsa_memory_ordered 1
		.amdhsa_forward_progress 1
		.amdhsa_shared_vgpr_count 0
		.amdhsa_exception_fp_ieee_invalid_op 0
		.amdhsa_exception_fp_denorm_src 0
		.amdhsa_exception_fp_ieee_div_zero 0
		.amdhsa_exception_fp_ieee_overflow 0
		.amdhsa_exception_fp_ieee_underflow 0
		.amdhsa_exception_fp_ieee_inexact 0
		.amdhsa_exception_int_div_zero 0
	.end_amdhsa_kernel
	.section	.text._ZN12_GLOBAL__N_127rocblas_gemm_batched_kernelIfLi16ELi16ELi64ELi64ELi4ELi64ELi4ELi4ELi64ELc78ELc67EKDF16_KffEEvlllT_PT11_llS5_llS3_PT12_llPT13_lli,"axG",@progbits,_ZN12_GLOBAL__N_127rocblas_gemm_batched_kernelIfLi16ELi16ELi64ELi64ELi4ELi64ELi4ELi4ELi64ELc78ELc67EKDF16_KffEEvlllT_PT11_llS5_llS3_PT12_llPT13_lli,comdat
.Lfunc_end397:
	.size	_ZN12_GLOBAL__N_127rocblas_gemm_batched_kernelIfLi16ELi16ELi64ELi64ELi4ELi64ELi4ELi4ELi64ELc78ELc67EKDF16_KffEEvlllT_PT11_llS5_llS3_PT12_llPT13_lli, .Lfunc_end397-_ZN12_GLOBAL__N_127rocblas_gemm_batched_kernelIfLi16ELi16ELi64ELi64ELi4ELi64ELi4ELi4ELi64ELc78ELc67EKDF16_KffEEvlllT_PT11_llS5_llS3_PT12_llPT13_lli
                                        ; -- End function
	.set _ZN12_GLOBAL__N_127rocblas_gemm_batched_kernelIfLi16ELi16ELi64ELi64ELi4ELi64ELi4ELi4ELi64ELc78ELc67EKDF16_KffEEvlllT_PT11_llS5_llS3_PT12_llPT13_lli.num_vgpr, 58
	.set _ZN12_GLOBAL__N_127rocblas_gemm_batched_kernelIfLi16ELi16ELi64ELi64ELi4ELi64ELi4ELi4ELi64ELc78ELc67EKDF16_KffEEvlllT_PT11_llS5_llS3_PT12_llPT13_lli.num_agpr, 0
	.set _ZN12_GLOBAL__N_127rocblas_gemm_batched_kernelIfLi16ELi16ELi64ELi64ELi4ELi64ELi4ELi4ELi64ELc78ELc67EKDF16_KffEEvlllT_PT11_llS5_llS3_PT12_llPT13_lli.numbered_sgpr, 23
	.set _ZN12_GLOBAL__N_127rocblas_gemm_batched_kernelIfLi16ELi16ELi64ELi64ELi4ELi64ELi4ELi4ELi64ELc78ELc67EKDF16_KffEEvlllT_PT11_llS5_llS3_PT12_llPT13_lli.num_named_barrier, 0
	.set _ZN12_GLOBAL__N_127rocblas_gemm_batched_kernelIfLi16ELi16ELi64ELi64ELi4ELi64ELi4ELi4ELi64ELc78ELc67EKDF16_KffEEvlllT_PT11_llS5_llS3_PT12_llPT13_lli.private_seg_size, 0
	.set _ZN12_GLOBAL__N_127rocblas_gemm_batched_kernelIfLi16ELi16ELi64ELi64ELi4ELi64ELi4ELi4ELi64ELc78ELc67EKDF16_KffEEvlllT_PT11_llS5_llS3_PT12_llPT13_lli.uses_vcc, 1
	.set _ZN12_GLOBAL__N_127rocblas_gemm_batched_kernelIfLi16ELi16ELi64ELi64ELi4ELi64ELi4ELi4ELi64ELc78ELc67EKDF16_KffEEvlllT_PT11_llS5_llS3_PT12_llPT13_lli.uses_flat_scratch, 0
	.set _ZN12_GLOBAL__N_127rocblas_gemm_batched_kernelIfLi16ELi16ELi64ELi64ELi4ELi64ELi4ELi4ELi64ELc78ELc67EKDF16_KffEEvlllT_PT11_llS5_llS3_PT12_llPT13_lli.has_dyn_sized_stack, 0
	.set _ZN12_GLOBAL__N_127rocblas_gemm_batched_kernelIfLi16ELi16ELi64ELi64ELi4ELi64ELi4ELi4ELi64ELc78ELc67EKDF16_KffEEvlllT_PT11_llS5_llS3_PT12_llPT13_lli.has_recursion, 0
	.set _ZN12_GLOBAL__N_127rocblas_gemm_batched_kernelIfLi16ELi16ELi64ELi64ELi4ELi64ELi4ELi4ELi64ELc78ELc67EKDF16_KffEEvlllT_PT11_llS5_llS3_PT12_llPT13_lli.has_indirect_call, 0
	.section	.AMDGPU.csdata,"",@progbits
; Kernel info:
; codeLenInByte = 2256
; TotalNumSgprs: 25
; NumVgprs: 58
; ScratchSize: 0
; MemoryBound: 0
; FloatMode: 240
; IeeeMode: 1
; LDSByteSize: 2048 bytes/workgroup (compile time only)
; SGPRBlocks: 0
; VGPRBlocks: 7
; NumSGPRsForWavesPerEU: 25
; NumVGPRsForWavesPerEU: 58
; Occupancy: 16
; WaveLimiterHint : 0
; COMPUTE_PGM_RSRC2:SCRATCH_EN: 0
; COMPUTE_PGM_RSRC2:USER_SGPR: 6
; COMPUTE_PGM_RSRC2:TRAP_HANDLER: 0
; COMPUTE_PGM_RSRC2:TGID_X_EN: 1
; COMPUTE_PGM_RSRC2:TGID_Y_EN: 1
; COMPUTE_PGM_RSRC2:TGID_Z_EN: 1
; COMPUTE_PGM_RSRC2:TIDIG_COMP_CNT: 1
	.section	.text._ZN12_GLOBAL__N_127rocblas_gemm_batched_kernelIfLi16ELi16ELi64ELi64ELi4ELi64ELi4ELi4ELi64ELc84ELc67EKDF16_KffEEvlllT_PT11_llS5_llS3_PT12_llPT13_lli,"axG",@progbits,_ZN12_GLOBAL__N_127rocblas_gemm_batched_kernelIfLi16ELi16ELi64ELi64ELi4ELi64ELi4ELi4ELi64ELc84ELc67EKDF16_KffEEvlllT_PT11_llS5_llS3_PT12_llPT13_lli,comdat
	.globl	_ZN12_GLOBAL__N_127rocblas_gemm_batched_kernelIfLi16ELi16ELi64ELi64ELi4ELi64ELi4ELi4ELi64ELc84ELc67EKDF16_KffEEvlllT_PT11_llS5_llS3_PT12_llPT13_lli ; -- Begin function _ZN12_GLOBAL__N_127rocblas_gemm_batched_kernelIfLi16ELi16ELi64ELi64ELi4ELi64ELi4ELi4ELi64ELc84ELc67EKDF16_KffEEvlllT_PT11_llS5_llS3_PT12_llPT13_lli
	.p2align	8
	.type	_ZN12_GLOBAL__N_127rocblas_gemm_batched_kernelIfLi16ELi16ELi64ELi64ELi4ELi64ELi4ELi4ELi64ELc84ELc67EKDF16_KffEEvlllT_PT11_llS5_llS3_PT12_llPT13_lli,@function
_ZN12_GLOBAL__N_127rocblas_gemm_batched_kernelIfLi16ELi16ELi64ELi64ELi4ELi64ELi4ELi4ELi64ELc84ELc67EKDF16_KffEEvlllT_PT11_llS5_llS3_PT12_llPT13_lli: ; @_ZN12_GLOBAL__N_127rocblas_gemm_batched_kernelIfLi16ELi16ELi64ELi64ELi4ELi64ELi4ELi4ELi64ELc84ELc67EKDF16_KffEEvlllT_PT11_llS5_llS3_PT12_llPT13_lli
; %bb.0:
	s_load_dwordx2 s[20:21], s[4:5], 0x10
	s_mov_b32 s0, s7
	v_mov_b32_e32 v19, 0
	v_mov_b32_e32 v21, 0
	;; [unrolled: 1-line block ×16, first 2 shown]
	s_ashr_i32 s7, s6, 31
	s_ashr_i32 s1, s0, 31
	s_waitcnt lgkmcnt(0)
	v_cmp_lt_i64_e64 s2, s[20:21], 1
	s_lshl_b64 s[6:7], s[6:7], 6
	s_lshl_b64 s[10:11], s[0:1], 6
	s_and_b32 vcc_lo, exec_lo, s2
	s_cbranch_vccnz .LBB398_3
; %bb.1:
	v_lshlrev_b32_e32 v4, 4, v1
	s_clause 0x1
	s_load_dwordx4 s[0:3], s[4:5], 0x40
	s_load_dwordx8 s[12:19], s[4:5], 0x20
	v_and_b32_e32 v8, 3, v0
	v_mov_b32_e32 v3, 0
	v_add_nc_u32_e32 v5, v4, v0
	v_add_nc_u32_e32 v23, 0x400, v4
	v_lshlrev_b32_e32 v22, 2, v0
	v_lshlrev_b32_e32 v6, 2, v8
	v_mov_b32_e32 v13, v3
	v_and_b32_e32 v7, 63, v5
	v_lshrrev_b32_e32 v2, 2, v5
	v_lshrrev_b32_e32 v10, 6, v5
	v_mov_b32_e32 v14, v3
	v_mov_b32_e32 v15, v3
	v_lshlrev_b32_e32 v4, 2, v7
	v_lshl_or_b32 v9, v2, 4, v6
	v_add_co_u32 v6, s9, s6, v7
	v_add_co_ci_u32_e64 v7, null, s7, 0, s9
	v_lshl_or_b32 v24, v10, 8, v4
	s_waitcnt lgkmcnt(0)
	v_mad_u64_u32 v[4:5], null, s0, v8, v[2:3]
	v_mul_lo_u32 v11, s15, v6
	v_mul_lo_u32 v12, s14, v7
	v_mad_u64_u32 v[6:7], null, s14, v6, 0
	s_mul_i32 s3, s3, s8
	s_mul_hi_u32 s9, s2, s8
	v_mov_b32_e32 v2, v5
	s_mul_i32 s2, s2, s8
	s_add_i32 s3, s9, s3
	v_add_nc_u32_e32 v25, 0x400, v9
	v_add3_u32 v7, v7, v12, v11
	v_mad_u64_u32 v[8:9], null, s1, v8, v[2:3]
	s_lshl_b64 s[2:3], s[2:3], 1
	v_lshlrev_b32_e32 v2, 1, v10
	s_add_u32 s9, s18, s2
	s_addc_u32 s14, s19, s3
	s_mul_i32 s2, s17, s8
	s_mul_hi_u32 s3, s16, s8
	v_lshlrev_b64 v[5:6], 1, v[6:7]
	v_add_co_u32 v7, vcc_lo, v4, s10
	s_add_i32 s3, s3, s2
	s_mul_i32 s2, s16, s8
	v_add_co_ci_u32_e64 v8, null, s11, v8, vcc_lo
	s_lshl_b64 s[2:3], s[2:3], 1
	v_mov_b32_e32 v10, v3
	v_add_co_u32 v9, vcc_lo, v5, s2
	v_add_co_ci_u32_e64 v6, null, s3, v6, vcc_lo
	v_lshlrev_b64 v[4:5], 1, v[7:8]
	v_add_co_u32 v2, vcc_lo, v9, v2
	v_add_co_ci_u32_e64 v7, null, 0, v6, vcc_lo
	v_mov_b32_e32 v8, v3
	v_add_co_u32 v4, vcc_lo, s9, v4
	v_add_co_ci_u32_e64 v5, null, s14, v5, vcc_lo
	v_add_co_u32 v6, vcc_lo, s12, v2
	v_add_co_ci_u32_e64 v7, null, s13, v7, vcc_lo
	v_mov_b32_e32 v2, v3
	v_mov_b32_e32 v9, v3
	;; [unrolled: 1-line block ×10, first 2 shown]
	s_lshl_b64 s[0:1], s[0:1], 3
	s_mov_b64 s[2:3], 0
.LBB398_2:                              ; =>This Inner Loop Header: Depth=1
	global_load_ushort v26, v[6:7], off
	global_load_ushort v27, v[4:5], off
	s_add_u32 s2, s2, 4
	s_addc_u32 s3, s3, 0
	v_add_co_u32 v4, vcc_lo, v4, s0
	v_cmp_lt_i64_e64 s9, s[2:3], s[20:21]
	v_add_co_ci_u32_e64 v5, null, s1, v5, vcc_lo
	v_add_co_u32 v6, vcc_lo, v6, 8
	v_add_co_ci_u32_e64 v7, null, 0, v7, vcc_lo
	s_and_b32 vcc_lo, exec_lo, s9
	s_waitcnt vmcnt(1)
	v_cvt_f32_f16_e32 v26, v26
	s_waitcnt vmcnt(0)
	v_cvt_f32_f16_e32 v27, v27
	ds_write_b32 v24, v26
	ds_write_b32 v25, v27
	s_waitcnt lgkmcnt(0)
	s_barrier
	buffer_gl0_inv
	ds_read_b128 v[26:29], v23
	ds_read2_b32 v[42:43], v22 offset1:16
	ds_read2_b32 v[44:45], v22 offset0:32 offset1:48
	ds_read_b128 v[30:33], v23 offset:256
	ds_read_b128 v[34:37], v23 offset:512
	ds_read_b128 v[38:41], v23 offset:768
	ds_read2_b32 v[46:47], v22 offset0:64 offset1:80
	ds_read2_b32 v[48:49], v22 offset0:96 offset1:112
	;; [unrolled: 1-line block ×6, first 2 shown]
	s_waitcnt lgkmcnt(0)
	s_barrier
	buffer_gl0_inv
	v_fmac_f32_e32 v19, v42, v26
	v_fmac_f32_e32 v21, v43, v26
	;; [unrolled: 1-line block ×64, first 2 shown]
	s_cbranch_vccnz .LBB398_2
.LBB398_3:
	s_clause 0x3
	s_load_dwordx4 s[0:3], s[4:5], 0x78
	s_load_dword s9, s[4:5], 0x50
	s_load_dwordx8 s[12:19], s[4:5], 0x58
	s_load_dword s4, s[4:5], 0x18
	v_add_co_u32 v5, s5, s6, v0
	v_add_co_ci_u32_e64 v6, null, s7, 0, s5
	v_add_co_u32 v4, s5, s10, v1
	v_add_co_ci_u32_e64 v7, null, s11, 0, s5
	v_lshlrev_b64 v[0:1], 2, v[5:6]
	s_waitcnt lgkmcnt(0)
	s_mul_i32 s3, s3, s8
	s_mul_hi_u32 s5, s2, s8
	v_mul_lo_u32 v5, v7, s0
	v_mul_lo_u32 v6, v4, s1
	s_mul_i32 s2, s2, s8
	v_cmp_neq_f32_e64 s6, s9, 0
	s_add_i32 s3, s5, s3
	s_mov_b32 s5, 0
	s_lshl_b64 s[2:3], s[2:3], 2
	s_add_u32 s2, s18, s2
	s_addc_u32 s3, s19, s3
	s_and_b32 vcc_lo, exec_lo, s6
	s_cbranch_vccnz .LBB398_7
; %bb.4:
	v_mad_u64_u32 v[22:23], null, v4, s0, 0
	s_lshl_b64 s[6:7], s[0:1], 6
	v_mul_f32_e32 v26, s4, v19
	v_mul_f32_e32 v27, s4, v21
	;; [unrolled: 1-line block ×5, first 2 shown]
	v_add3_u32 v23, v23, v6, v5
	v_mul_f32_e32 v31, s4, v16
	v_mul_f32_e32 v32, s4, v15
	;; [unrolled: 1-line block ×3, first 2 shown]
	v_lshlrev_b64 v[22:23], 2, v[22:23]
	v_add_co_u32 v22, vcc_lo, s2, v22
	v_add_co_ci_u32_e64 v23, null, s3, v23, vcc_lo
	v_add_co_u32 v34, vcc_lo, v22, s6
	v_add_co_ci_u32_e64 v35, null, s7, v23, vcc_lo
	;; [unrolled: 2-line block ×4, first 2 shown]
	global_store_dword v[22:23], v26, off
	global_store_dword v[22:23], v27, off offset:64
	global_store_dword v[22:23], v28, off offset:128
	;; [unrolled: 1-line block ×3, first 2 shown]
	global_store_dword v[24:25], v30, off
	global_store_dword v[24:25], v31, off offset:64
	v_add_co_u32 v26, vcc_lo, v34, s6
	v_add_co_ci_u32_e64 v27, null, s7, v35, vcc_lo
	v_mul_f32_e32 v28, s4, v13
	v_add_co_u32 v22, vcc_lo, v26, v0
	v_add_co_ci_u32_e64 v23, null, v27, v1, vcc_lo
	v_mul_f32_e32 v29, s4, v12
	v_mul_f32_e32 v30, s4, v11
	global_store_dword v[24:25], v32, off offset:128
	global_store_dword v[24:25], v33, off offset:192
	global_store_dword v[22:23], v28, off
	global_store_dword v[22:23], v29, off offset:64
	global_store_dword v[22:23], v30, off offset:128
	v_add_co_u32 v24, vcc_lo, v26, s6
	v_add_co_ci_u32_e64 v25, null, s7, v27, vcc_lo
	v_mul_f32_e32 v28, s4, v10
	v_add_co_u32 v24, vcc_lo, v24, v0
	v_mul_f32_e32 v26, s4, v9
	v_add_co_ci_u32_e64 v25, null, v25, v1, vcc_lo
	v_mul_f32_e32 v27, s4, v8
	v_mul_f32_e32 v29, s4, v2
	;; [unrolled: 1-line block ×3, first 2 shown]
	global_store_dword v[22:23], v28, off offset:192
	global_store_dword v[24:25], v26, off
	global_store_dword v[24:25], v27, off offset:64
	global_store_dword v[24:25], v29, off offset:128
	;; [unrolled: 1-line block ×3, first 2 shown]
	s_andn2_b32 vcc_lo, exec_lo, s5
	s_cbranch_vccnz .LBB398_6
.LBB398_5:
	v_mul_lo_u32 v7, v7, s14
	v_mul_lo_u32 v24, v4, s15
	v_mad_u64_u32 v[22:23], null, v4, s14, 0
	s_mul_i32 s5, s17, s8
	s_mul_hi_u32 s7, s16, s8
	s_mul_i32 s6, s16, s8
	s_add_i32 s7, s7, s5
	s_lshl_b64 s[6:7], s[6:7], 2
	v_add3_u32 v23, v23, v24, v7
	s_add_u32 s5, s12, s6
	s_addc_u32 s6, s13, s7
	v_mad_u64_u32 v[24:25], null, v4, s0, 0
	v_lshlrev_b64 v[22:23], 2, v[22:23]
	s_lshl_b64 s[0:1], s[0:1], 6
	v_add3_u32 v25, v25, v6, v5
	v_add_co_u32 v7, vcc_lo, s5, v22
	v_add_co_ci_u32_e64 v26, null, s6, v23, vcc_lo
	v_lshlrev_b64 v[4:5], 2, v[24:25]
	v_add_co_u32 v22, vcc_lo, v7, v0
	v_add_co_ci_u32_e64 v23, null, v26, v1, vcc_lo
	v_add_co_u32 v24, vcc_lo, s2, v4
	global_load_dword v27, v[22:23], off
	v_add_co_ci_u32_e64 v25, null, s3, v5, vcc_lo
	v_add_co_u32 v4, vcc_lo, v24, v0
	s_lshl_b64 s[2:3], s[14:15], 6
	v_add_co_ci_u32_e64 v5, null, v25, v1, vcc_lo
	s_waitcnt vmcnt(0)
	v_mul_f32_e32 v6, s9, v27
	v_fmac_f32_e32 v6, s4, v19
	global_store_dword v[4:5], v6, off
	global_load_dword v6, v[22:23], off offset:64
	s_waitcnt vmcnt(0)
	v_mul_f32_e32 v6, s9, v6
	v_fmac_f32_e32 v6, s4, v21
	global_store_dword v[4:5], v6, off offset:64
	global_load_dword v6, v[22:23], off offset:128
	s_waitcnt vmcnt(0)
	v_mul_f32_e32 v6, s9, v6
	v_fmac_f32_e32 v6, s4, v20
	v_add_co_u32 v20, vcc_lo, v7, s2
	v_add_co_ci_u32_e64 v21, null, s3, v26, vcc_lo
	global_store_dword v[4:5], v6, off offset:128
	global_load_dword v6, v[22:23], off offset:192
	s_waitcnt vmcnt(0)
	v_mul_f32_e32 v19, s9, v6
	v_add_co_u32 v6, vcc_lo, v20, v0
	v_add_co_ci_u32_e64 v7, null, v21, v1, vcc_lo
	v_fmac_f32_e32 v19, s4, v18
	v_add_co_u32 v18, vcc_lo, v24, s0
	global_store_dword v[4:5], v19, off offset:192
	global_load_dword v4, v[6:7], off
	v_add_co_ci_u32_e64 v19, null, s1, v25, vcc_lo
	s_waitcnt vmcnt(0)
	v_mul_f32_e32 v22, s9, v4
	v_add_co_u32 v4, vcc_lo, v18, v0
	v_add_co_ci_u32_e64 v5, null, v19, v1, vcc_lo
	v_fmac_f32_e32 v22, s4, v17
	global_store_dword v[4:5], v22, off
	global_load_dword v17, v[6:7], off offset:64
	s_waitcnt vmcnt(0)
	v_mul_f32_e32 v17, s9, v17
	v_fmac_f32_e32 v17, s4, v16
	global_store_dword v[4:5], v17, off offset:64
	global_load_dword v16, v[6:7], off offset:128
	s_waitcnt vmcnt(0)
	v_mul_f32_e32 v16, s9, v16
	v_fmac_f32_e32 v16, s4, v15
	global_store_dword v[4:5], v16, off offset:128
	global_load_dword v6, v[6:7], off offset:192
	v_add_co_u32 v16, vcc_lo, v20, s2
	v_add_co_ci_u32_e64 v17, null, s3, v21, vcc_lo
	s_waitcnt vmcnt(0)
	v_mul_f32_e32 v15, s9, v6
	v_add_co_u32 v6, vcc_lo, v16, v0
	v_add_co_ci_u32_e64 v7, null, v17, v1, vcc_lo
	v_fmac_f32_e32 v15, s4, v14
	v_add_co_u32 v14, vcc_lo, v18, s0
	global_store_dword v[4:5], v15, off offset:192
	global_load_dword v4, v[6:7], off
	v_add_co_ci_u32_e64 v15, null, s1, v19, vcc_lo
	s_waitcnt vmcnt(0)
	v_mul_f32_e32 v18, s9, v4
	v_add_co_u32 v4, vcc_lo, v14, v0
	v_add_co_ci_u32_e64 v5, null, v15, v1, vcc_lo
	v_fmac_f32_e32 v18, s4, v13
	global_store_dword v[4:5], v18, off
	global_load_dword v13, v[6:7], off offset:64
	s_waitcnt vmcnt(0)
	v_mul_f32_e32 v13, s9, v13
	v_fmac_f32_e32 v13, s4, v12
	global_store_dword v[4:5], v13, off offset:64
	global_load_dword v12, v[6:7], off offset:128
	s_waitcnt vmcnt(0)
	v_mul_f32_e32 v12, s9, v12
	v_fmac_f32_e32 v12, s4, v11
	global_store_dword v[4:5], v12, off offset:128
	global_load_dword v6, v[6:7], off offset:192
	s_waitcnt vmcnt(0)
	v_mul_f32_e32 v11, s9, v6
	v_add_co_u32 v6, vcc_lo, v16, s2
	v_add_co_ci_u32_e64 v7, null, s3, v17, vcc_lo
	v_fmac_f32_e32 v11, s4, v10
	v_add_co_u32 v6, vcc_lo, v6, v0
	v_add_co_ci_u32_e64 v7, null, v7, v1, vcc_lo
	global_store_dword v[4:5], v11, off offset:192
	v_add_co_u32 v5, vcc_lo, v14, s0
	global_load_dword v4, v[6:7], off
	v_add_co_ci_u32_e64 v10, null, s1, v15, vcc_lo
	v_add_co_u32 v0, vcc_lo, v5, v0
	v_add_co_ci_u32_e64 v1, null, v10, v1, vcc_lo
	s_waitcnt vmcnt(0)
	v_mul_f32_e32 v4, s9, v4
	v_fmac_f32_e32 v4, s4, v9
	global_store_dword v[0:1], v4, off
	global_load_dword v4, v[6:7], off offset:64
	s_waitcnt vmcnt(0)
	v_mul_f32_e32 v4, s9, v4
	v_fmac_f32_e32 v4, s4, v8
	global_store_dword v[0:1], v4, off offset:64
	global_load_dword v4, v[6:7], off offset:128
	s_waitcnt vmcnt(0)
	v_mul_f32_e32 v4, s9, v4
	v_fmac_f32_e32 v4, s4, v2
	global_store_dword v[0:1], v4, off offset:128
	;; [unrolled: 5-line block ×3, first 2 shown]
.LBB398_6:
	s_endpgm
.LBB398_7:
	s_branch .LBB398_5
	.section	.rodata,"a",@progbits
	.p2align	6, 0x0
	.amdhsa_kernel _ZN12_GLOBAL__N_127rocblas_gemm_batched_kernelIfLi16ELi16ELi64ELi64ELi4ELi64ELi4ELi4ELi64ELc84ELc67EKDF16_KffEEvlllT_PT11_llS5_llS3_PT12_llPT13_lli
		.amdhsa_group_segment_fixed_size 2048
		.amdhsa_private_segment_fixed_size 0
		.amdhsa_kernarg_size 140
		.amdhsa_user_sgpr_count 6
		.amdhsa_user_sgpr_private_segment_buffer 1
		.amdhsa_user_sgpr_dispatch_ptr 0
		.amdhsa_user_sgpr_queue_ptr 0
		.amdhsa_user_sgpr_kernarg_segment_ptr 1
		.amdhsa_user_sgpr_dispatch_id 0
		.amdhsa_user_sgpr_flat_scratch_init 0
		.amdhsa_user_sgpr_private_segment_size 0
		.amdhsa_wavefront_size32 1
		.amdhsa_uses_dynamic_stack 0
		.amdhsa_system_sgpr_private_segment_wavefront_offset 0
		.amdhsa_system_sgpr_workgroup_id_x 1
		.amdhsa_system_sgpr_workgroup_id_y 1
		.amdhsa_system_sgpr_workgroup_id_z 1
		.amdhsa_system_sgpr_workgroup_info 0
		.amdhsa_system_vgpr_workitem_id 1
		.amdhsa_next_free_vgpr 58
		.amdhsa_next_free_sgpr 22
		.amdhsa_reserve_vcc 1
		.amdhsa_reserve_flat_scratch 0
		.amdhsa_float_round_mode_32 0
		.amdhsa_float_round_mode_16_64 0
		.amdhsa_float_denorm_mode_32 3
		.amdhsa_float_denorm_mode_16_64 3
		.amdhsa_dx10_clamp 1
		.amdhsa_ieee_mode 1
		.amdhsa_fp16_overflow 0
		.amdhsa_workgroup_processor_mode 1
		.amdhsa_memory_ordered 1
		.amdhsa_forward_progress 1
		.amdhsa_shared_vgpr_count 0
		.amdhsa_exception_fp_ieee_invalid_op 0
		.amdhsa_exception_fp_denorm_src 0
		.amdhsa_exception_fp_ieee_div_zero 0
		.amdhsa_exception_fp_ieee_overflow 0
		.amdhsa_exception_fp_ieee_underflow 0
		.amdhsa_exception_fp_ieee_inexact 0
		.amdhsa_exception_int_div_zero 0
	.end_amdhsa_kernel
	.section	.text._ZN12_GLOBAL__N_127rocblas_gemm_batched_kernelIfLi16ELi16ELi64ELi64ELi4ELi64ELi4ELi4ELi64ELc84ELc67EKDF16_KffEEvlllT_PT11_llS5_llS3_PT12_llPT13_lli,"axG",@progbits,_ZN12_GLOBAL__N_127rocblas_gemm_batched_kernelIfLi16ELi16ELi64ELi64ELi4ELi64ELi4ELi4ELi64ELc84ELc67EKDF16_KffEEvlllT_PT11_llS5_llS3_PT12_llPT13_lli,comdat
.Lfunc_end398:
	.size	_ZN12_GLOBAL__N_127rocblas_gemm_batched_kernelIfLi16ELi16ELi64ELi64ELi4ELi64ELi4ELi4ELi64ELc84ELc67EKDF16_KffEEvlllT_PT11_llS5_llS3_PT12_llPT13_lli, .Lfunc_end398-_ZN12_GLOBAL__N_127rocblas_gemm_batched_kernelIfLi16ELi16ELi64ELi64ELi4ELi64ELi4ELi4ELi64ELc84ELc67EKDF16_KffEEvlllT_PT11_llS5_llS3_PT12_llPT13_lli
                                        ; -- End function
	.set _ZN12_GLOBAL__N_127rocblas_gemm_batched_kernelIfLi16ELi16ELi64ELi64ELi4ELi64ELi4ELi4ELi64ELc84ELc67EKDF16_KffEEvlllT_PT11_llS5_llS3_PT12_llPT13_lli.num_vgpr, 58
	.set _ZN12_GLOBAL__N_127rocblas_gemm_batched_kernelIfLi16ELi16ELi64ELi64ELi4ELi64ELi4ELi4ELi64ELc84ELc67EKDF16_KffEEvlllT_PT11_llS5_llS3_PT12_llPT13_lli.num_agpr, 0
	.set _ZN12_GLOBAL__N_127rocblas_gemm_batched_kernelIfLi16ELi16ELi64ELi64ELi4ELi64ELi4ELi4ELi64ELc84ELc67EKDF16_KffEEvlllT_PT11_llS5_llS3_PT12_llPT13_lli.numbered_sgpr, 22
	.set _ZN12_GLOBAL__N_127rocblas_gemm_batched_kernelIfLi16ELi16ELi64ELi64ELi4ELi64ELi4ELi4ELi64ELc84ELc67EKDF16_KffEEvlllT_PT11_llS5_llS3_PT12_llPT13_lli.num_named_barrier, 0
	.set _ZN12_GLOBAL__N_127rocblas_gemm_batched_kernelIfLi16ELi16ELi64ELi64ELi4ELi64ELi4ELi4ELi64ELc84ELc67EKDF16_KffEEvlllT_PT11_llS5_llS3_PT12_llPT13_lli.private_seg_size, 0
	.set _ZN12_GLOBAL__N_127rocblas_gemm_batched_kernelIfLi16ELi16ELi64ELi64ELi4ELi64ELi4ELi4ELi64ELc84ELc67EKDF16_KffEEvlllT_PT11_llS5_llS3_PT12_llPT13_lli.uses_vcc, 1
	.set _ZN12_GLOBAL__N_127rocblas_gemm_batched_kernelIfLi16ELi16ELi64ELi64ELi4ELi64ELi4ELi4ELi64ELc84ELc67EKDF16_KffEEvlllT_PT11_llS5_llS3_PT12_llPT13_lli.uses_flat_scratch, 0
	.set _ZN12_GLOBAL__N_127rocblas_gemm_batched_kernelIfLi16ELi16ELi64ELi64ELi4ELi64ELi4ELi4ELi64ELc84ELc67EKDF16_KffEEvlllT_PT11_llS5_llS3_PT12_llPT13_lli.has_dyn_sized_stack, 0
	.set _ZN12_GLOBAL__N_127rocblas_gemm_batched_kernelIfLi16ELi16ELi64ELi64ELi4ELi64ELi4ELi4ELi64ELc84ELc67EKDF16_KffEEvlllT_PT11_llS5_llS3_PT12_llPT13_lli.has_recursion, 0
	.set _ZN12_GLOBAL__N_127rocblas_gemm_batched_kernelIfLi16ELi16ELi64ELi64ELi4ELi64ELi4ELi4ELi64ELc84ELc67EKDF16_KffEEvlllT_PT11_llS5_llS3_PT12_llPT13_lli.has_indirect_call, 0
	.section	.AMDGPU.csdata,"",@progbits
; Kernel info:
; codeLenInByte = 2292
; TotalNumSgprs: 24
; NumVgprs: 58
; ScratchSize: 0
; MemoryBound: 0
; FloatMode: 240
; IeeeMode: 1
; LDSByteSize: 2048 bytes/workgroup (compile time only)
; SGPRBlocks: 0
; VGPRBlocks: 7
; NumSGPRsForWavesPerEU: 24
; NumVGPRsForWavesPerEU: 58
; Occupancy: 16
; WaveLimiterHint : 0
; COMPUTE_PGM_RSRC2:SCRATCH_EN: 0
; COMPUTE_PGM_RSRC2:USER_SGPR: 6
; COMPUTE_PGM_RSRC2:TRAP_HANDLER: 0
; COMPUTE_PGM_RSRC2:TGID_X_EN: 1
; COMPUTE_PGM_RSRC2:TGID_Y_EN: 1
; COMPUTE_PGM_RSRC2:TGID_Z_EN: 1
; COMPUTE_PGM_RSRC2:TIDIG_COMP_CNT: 1
	.section	.text._ZN12_GLOBAL__N_127rocblas_gemm_batched_kernelIfLi16ELi16ELi32ELi32ELi8ELi32ELi8ELi8ELi32ELc78ELc78EKDF16_KffEEvlllT_PT11_llS5_llS3_PT12_llPT13_lli,"axG",@progbits,_ZN12_GLOBAL__N_127rocblas_gemm_batched_kernelIfLi16ELi16ELi32ELi32ELi8ELi32ELi8ELi8ELi32ELc78ELc78EKDF16_KffEEvlllT_PT11_llS5_llS3_PT12_llPT13_lli,comdat
	.globl	_ZN12_GLOBAL__N_127rocblas_gemm_batched_kernelIfLi16ELi16ELi32ELi32ELi8ELi32ELi8ELi8ELi32ELc78ELc78EKDF16_KffEEvlllT_PT11_llS5_llS3_PT12_llPT13_lli ; -- Begin function _ZN12_GLOBAL__N_127rocblas_gemm_batched_kernelIfLi16ELi16ELi32ELi32ELi8ELi32ELi8ELi8ELi32ELc78ELc78EKDF16_KffEEvlllT_PT11_llS5_llS3_PT12_llPT13_lli
	.p2align	8
	.type	_ZN12_GLOBAL__N_127rocblas_gemm_batched_kernelIfLi16ELi16ELi32ELi32ELi8ELi32ELi8ELi8ELi32ELc78ELc78EKDF16_KffEEvlllT_PT11_llS5_llS3_PT12_llPT13_lli,@function
_ZN12_GLOBAL__N_127rocblas_gemm_batched_kernelIfLi16ELi16ELi32ELi32ELi8ELi32ELi8ELi8ELi32ELc78ELc78EKDF16_KffEEvlllT_PT11_llS5_llS3_PT12_llPT13_lli: ; @_ZN12_GLOBAL__N_127rocblas_gemm_batched_kernelIfLi16ELi16ELi32ELi32ELi8ELi32ELi8ELi8ELi32ELc78ELc78EKDF16_KffEEvlllT_PT11_llS5_llS3_PT12_llPT13_lli
; %bb.0:
	s_load_dwordx2 s[20:21], s[4:5], 0x10
	s_mov_b32 s0, s7
	v_mov_b32_e32 v9, 0
	v_mov_b32_e32 v8, 0
	;; [unrolled: 1-line block ×4, first 2 shown]
	s_ashr_i32 s7, s6, 31
	s_ashr_i32 s1, s0, 31
	s_lshl_b64 s[6:7], s[6:7], 5
	s_lshl_b64 s[10:11], s[0:1], 5
	s_waitcnt lgkmcnt(0)
	v_cmp_lt_i64_e64 s2, s[20:21], 1
	s_and_b32 vcc_lo, exec_lo, s2
	s_cbranch_vccnz .LBB399_3
; %bb.1:
	s_load_dwordx4 s[0:3], s[4:5], 0x40
	v_lshl_add_u32 v2, v1, 4, v0
	s_load_dwordx8 s[12:19], s[4:5], 0x20
	v_and_b32_e32 v9, 7, v0
	v_mov_b32_e32 v6, 0
	v_lshlrev_b32_e32 v10, 2, v0
	v_lshrrev_b32_e32 v4, 3, v2
	v_and_b32_e32 v14, 31, v2
	v_lshrrev_b32_e32 v7, 5, v2
	v_lshlrev_b32_e32 v8, 2, v9
	v_lshlrev_b32_e32 v9, 1, v9
	v_add_co_u32 v3, s9, v4, s10
	v_add_co_ci_u32_e64 v5, null, 0, s11, s9
	v_lshl_or_b32 v8, v4, 5, v8
	v_lshlrev_b32_e32 v12, 2, v14
	v_lshl_add_u32 v11, v1, 5, 0x400
	v_add_nc_u32_e32 v13, 0x400, v8
	s_waitcnt lgkmcnt(0)
	v_mul_lo_u32 v15, s1, v3
	v_mul_lo_u32 v16, s0, v5
	v_mad_u64_u32 v[2:3], null, s0, v3, 0
	v_mad_u64_u32 v[4:5], null, s14, v7, s[6:7]
	s_mul_i32 s1, s3, s8
	s_mul_hi_u32 s3, s2, s8
	v_lshl_or_b32 v12, v7, 7, v12
	s_mul_i32 s0, s2, s8
	v_add3_u32 v3, v3, v16, v15
	s_add_i32 s1, s3, s1
	v_mad_u64_u32 v[7:8], null, s15, v7, v[5:6]
	s_lshl_b64 s[0:1], s[0:1], 1
	v_lshlrev_b64 v[2:3], 1, v[2:3]
	s_mul_i32 s2, s17, s8
	v_add_co_u32 v5, vcc_lo, v2, s0
	v_add_co_ci_u32_e64 v8, null, s1, v3, vcc_lo
	v_add_co_u32 v2, vcc_lo, v4, v14
	v_add_co_ci_u32_e64 v3, null, 0, v7, vcc_lo
	s_mul_hi_u32 s0, s16, s8
	v_add_co_u32 v7, vcc_lo, v5, v9
	s_add_i32 s1, s0, s2
	s_mul_i32 s0, s16, s8
	v_lshlrev_b64 v[4:5], 1, v[2:3]
	v_add_co_ci_u32_e64 v8, null, 0, v8, vcc_lo
	s_lshl_b64 s[0:1], s[0:1], 1
	v_add_co_u32 v2, vcc_lo, s18, v7
	s_add_u32 s0, s12, s0
	v_add_co_ci_u32_e64 v3, null, s19, v8, vcc_lo
	s_addc_u32 s1, s13, s1
	v_add_co_u32 v4, vcc_lo, s0, v4
	v_add_co_ci_u32_e64 v5, null, s1, v5, vcc_lo
	v_mov_b32_e32 v7, 0
	v_mov_b32_e32 v8, 0
	;; [unrolled: 1-line block ×3, first 2 shown]
	s_lshl_b64 s[0:1], s[14:15], 4
	s_mov_b64 s[2:3], 0
.LBB399_2:                              ; =>This Inner Loop Header: Depth=1
	global_load_ushort v14, v[4:5], off
	global_load_ushort v15, v[2:3], off
	s_add_u32 s2, s2, 8
	s_addc_u32 s3, s3, 0
	v_add_co_u32 v2, vcc_lo, v2, 16
	v_cmp_lt_i64_e64 s9, s[2:3], s[20:21]
	v_add_co_ci_u32_e64 v3, null, 0, v3, vcc_lo
	v_add_co_u32 v4, vcc_lo, v4, s0
	v_add_co_ci_u32_e64 v5, null, s1, v5, vcc_lo
	s_and_b32 vcc_lo, exec_lo, s9
	s_waitcnt vmcnt(1)
	v_cvt_f32_f16_e32 v14, v14
	s_waitcnt vmcnt(0)
	v_cvt_f32_f16_e32 v15, v15
	ds_write_b32 v12, v14
	ds_write_b32 v13, v15
	s_waitcnt lgkmcnt(0)
	s_barrier
	buffer_gl0_inv
	ds_read_b128 v[14:17], v11
	ds_read2_b32 v[30:31], v10 offset1:16
	ds_read_b128 v[18:21], v11 offset:512
	ds_read2_b32 v[32:33], v10 offset0:32 offset1:48
	ds_read2_b32 v[34:35], v10 offset0:64 offset1:80
	ds_read_b128 v[22:25], v11 offset:16
	ds_read2_b32 v[36:37], v10 offset0:96 offset1:112
	ds_read2_b32 v[38:39], v10 offset0:128 offset1:144
	;; [unrolled: 3-line block ×3, first 2 shown]
	ds_read2_b32 v[44:45], v10 offset0:224 offset1:240
	s_waitcnt lgkmcnt(0)
	s_barrier
	buffer_gl0_inv
	v_fmac_f32_e32 v9, v30, v14
	v_fmac_f32_e32 v8, v31, v14
	;; [unrolled: 1-line block ×32, first 2 shown]
	s_cbranch_vccnz .LBB399_2
.LBB399_3:
	s_clause 0x3
	s_load_dwordx4 s[0:3], s[4:5], 0x78
	s_load_dword s9, s[4:5], 0x50
	s_load_dwordx8 s[12:19], s[4:5], 0x58
	s_load_dword s4, s[4:5], 0x18
	v_add_co_u32 v3, s5, s6, v0
	v_add_co_ci_u32_e64 v4, null, s7, 0, s5
	v_add_co_u32 v2, s5, s10, v1
	v_add_co_ci_u32_e64 v5, null, s11, 0, s5
	v_lshlrev_b64 v[0:1], 2, v[3:4]
	s_waitcnt lgkmcnt(0)
	s_mul_i32 s3, s3, s8
	s_mul_hi_u32 s5, s2, s8
	v_mul_lo_u32 v3, v5, s0
	v_mul_lo_u32 v4, v2, s1
	s_mul_i32 s2, s2, s8
	v_cmp_neq_f32_e64 s6, s9, 0
	s_add_i32 s3, s5, s3
	s_mov_b32 s5, 0
	s_lshl_b64 s[2:3], s[2:3], 2
	s_add_u32 s2, s18, s2
	s_addc_u32 s3, s19, s3
	s_and_b32 vcc_lo, exec_lo, s6
	s_cbranch_vccnz .LBB399_7
; %bb.4:
	v_mad_u64_u32 v[10:11], null, v2, s0, 0
	s_lshl_b64 s[6:7], s[0:1], 6
	v_mul_f32_e32 v14, s4, v9
	v_mul_f32_e32 v15, s4, v8
	;; [unrolled: 1-line block ×4, first 2 shown]
	v_add3_u32 v11, v11, v4, v3
	v_lshlrev_b64 v[10:11], 2, v[10:11]
	v_add_co_u32 v10, vcc_lo, s2, v10
	v_add_co_ci_u32_e64 v11, null, s3, v11, vcc_lo
	v_add_co_u32 v12, vcc_lo, v10, s6
	v_add_co_ci_u32_e64 v13, null, s7, v11, vcc_lo
	;; [unrolled: 2-line block ×4, first 2 shown]
	global_store_dword v[10:11], v14, off
	global_store_dword v[10:11], v15, off offset:64
	global_store_dword v[12:13], v16, off
	global_store_dword v[12:13], v17, off offset:64
	s_andn2_b32 vcc_lo, exec_lo, s5
	s_cbranch_vccnz .LBB399_6
.LBB399_5:
	v_mul_lo_u32 v5, v5, s14
	v_mul_lo_u32 v12, v2, s15
	v_mad_u64_u32 v[10:11], null, v2, s14, 0
	s_mul_i32 s5, s17, s8
	s_mul_hi_u32 s7, s16, s8
	s_mul_i32 s6, s16, s8
	s_add_i32 s7, s7, s5
	s_lshl_b64 s[6:7], s[6:7], 2
	v_add3_u32 v11, v11, v12, v5
	s_add_u32 s5, s12, s6
	s_addc_u32 s6, s13, s7
	v_mad_u64_u32 v[12:13], null, v2, s0, 0
	v_lshlrev_b64 v[10:11], 2, v[10:11]
	s_lshl_b64 s[0:1], s[0:1], 6
	v_add3_u32 v13, v13, v4, v3
	v_add_co_u32 v5, vcc_lo, s5, v10
	v_add_co_ci_u32_e64 v14, null, s6, v11, vcc_lo
	v_lshlrev_b64 v[2:3], 2, v[12:13]
	v_add_co_u32 v10, vcc_lo, v5, v0
	v_add_co_ci_u32_e64 v11, null, v14, v1, vcc_lo
	v_add_co_u32 v12, vcc_lo, s2, v2
	global_load_dword v15, v[10:11], off
	v_add_co_ci_u32_e64 v13, null, s3, v3, vcc_lo
	v_add_co_u32 v2, vcc_lo, v12, v0
	s_lshl_b64 s[2:3], s[14:15], 6
	v_add_co_ci_u32_e64 v3, null, v13, v1, vcc_lo
	s_waitcnt vmcnt(0)
	v_mul_f32_e32 v4, s9, v15
	v_fmac_f32_e32 v4, s4, v9
	global_store_dword v[2:3], v4, off
	global_load_dword v4, v[10:11], off offset:64
	s_waitcnt vmcnt(0)
	v_mul_f32_e32 v9, s9, v4
	v_add_co_u32 v4, vcc_lo, v5, s2
	v_add_co_ci_u32_e64 v5, null, s3, v14, vcc_lo
	v_fmac_f32_e32 v9, s4, v8
	v_add_co_u32 v4, vcc_lo, v4, v0
	v_add_co_ci_u32_e64 v5, null, v5, v1, vcc_lo
	global_store_dword v[2:3], v9, off offset:64
	v_add_co_u32 v3, vcc_lo, v12, s0
	global_load_dword v2, v[4:5], off
	v_add_co_ci_u32_e64 v8, null, s1, v13, vcc_lo
	v_add_co_u32 v0, vcc_lo, v3, v0
	v_add_co_ci_u32_e64 v1, null, v8, v1, vcc_lo
	s_waitcnt vmcnt(0)
	v_mul_f32_e32 v2, s9, v2
	v_fmac_f32_e32 v2, s4, v7
	global_store_dword v[0:1], v2, off
	global_load_dword v2, v[4:5], off offset:64
	s_waitcnt vmcnt(0)
	v_mul_f32_e32 v2, s9, v2
	v_fmac_f32_e32 v2, s4, v6
	global_store_dword v[0:1], v2, off offset:64
.LBB399_6:
	s_endpgm
.LBB399_7:
	s_branch .LBB399_5
	.section	.rodata,"a",@progbits
	.p2align	6, 0x0
	.amdhsa_kernel _ZN12_GLOBAL__N_127rocblas_gemm_batched_kernelIfLi16ELi16ELi32ELi32ELi8ELi32ELi8ELi8ELi32ELc78ELc78EKDF16_KffEEvlllT_PT11_llS5_llS3_PT12_llPT13_lli
		.amdhsa_group_segment_fixed_size 2048
		.amdhsa_private_segment_fixed_size 0
		.amdhsa_kernarg_size 140
		.amdhsa_user_sgpr_count 6
		.amdhsa_user_sgpr_private_segment_buffer 1
		.amdhsa_user_sgpr_dispatch_ptr 0
		.amdhsa_user_sgpr_queue_ptr 0
		.amdhsa_user_sgpr_kernarg_segment_ptr 1
		.amdhsa_user_sgpr_dispatch_id 0
		.amdhsa_user_sgpr_flat_scratch_init 0
		.amdhsa_user_sgpr_private_segment_size 0
		.amdhsa_wavefront_size32 1
		.amdhsa_uses_dynamic_stack 0
		.amdhsa_system_sgpr_private_segment_wavefront_offset 0
		.amdhsa_system_sgpr_workgroup_id_x 1
		.amdhsa_system_sgpr_workgroup_id_y 1
		.amdhsa_system_sgpr_workgroup_id_z 1
		.amdhsa_system_sgpr_workgroup_info 0
		.amdhsa_system_vgpr_workitem_id 1
		.amdhsa_next_free_vgpr 46
		.amdhsa_next_free_sgpr 22
		.amdhsa_reserve_vcc 1
		.amdhsa_reserve_flat_scratch 0
		.amdhsa_float_round_mode_32 0
		.amdhsa_float_round_mode_16_64 0
		.amdhsa_float_denorm_mode_32 3
		.amdhsa_float_denorm_mode_16_64 3
		.amdhsa_dx10_clamp 1
		.amdhsa_ieee_mode 1
		.amdhsa_fp16_overflow 0
		.amdhsa_workgroup_processor_mode 1
		.amdhsa_memory_ordered 1
		.amdhsa_forward_progress 1
		.amdhsa_shared_vgpr_count 0
		.amdhsa_exception_fp_ieee_invalid_op 0
		.amdhsa_exception_fp_denorm_src 0
		.amdhsa_exception_fp_ieee_div_zero 0
		.amdhsa_exception_fp_ieee_overflow 0
		.amdhsa_exception_fp_ieee_underflow 0
		.amdhsa_exception_fp_ieee_inexact 0
		.amdhsa_exception_int_div_zero 0
	.end_amdhsa_kernel
	.section	.text._ZN12_GLOBAL__N_127rocblas_gemm_batched_kernelIfLi16ELi16ELi32ELi32ELi8ELi32ELi8ELi8ELi32ELc78ELc78EKDF16_KffEEvlllT_PT11_llS5_llS3_PT12_llPT13_lli,"axG",@progbits,_ZN12_GLOBAL__N_127rocblas_gemm_batched_kernelIfLi16ELi16ELi32ELi32ELi8ELi32ELi8ELi8ELi32ELc78ELc78EKDF16_KffEEvlllT_PT11_llS5_llS3_PT12_llPT13_lli,comdat
.Lfunc_end399:
	.size	_ZN12_GLOBAL__N_127rocblas_gemm_batched_kernelIfLi16ELi16ELi32ELi32ELi8ELi32ELi8ELi8ELi32ELc78ELc78EKDF16_KffEEvlllT_PT11_llS5_llS3_PT12_llPT13_lli, .Lfunc_end399-_ZN12_GLOBAL__N_127rocblas_gemm_batched_kernelIfLi16ELi16ELi32ELi32ELi8ELi32ELi8ELi8ELi32ELc78ELc78EKDF16_KffEEvlllT_PT11_llS5_llS3_PT12_llPT13_lli
                                        ; -- End function
	.set _ZN12_GLOBAL__N_127rocblas_gemm_batched_kernelIfLi16ELi16ELi32ELi32ELi8ELi32ELi8ELi8ELi32ELc78ELc78EKDF16_KffEEvlllT_PT11_llS5_llS3_PT12_llPT13_lli.num_vgpr, 46
	.set _ZN12_GLOBAL__N_127rocblas_gemm_batched_kernelIfLi16ELi16ELi32ELi32ELi8ELi32ELi8ELi8ELi32ELc78ELc78EKDF16_KffEEvlllT_PT11_llS5_llS3_PT12_llPT13_lli.num_agpr, 0
	.set _ZN12_GLOBAL__N_127rocblas_gemm_batched_kernelIfLi16ELi16ELi32ELi32ELi8ELi32ELi8ELi8ELi32ELc78ELc78EKDF16_KffEEvlllT_PT11_llS5_llS3_PT12_llPT13_lli.numbered_sgpr, 22
	.set _ZN12_GLOBAL__N_127rocblas_gemm_batched_kernelIfLi16ELi16ELi32ELi32ELi8ELi32ELi8ELi8ELi32ELc78ELc78EKDF16_KffEEvlllT_PT11_llS5_llS3_PT12_llPT13_lli.num_named_barrier, 0
	.set _ZN12_GLOBAL__N_127rocblas_gemm_batched_kernelIfLi16ELi16ELi32ELi32ELi8ELi32ELi8ELi8ELi32ELc78ELc78EKDF16_KffEEvlllT_PT11_llS5_llS3_PT12_llPT13_lli.private_seg_size, 0
	.set _ZN12_GLOBAL__N_127rocblas_gemm_batched_kernelIfLi16ELi16ELi32ELi32ELi8ELi32ELi8ELi8ELi32ELc78ELc78EKDF16_KffEEvlllT_PT11_llS5_llS3_PT12_llPT13_lli.uses_vcc, 1
	.set _ZN12_GLOBAL__N_127rocblas_gemm_batched_kernelIfLi16ELi16ELi32ELi32ELi8ELi32ELi8ELi8ELi32ELc78ELc78EKDF16_KffEEvlllT_PT11_llS5_llS3_PT12_llPT13_lli.uses_flat_scratch, 0
	.set _ZN12_GLOBAL__N_127rocblas_gemm_batched_kernelIfLi16ELi16ELi32ELi32ELi8ELi32ELi8ELi8ELi32ELc78ELc78EKDF16_KffEEvlllT_PT11_llS5_llS3_PT12_llPT13_lli.has_dyn_sized_stack, 0
	.set _ZN12_GLOBAL__N_127rocblas_gemm_batched_kernelIfLi16ELi16ELi32ELi32ELi8ELi32ELi8ELi8ELi32ELc78ELc78EKDF16_KffEEvlllT_PT11_llS5_llS3_PT12_llPT13_lli.has_recursion, 0
	.set _ZN12_GLOBAL__N_127rocblas_gemm_batched_kernelIfLi16ELi16ELi32ELi32ELi8ELi32ELi8ELi8ELi32ELc78ELc78EKDF16_KffEEvlllT_PT11_llS5_llS3_PT12_llPT13_lli.has_indirect_call, 0
	.section	.AMDGPU.csdata,"",@progbits
; Kernel info:
; codeLenInByte = 1392
; TotalNumSgprs: 24
; NumVgprs: 46
; ScratchSize: 0
; MemoryBound: 0
; FloatMode: 240
; IeeeMode: 1
; LDSByteSize: 2048 bytes/workgroup (compile time only)
; SGPRBlocks: 0
; VGPRBlocks: 5
; NumSGPRsForWavesPerEU: 24
; NumVGPRsForWavesPerEU: 46
; Occupancy: 16
; WaveLimiterHint : 0
; COMPUTE_PGM_RSRC2:SCRATCH_EN: 0
; COMPUTE_PGM_RSRC2:USER_SGPR: 6
; COMPUTE_PGM_RSRC2:TRAP_HANDLER: 0
; COMPUTE_PGM_RSRC2:TGID_X_EN: 1
; COMPUTE_PGM_RSRC2:TGID_Y_EN: 1
; COMPUTE_PGM_RSRC2:TGID_Z_EN: 1
; COMPUTE_PGM_RSRC2:TIDIG_COMP_CNT: 1
	.section	.text._ZN12_GLOBAL__N_127rocblas_gemm_batched_kernelIfLi16ELi16ELi32ELi32ELi8ELi32ELi8ELi8ELi32ELc84ELc78EKDF16_KffEEvlllT_PT11_llS5_llS3_PT12_llPT13_lli,"axG",@progbits,_ZN12_GLOBAL__N_127rocblas_gemm_batched_kernelIfLi16ELi16ELi32ELi32ELi8ELi32ELi8ELi8ELi32ELc84ELc78EKDF16_KffEEvlllT_PT11_llS5_llS3_PT12_llPT13_lli,comdat
	.globl	_ZN12_GLOBAL__N_127rocblas_gemm_batched_kernelIfLi16ELi16ELi32ELi32ELi8ELi32ELi8ELi8ELi32ELc84ELc78EKDF16_KffEEvlllT_PT11_llS5_llS3_PT12_llPT13_lli ; -- Begin function _ZN12_GLOBAL__N_127rocblas_gemm_batched_kernelIfLi16ELi16ELi32ELi32ELi8ELi32ELi8ELi8ELi32ELc84ELc78EKDF16_KffEEvlllT_PT11_llS5_llS3_PT12_llPT13_lli
	.p2align	8
	.type	_ZN12_GLOBAL__N_127rocblas_gemm_batched_kernelIfLi16ELi16ELi32ELi32ELi8ELi32ELi8ELi8ELi32ELc84ELc78EKDF16_KffEEvlllT_PT11_llS5_llS3_PT12_llPT13_lli,@function
_ZN12_GLOBAL__N_127rocblas_gemm_batched_kernelIfLi16ELi16ELi32ELi32ELi8ELi32ELi8ELi8ELi32ELc84ELc78EKDF16_KffEEvlllT_PT11_llS5_llS3_PT12_llPT13_lli: ; @_ZN12_GLOBAL__N_127rocblas_gemm_batched_kernelIfLi16ELi16ELi32ELi32ELi8ELi32ELi8ELi8ELi32ELc84ELc78EKDF16_KffEEvlllT_PT11_llS5_llS3_PT12_llPT13_lli
; %bb.0:
	s_load_dwordx2 s[20:21], s[4:5], 0x10
	s_mov_b32 s0, s7
	v_mov_b32_e32 v9, 0
	v_mov_b32_e32 v8, 0
	;; [unrolled: 1-line block ×4, first 2 shown]
	s_ashr_i32 s7, s6, 31
	s_ashr_i32 s1, s0, 31
	s_lshl_b64 s[6:7], s[6:7], 5
	s_lshl_b64 s[10:11], s[0:1], 5
	s_waitcnt lgkmcnt(0)
	v_cmp_lt_i64_e64 s2, s[20:21], 1
	s_and_b32 vcc_lo, exec_lo, s2
	s_cbranch_vccnz .LBB400_3
; %bb.1:
	s_load_dwordx4 s[0:3], s[4:5], 0x40
	v_lshl_add_u32 v2, v1, 4, v0
	s_load_dwordx8 s[12:19], s[4:5], 0x20
	v_and_b32_e32 v7, 7, v0
	v_mov_b32_e32 v6, 0
	v_lshlrev_b32_e32 v10, 2, v0
	v_lshrrev_b32_e32 v3, 3, v2
	v_and_b32_e32 v4, 31, v2
	v_lshlrev_b32_e32 v5, 2, v7
	v_lshrrev_b32_e32 v14, 5, v2
	v_add_co_u32 v8, s9, v3, s10
	v_add_co_ci_u32_e64 v9, null, 0, s11, s9
	v_lshl_or_b32 v5, v3, 5, v5
	v_lshlrev_b32_e32 v11, 2, v4
	v_add_nc_u32_e32 v12, 0x400, v5
	s_waitcnt lgkmcnt(0)
	v_mul_lo_u32 v13, s1, v8
	v_mul_lo_u32 v9, s0, v9
	v_mad_u64_u32 v[2:3], null, s0, v8, 0
	v_add_co_u32 v4, s0, s6, v4
	v_add_co_ci_u32_e64 v8, null, s7, 0, s0
	s_mul_i32 s0, s3, s8
	v_mul_lo_u32 v15, s15, v4
	v_add3_u32 v3, v3, v9, v13
	v_mul_lo_u32 v8, s14, v8
	v_mad_u64_u32 v[4:5], null, s14, v4, 0
	s_mul_hi_u32 s1, s2, s8
	v_lshlrev_b64 v[2:3], 1, v[2:3]
	s_add_i32 s1, s1, s0
	s_mul_i32 s0, s2, s8
	v_lshl_or_b32 v11, v14, 7, v11
	s_lshl_b64 s[0:1], s[0:1], 1
	v_add3_u32 v5, v5, v8, v15
	v_add_co_u32 v8, vcc_lo, v2, s0
	v_add_co_ci_u32_e64 v9, null, s1, v3, vcc_lo
	s_mul_i32 s0, s17, s8
	s_mul_hi_u32 s1, s16, s8
	v_lshlrev_b64 v[2:3], 1, v[4:5]
	s_add_i32 s1, s1, s0
	s_mul_i32 s0, s16, s8
	v_lshlrev_b32_e32 v4, 1, v7
	s_lshl_b64 s[0:1], s[0:1], 1
	v_lshlrev_b32_e32 v5, 1, v14
	v_add_co_u32 v2, vcc_lo, v2, s0
	v_add_co_ci_u32_e64 v3, null, s1, v3, vcc_lo
	v_add_co_u32 v4, vcc_lo, v8, v4
	v_add_co_ci_u32_e64 v7, null, 0, v9, vcc_lo
	;; [unrolled: 2-line block ×4, first 2 shown]
	v_add_co_u32 v4, vcc_lo, s12, v5
	v_lshl_add_u32 v13, v1, 5, 0x400
	v_add_co_ci_u32_e64 v5, null, s13, v8, vcc_lo
	v_mov_b32_e32 v7, 0
	v_mov_b32_e32 v8, 0
	;; [unrolled: 1-line block ×3, first 2 shown]
	s_mov_b64 s[0:1], 0
.LBB400_2:                              ; =>This Inner Loop Header: Depth=1
	global_load_ushort v14, v[4:5], off
	global_load_ushort v15, v[2:3], off
	s_add_u32 s0, s0, 8
	s_addc_u32 s1, s1, 0
	v_add_co_u32 v2, vcc_lo, v2, 16
	v_cmp_lt_i64_e64 s2, s[0:1], s[20:21]
	v_add_co_ci_u32_e64 v3, null, 0, v3, vcc_lo
	v_add_co_u32 v4, vcc_lo, v4, 16
	v_add_co_ci_u32_e64 v5, null, 0, v5, vcc_lo
	s_and_b32 vcc_lo, exec_lo, s2
	s_waitcnt vmcnt(1)
	v_cvt_f32_f16_e32 v14, v14
	s_waitcnt vmcnt(0)
	v_cvt_f32_f16_e32 v15, v15
	ds_write_b32 v11, v14
	ds_write_b32 v12, v15
	s_waitcnt lgkmcnt(0)
	s_barrier
	buffer_gl0_inv
	ds_read_b128 v[14:17], v13
	ds_read2_b32 v[30:31], v10 offset1:16
	ds_read_b128 v[18:21], v13 offset:512
	ds_read2_b32 v[32:33], v10 offset0:32 offset1:48
	ds_read2_b32 v[34:35], v10 offset0:64 offset1:80
	ds_read_b128 v[22:25], v13 offset:16
	ds_read2_b32 v[36:37], v10 offset0:96 offset1:112
	ds_read2_b32 v[38:39], v10 offset0:128 offset1:144
	;; [unrolled: 3-line block ×3, first 2 shown]
	ds_read2_b32 v[44:45], v10 offset0:224 offset1:240
	s_waitcnt lgkmcnt(0)
	s_barrier
	buffer_gl0_inv
	v_fmac_f32_e32 v9, v30, v14
	v_fmac_f32_e32 v8, v31, v14
	;; [unrolled: 1-line block ×32, first 2 shown]
	s_cbranch_vccnz .LBB400_2
.LBB400_3:
	s_clause 0x3
	s_load_dwordx4 s[0:3], s[4:5], 0x78
	s_load_dword s9, s[4:5], 0x50
	s_load_dwordx8 s[12:19], s[4:5], 0x58
	s_load_dword s4, s[4:5], 0x18
	v_add_co_u32 v3, s5, s6, v0
	v_add_co_ci_u32_e64 v4, null, s7, 0, s5
	v_add_co_u32 v2, s5, s10, v1
	v_add_co_ci_u32_e64 v5, null, s11, 0, s5
	v_lshlrev_b64 v[0:1], 2, v[3:4]
	s_waitcnt lgkmcnt(0)
	s_mul_i32 s3, s3, s8
	s_mul_hi_u32 s5, s2, s8
	v_mul_lo_u32 v3, v5, s0
	v_mul_lo_u32 v4, v2, s1
	s_mul_i32 s2, s2, s8
	v_cmp_neq_f32_e64 s6, s9, 0
	s_add_i32 s3, s5, s3
	s_mov_b32 s5, 0
	s_lshl_b64 s[2:3], s[2:3], 2
	s_add_u32 s2, s18, s2
	s_addc_u32 s3, s19, s3
	s_and_b32 vcc_lo, exec_lo, s6
	s_cbranch_vccnz .LBB400_7
; %bb.4:
	v_mad_u64_u32 v[10:11], null, v2, s0, 0
	s_lshl_b64 s[6:7], s[0:1], 6
	v_mul_f32_e32 v14, s4, v9
	v_mul_f32_e32 v15, s4, v8
	;; [unrolled: 1-line block ×4, first 2 shown]
	v_add3_u32 v11, v11, v4, v3
	v_lshlrev_b64 v[10:11], 2, v[10:11]
	v_add_co_u32 v10, vcc_lo, s2, v10
	v_add_co_ci_u32_e64 v11, null, s3, v11, vcc_lo
	v_add_co_u32 v12, vcc_lo, v10, s6
	v_add_co_ci_u32_e64 v13, null, s7, v11, vcc_lo
	;; [unrolled: 2-line block ×4, first 2 shown]
	global_store_dword v[10:11], v14, off
	global_store_dword v[10:11], v15, off offset:64
	global_store_dword v[12:13], v16, off
	global_store_dword v[12:13], v17, off offset:64
	s_andn2_b32 vcc_lo, exec_lo, s5
	s_cbranch_vccnz .LBB400_6
.LBB400_5:
	v_mul_lo_u32 v5, v5, s14
	v_mul_lo_u32 v12, v2, s15
	v_mad_u64_u32 v[10:11], null, v2, s14, 0
	s_mul_i32 s5, s17, s8
	s_mul_hi_u32 s7, s16, s8
	s_mul_i32 s6, s16, s8
	s_add_i32 s7, s7, s5
	s_lshl_b64 s[6:7], s[6:7], 2
	v_add3_u32 v11, v11, v12, v5
	s_add_u32 s5, s12, s6
	s_addc_u32 s6, s13, s7
	v_mad_u64_u32 v[12:13], null, v2, s0, 0
	v_lshlrev_b64 v[10:11], 2, v[10:11]
	s_lshl_b64 s[0:1], s[0:1], 6
	v_add3_u32 v13, v13, v4, v3
	v_add_co_u32 v5, vcc_lo, s5, v10
	v_add_co_ci_u32_e64 v14, null, s6, v11, vcc_lo
	v_lshlrev_b64 v[2:3], 2, v[12:13]
	v_add_co_u32 v10, vcc_lo, v5, v0
	v_add_co_ci_u32_e64 v11, null, v14, v1, vcc_lo
	v_add_co_u32 v12, vcc_lo, s2, v2
	global_load_dword v15, v[10:11], off
	v_add_co_ci_u32_e64 v13, null, s3, v3, vcc_lo
	v_add_co_u32 v2, vcc_lo, v12, v0
	s_lshl_b64 s[2:3], s[14:15], 6
	v_add_co_ci_u32_e64 v3, null, v13, v1, vcc_lo
	s_waitcnt vmcnt(0)
	v_mul_f32_e32 v4, s9, v15
	v_fmac_f32_e32 v4, s4, v9
	global_store_dword v[2:3], v4, off
	global_load_dword v4, v[10:11], off offset:64
	s_waitcnt vmcnt(0)
	v_mul_f32_e32 v9, s9, v4
	v_add_co_u32 v4, vcc_lo, v5, s2
	v_add_co_ci_u32_e64 v5, null, s3, v14, vcc_lo
	v_fmac_f32_e32 v9, s4, v8
	v_add_co_u32 v4, vcc_lo, v4, v0
	v_add_co_ci_u32_e64 v5, null, v5, v1, vcc_lo
	global_store_dword v[2:3], v9, off offset:64
	v_add_co_u32 v3, vcc_lo, v12, s0
	global_load_dword v2, v[4:5], off
	v_add_co_ci_u32_e64 v8, null, s1, v13, vcc_lo
	v_add_co_u32 v0, vcc_lo, v3, v0
	v_add_co_ci_u32_e64 v1, null, v8, v1, vcc_lo
	s_waitcnt vmcnt(0)
	v_mul_f32_e32 v2, s9, v2
	v_fmac_f32_e32 v2, s4, v7
	global_store_dword v[0:1], v2, off
	global_load_dword v2, v[4:5], off offset:64
	s_waitcnt vmcnt(0)
	v_mul_f32_e32 v2, s9, v2
	v_fmac_f32_e32 v2, s4, v6
	global_store_dword v[0:1], v2, off offset:64
.LBB400_6:
	s_endpgm
.LBB400_7:
	s_branch .LBB400_5
	.section	.rodata,"a",@progbits
	.p2align	6, 0x0
	.amdhsa_kernel _ZN12_GLOBAL__N_127rocblas_gemm_batched_kernelIfLi16ELi16ELi32ELi32ELi8ELi32ELi8ELi8ELi32ELc84ELc78EKDF16_KffEEvlllT_PT11_llS5_llS3_PT12_llPT13_lli
		.amdhsa_group_segment_fixed_size 2048
		.amdhsa_private_segment_fixed_size 0
		.amdhsa_kernarg_size 140
		.amdhsa_user_sgpr_count 6
		.amdhsa_user_sgpr_private_segment_buffer 1
		.amdhsa_user_sgpr_dispatch_ptr 0
		.amdhsa_user_sgpr_queue_ptr 0
		.amdhsa_user_sgpr_kernarg_segment_ptr 1
		.amdhsa_user_sgpr_dispatch_id 0
		.amdhsa_user_sgpr_flat_scratch_init 0
		.amdhsa_user_sgpr_private_segment_size 0
		.amdhsa_wavefront_size32 1
		.amdhsa_uses_dynamic_stack 0
		.amdhsa_system_sgpr_private_segment_wavefront_offset 0
		.amdhsa_system_sgpr_workgroup_id_x 1
		.amdhsa_system_sgpr_workgroup_id_y 1
		.amdhsa_system_sgpr_workgroup_id_z 1
		.amdhsa_system_sgpr_workgroup_info 0
		.amdhsa_system_vgpr_workitem_id 1
		.amdhsa_next_free_vgpr 46
		.amdhsa_next_free_sgpr 22
		.amdhsa_reserve_vcc 1
		.amdhsa_reserve_flat_scratch 0
		.amdhsa_float_round_mode_32 0
		.amdhsa_float_round_mode_16_64 0
		.amdhsa_float_denorm_mode_32 3
		.amdhsa_float_denorm_mode_16_64 3
		.amdhsa_dx10_clamp 1
		.amdhsa_ieee_mode 1
		.amdhsa_fp16_overflow 0
		.amdhsa_workgroup_processor_mode 1
		.amdhsa_memory_ordered 1
		.amdhsa_forward_progress 1
		.amdhsa_shared_vgpr_count 0
		.amdhsa_exception_fp_ieee_invalid_op 0
		.amdhsa_exception_fp_denorm_src 0
		.amdhsa_exception_fp_ieee_div_zero 0
		.amdhsa_exception_fp_ieee_overflow 0
		.amdhsa_exception_fp_ieee_underflow 0
		.amdhsa_exception_fp_ieee_inexact 0
		.amdhsa_exception_int_div_zero 0
	.end_amdhsa_kernel
	.section	.text._ZN12_GLOBAL__N_127rocblas_gemm_batched_kernelIfLi16ELi16ELi32ELi32ELi8ELi32ELi8ELi8ELi32ELc84ELc78EKDF16_KffEEvlllT_PT11_llS5_llS3_PT12_llPT13_lli,"axG",@progbits,_ZN12_GLOBAL__N_127rocblas_gemm_batched_kernelIfLi16ELi16ELi32ELi32ELi8ELi32ELi8ELi8ELi32ELc84ELc78EKDF16_KffEEvlllT_PT11_llS5_llS3_PT12_llPT13_lli,comdat
.Lfunc_end400:
	.size	_ZN12_GLOBAL__N_127rocblas_gemm_batched_kernelIfLi16ELi16ELi32ELi32ELi8ELi32ELi8ELi8ELi32ELc84ELc78EKDF16_KffEEvlllT_PT11_llS5_llS3_PT12_llPT13_lli, .Lfunc_end400-_ZN12_GLOBAL__N_127rocblas_gemm_batched_kernelIfLi16ELi16ELi32ELi32ELi8ELi32ELi8ELi8ELi32ELc84ELc78EKDF16_KffEEvlllT_PT11_llS5_llS3_PT12_llPT13_lli
                                        ; -- End function
	.set _ZN12_GLOBAL__N_127rocblas_gemm_batched_kernelIfLi16ELi16ELi32ELi32ELi8ELi32ELi8ELi8ELi32ELc84ELc78EKDF16_KffEEvlllT_PT11_llS5_llS3_PT12_llPT13_lli.num_vgpr, 46
	.set _ZN12_GLOBAL__N_127rocblas_gemm_batched_kernelIfLi16ELi16ELi32ELi32ELi8ELi32ELi8ELi8ELi32ELc84ELc78EKDF16_KffEEvlllT_PT11_llS5_llS3_PT12_llPT13_lli.num_agpr, 0
	.set _ZN12_GLOBAL__N_127rocblas_gemm_batched_kernelIfLi16ELi16ELi32ELi32ELi8ELi32ELi8ELi8ELi32ELc84ELc78EKDF16_KffEEvlllT_PT11_llS5_llS3_PT12_llPT13_lli.numbered_sgpr, 22
	.set _ZN12_GLOBAL__N_127rocblas_gemm_batched_kernelIfLi16ELi16ELi32ELi32ELi8ELi32ELi8ELi8ELi32ELc84ELc78EKDF16_KffEEvlllT_PT11_llS5_llS3_PT12_llPT13_lli.num_named_barrier, 0
	.set _ZN12_GLOBAL__N_127rocblas_gemm_batched_kernelIfLi16ELi16ELi32ELi32ELi8ELi32ELi8ELi8ELi32ELc84ELc78EKDF16_KffEEvlllT_PT11_llS5_llS3_PT12_llPT13_lli.private_seg_size, 0
	.set _ZN12_GLOBAL__N_127rocblas_gemm_batched_kernelIfLi16ELi16ELi32ELi32ELi8ELi32ELi8ELi8ELi32ELc84ELc78EKDF16_KffEEvlllT_PT11_llS5_llS3_PT12_llPT13_lli.uses_vcc, 1
	.set _ZN12_GLOBAL__N_127rocblas_gemm_batched_kernelIfLi16ELi16ELi32ELi32ELi8ELi32ELi8ELi8ELi32ELc84ELc78EKDF16_KffEEvlllT_PT11_llS5_llS3_PT12_llPT13_lli.uses_flat_scratch, 0
	.set _ZN12_GLOBAL__N_127rocblas_gemm_batched_kernelIfLi16ELi16ELi32ELi32ELi8ELi32ELi8ELi8ELi32ELc84ELc78EKDF16_KffEEvlllT_PT11_llS5_llS3_PT12_llPT13_lli.has_dyn_sized_stack, 0
	.set _ZN12_GLOBAL__N_127rocblas_gemm_batched_kernelIfLi16ELi16ELi32ELi32ELi8ELi32ELi8ELi8ELi32ELc84ELc78EKDF16_KffEEvlllT_PT11_llS5_llS3_PT12_llPT13_lli.has_recursion, 0
	.set _ZN12_GLOBAL__N_127rocblas_gemm_batched_kernelIfLi16ELi16ELi32ELi32ELi8ELi32ELi8ELi8ELi32ELc84ELc78EKDF16_KffEEvlllT_PT11_llS5_llS3_PT12_llPT13_lli.has_indirect_call, 0
	.section	.AMDGPU.csdata,"",@progbits
; Kernel info:
; codeLenInByte = 1432
; TotalNumSgprs: 24
; NumVgprs: 46
; ScratchSize: 0
; MemoryBound: 0
; FloatMode: 240
; IeeeMode: 1
; LDSByteSize: 2048 bytes/workgroup (compile time only)
; SGPRBlocks: 0
; VGPRBlocks: 5
; NumSGPRsForWavesPerEU: 24
; NumVGPRsForWavesPerEU: 46
; Occupancy: 16
; WaveLimiterHint : 0
; COMPUTE_PGM_RSRC2:SCRATCH_EN: 0
; COMPUTE_PGM_RSRC2:USER_SGPR: 6
; COMPUTE_PGM_RSRC2:TRAP_HANDLER: 0
; COMPUTE_PGM_RSRC2:TGID_X_EN: 1
; COMPUTE_PGM_RSRC2:TGID_Y_EN: 1
; COMPUTE_PGM_RSRC2:TGID_Z_EN: 1
; COMPUTE_PGM_RSRC2:TIDIG_COMP_CNT: 1
	.section	.text._ZN12_GLOBAL__N_127rocblas_gemm_batched_kernelIfLi16ELi16ELi32ELi32ELi8ELi32ELi8ELi8ELi32ELc78ELc84EKDF16_KffEEvlllT_PT11_llS5_llS3_PT12_llPT13_lli,"axG",@progbits,_ZN12_GLOBAL__N_127rocblas_gemm_batched_kernelIfLi16ELi16ELi32ELi32ELi8ELi32ELi8ELi8ELi32ELc78ELc84EKDF16_KffEEvlllT_PT11_llS5_llS3_PT12_llPT13_lli,comdat
	.globl	_ZN12_GLOBAL__N_127rocblas_gemm_batched_kernelIfLi16ELi16ELi32ELi32ELi8ELi32ELi8ELi8ELi32ELc78ELc84EKDF16_KffEEvlllT_PT11_llS5_llS3_PT12_llPT13_lli ; -- Begin function _ZN12_GLOBAL__N_127rocblas_gemm_batched_kernelIfLi16ELi16ELi32ELi32ELi8ELi32ELi8ELi8ELi32ELc78ELc84EKDF16_KffEEvlllT_PT11_llS5_llS3_PT12_llPT13_lli
	.p2align	8
	.type	_ZN12_GLOBAL__N_127rocblas_gemm_batched_kernelIfLi16ELi16ELi32ELi32ELi8ELi32ELi8ELi8ELi32ELc78ELc84EKDF16_KffEEvlllT_PT11_llS5_llS3_PT12_llPT13_lli,@function
_ZN12_GLOBAL__N_127rocblas_gemm_batched_kernelIfLi16ELi16ELi32ELi32ELi8ELi32ELi8ELi8ELi32ELc78ELc84EKDF16_KffEEvlllT_PT11_llS5_llS3_PT12_llPT13_lli: ; @_ZN12_GLOBAL__N_127rocblas_gemm_batched_kernelIfLi16ELi16ELi32ELi32ELi8ELi32ELi8ELi8ELi32ELc78ELc84EKDF16_KffEEvlllT_PT11_llS5_llS3_PT12_llPT13_lli
; %bb.0:
	s_load_dwordx2 s[20:21], s[4:5], 0x10
	s_mov_b32 s0, s7
	v_mov_b32_e32 v9, 0
	v_mov_b32_e32 v8, 0
	;; [unrolled: 1-line block ×4, first 2 shown]
	s_ashr_i32 s7, s6, 31
	s_ashr_i32 s1, s0, 31
	s_lshl_b64 s[6:7], s[6:7], 5
	s_lshl_b64 s[10:11], s[0:1], 5
	s_waitcnt lgkmcnt(0)
	v_cmp_lt_i64_e64 s2, s[20:21], 1
	s_and_b32 vcc_lo, exec_lo, s2
	s_cbranch_vccnz .LBB401_3
; %bb.1:
	s_clause 0x1
	s_load_dwordx4 s[0:3], s[4:5], 0x40
	s_load_dwordx8 s[12:19], s[4:5], 0x20
	v_lshl_add_u32 v3, v1, 4, v0
	v_and_b32_e32 v8, 7, v0
	v_lshlrev_b32_e32 v10, 2, v0
	v_lshl_add_u32 v11, v1, 5, 0x400
	v_lshrrev_b32_e32 v2, 3, v3
	v_and_b32_e32 v14, 31, v3
	v_lshlrev_b32_e32 v4, 2, v8
	v_lshrrev_b32_e32 v9, 5, v3
	v_mov_b32_e32 v3, 0
	v_lshlrev_b32_e32 v5, 2, v14
	v_lshl_or_b32 v4, v2, 5, v4
	v_lshl_or_b32 v12, v9, 7, v5
	v_add_nc_u32_e32 v13, 0x400, v4
	s_waitcnt lgkmcnt(0)
	v_mad_u64_u32 v[4:5], null, s0, v8, v[2:3]
	v_mad_u64_u32 v[6:7], null, s14, v9, s[6:7]
	s_mul_i32 s3, s3, s8
	s_mul_hi_u32 s9, s2, s8
	s_mul_i32 s2, s2, s8
	s_add_i32 s3, s9, s3
	v_mov_b32_e32 v2, v5
	v_add_co_u32 v4, vcc_lo, v4, s10
	v_mov_b32_e32 v5, v7
	s_lshl_b64 s[2:3], s[2:3], 1
	v_mad_u64_u32 v[7:8], null, s1, v8, v[2:3]
	s_mul_i32 s17, s17, s8
	v_mad_u64_u32 v[8:9], null, s15, v9, v[5:6]
	s_mul_hi_u32 s9, s16, s8
	s_add_u32 s18, s18, s2
	s_mul_i32 s16, s16, s8
	v_add_co_ci_u32_e64 v5, null, s11, v7, vcc_lo
	v_add_co_u32 v6, vcc_lo, v6, v14
	v_add_co_ci_u32_e64 v7, null, 0, v8, vcc_lo
	v_lshlrev_b64 v[4:5], 1, v[4:5]
	s_addc_u32 s19, s19, s3
	s_add_i32 s17, s9, s17
	v_lshlrev_b64 v[6:7], 1, v[6:7]
	s_lshl_b64 s[2:3], s[16:17], 1
	s_lshl_b64 s[0:1], s[0:1], 4
	s_add_u32 s2, s12, s2
	v_add_co_u32 v4, vcc_lo, s18, v4
	v_add_co_ci_u32_e64 v5, null, s19, v5, vcc_lo
	s_addc_u32 s3, s13, s3
	v_add_co_u32 v6, vcc_lo, s2, v6
	v_add_co_ci_u32_e64 v7, null, s3, v7, vcc_lo
	v_mov_b32_e32 v2, v3
	v_mov_b32_e32 v8, v3
	;; [unrolled: 1-line block ×3, first 2 shown]
	s_lshl_b64 s[2:3], s[14:15], 4
	s_mov_b64 s[12:13], 0
.LBB401_2:                              ; =>This Inner Loop Header: Depth=1
	global_load_ushort v14, v[6:7], off
	global_load_ushort v15, v[4:5], off
	s_add_u32 s12, s12, 8
	s_addc_u32 s13, s13, 0
	v_add_co_u32 v4, vcc_lo, v4, s0
	v_cmp_lt_i64_e64 s9, s[12:13], s[20:21]
	v_add_co_ci_u32_e64 v5, null, s1, v5, vcc_lo
	v_add_co_u32 v6, vcc_lo, v6, s2
	v_add_co_ci_u32_e64 v7, null, s3, v7, vcc_lo
	s_and_b32 vcc_lo, exec_lo, s9
	s_waitcnt vmcnt(1)
	v_cvt_f32_f16_e32 v14, v14
	s_waitcnt vmcnt(0)
	v_cvt_f32_f16_e32 v15, v15
	ds_write_b32 v12, v14
	ds_write_b32 v13, v15
	s_waitcnt lgkmcnt(0)
	s_barrier
	buffer_gl0_inv
	ds_read_b128 v[14:17], v11
	ds_read2_b32 v[30:31], v10 offset1:16
	ds_read_b128 v[18:21], v11 offset:512
	ds_read2_b32 v[32:33], v10 offset0:32 offset1:48
	ds_read2_b32 v[34:35], v10 offset0:64 offset1:80
	ds_read_b128 v[22:25], v11 offset:16
	ds_read2_b32 v[36:37], v10 offset0:96 offset1:112
	ds_read2_b32 v[38:39], v10 offset0:128 offset1:144
	;; [unrolled: 3-line block ×3, first 2 shown]
	ds_read2_b32 v[44:45], v10 offset0:224 offset1:240
	s_waitcnt lgkmcnt(0)
	s_barrier
	buffer_gl0_inv
	v_fmac_f32_e32 v9, v30, v14
	v_fmac_f32_e32 v8, v31, v14
	;; [unrolled: 1-line block ×32, first 2 shown]
	s_cbranch_vccnz .LBB401_2
.LBB401_3:
	s_clause 0x3
	s_load_dwordx4 s[0:3], s[4:5], 0x78
	s_load_dword s9, s[4:5], 0x50
	s_load_dwordx8 s[12:19], s[4:5], 0x58
	s_load_dword s4, s[4:5], 0x18
	v_add_co_u32 v5, s5, s6, v0
	v_add_co_ci_u32_e64 v6, null, s7, 0, s5
	v_add_co_u32 v4, s5, s10, v1
	v_add_co_ci_u32_e64 v7, null, s11, 0, s5
	v_lshlrev_b64 v[0:1], 2, v[5:6]
	s_waitcnt lgkmcnt(0)
	s_mul_i32 s3, s3, s8
	s_mul_hi_u32 s5, s2, s8
	v_mul_lo_u32 v5, v7, s0
	v_mul_lo_u32 v6, v4, s1
	s_mul_i32 s2, s2, s8
	v_cmp_neq_f32_e64 s6, s9, 0
	s_add_i32 s3, s5, s3
	s_mov_b32 s5, 0
	s_lshl_b64 s[2:3], s[2:3], 2
	s_add_u32 s2, s18, s2
	s_addc_u32 s3, s19, s3
	s_and_b32 vcc_lo, exec_lo, s6
	s_cbranch_vccnz .LBB401_7
; %bb.4:
	v_mad_u64_u32 v[10:11], null, v4, s0, 0
	s_lshl_b64 s[6:7], s[0:1], 6
	v_mul_f32_e32 v14, s4, v9
	v_mul_f32_e32 v15, s4, v8
	;; [unrolled: 1-line block ×4, first 2 shown]
	v_add3_u32 v11, v11, v6, v5
	v_lshlrev_b64 v[10:11], 2, v[10:11]
	v_add_co_u32 v10, vcc_lo, s2, v10
	v_add_co_ci_u32_e64 v11, null, s3, v11, vcc_lo
	v_add_co_u32 v12, vcc_lo, v10, s6
	v_add_co_ci_u32_e64 v13, null, s7, v11, vcc_lo
	;; [unrolled: 2-line block ×4, first 2 shown]
	global_store_dword v[10:11], v14, off
	global_store_dword v[10:11], v15, off offset:64
	global_store_dword v[12:13], v16, off
	global_store_dword v[12:13], v17, off offset:64
	s_andn2_b32 vcc_lo, exec_lo, s5
	s_cbranch_vccnz .LBB401_6
.LBB401_5:
	v_mul_lo_u32 v7, v7, s14
	v_mul_lo_u32 v12, v4, s15
	v_mad_u64_u32 v[10:11], null, v4, s14, 0
	s_mul_i32 s5, s17, s8
	s_mul_hi_u32 s7, s16, s8
	s_mul_i32 s6, s16, s8
	s_add_i32 s7, s7, s5
	s_lshl_b64 s[6:7], s[6:7], 2
	v_add3_u32 v11, v11, v12, v7
	s_add_u32 s5, s12, s6
	s_addc_u32 s6, s13, s7
	v_mad_u64_u32 v[12:13], null, v4, s0, 0
	v_lshlrev_b64 v[10:11], 2, v[10:11]
	s_lshl_b64 s[0:1], s[0:1], 6
	v_add3_u32 v13, v13, v6, v5
	v_add_co_u32 v7, vcc_lo, s5, v10
	v_add_co_ci_u32_e64 v14, null, s6, v11, vcc_lo
	v_lshlrev_b64 v[4:5], 2, v[12:13]
	v_add_co_u32 v10, vcc_lo, v7, v0
	v_add_co_ci_u32_e64 v11, null, v14, v1, vcc_lo
	v_add_co_u32 v12, vcc_lo, s2, v4
	global_load_dword v15, v[10:11], off
	v_add_co_ci_u32_e64 v13, null, s3, v5, vcc_lo
	v_add_co_u32 v4, vcc_lo, v12, v0
	s_lshl_b64 s[2:3], s[14:15], 6
	v_add_co_ci_u32_e64 v5, null, v13, v1, vcc_lo
	s_waitcnt vmcnt(0)
	v_mul_f32_e32 v6, s9, v15
	v_fmac_f32_e32 v6, s4, v9
	global_store_dword v[4:5], v6, off
	global_load_dword v6, v[10:11], off offset:64
	s_waitcnt vmcnt(0)
	v_mul_f32_e32 v9, s9, v6
	v_add_co_u32 v6, vcc_lo, v7, s2
	v_add_co_ci_u32_e64 v7, null, s3, v14, vcc_lo
	v_fmac_f32_e32 v9, s4, v8
	v_add_co_u32 v6, vcc_lo, v6, v0
	v_add_co_ci_u32_e64 v7, null, v7, v1, vcc_lo
	global_store_dword v[4:5], v9, off offset:64
	v_add_co_u32 v5, vcc_lo, v12, s0
	global_load_dword v4, v[6:7], off
	v_add_co_ci_u32_e64 v8, null, s1, v13, vcc_lo
	v_add_co_u32 v0, vcc_lo, v5, v0
	v_add_co_ci_u32_e64 v1, null, v8, v1, vcc_lo
	s_waitcnt vmcnt(0)
	v_mul_f32_e32 v4, s9, v4
	v_fmac_f32_e32 v4, s4, v2
	global_store_dword v[0:1], v4, off
	global_load_dword v2, v[6:7], off offset:64
	s_waitcnt vmcnt(0)
	v_mul_f32_e32 v2, s9, v2
	v_fmac_f32_e32 v2, s4, v3
	global_store_dword v[0:1], v2, off offset:64
.LBB401_6:
	s_endpgm
.LBB401_7:
	s_branch .LBB401_5
	.section	.rodata,"a",@progbits
	.p2align	6, 0x0
	.amdhsa_kernel _ZN12_GLOBAL__N_127rocblas_gemm_batched_kernelIfLi16ELi16ELi32ELi32ELi8ELi32ELi8ELi8ELi32ELc78ELc84EKDF16_KffEEvlllT_PT11_llS5_llS3_PT12_llPT13_lli
		.amdhsa_group_segment_fixed_size 2048
		.amdhsa_private_segment_fixed_size 0
		.amdhsa_kernarg_size 140
		.amdhsa_user_sgpr_count 6
		.amdhsa_user_sgpr_private_segment_buffer 1
		.amdhsa_user_sgpr_dispatch_ptr 0
		.amdhsa_user_sgpr_queue_ptr 0
		.amdhsa_user_sgpr_kernarg_segment_ptr 1
		.amdhsa_user_sgpr_dispatch_id 0
		.amdhsa_user_sgpr_flat_scratch_init 0
		.amdhsa_user_sgpr_private_segment_size 0
		.amdhsa_wavefront_size32 1
		.amdhsa_uses_dynamic_stack 0
		.amdhsa_system_sgpr_private_segment_wavefront_offset 0
		.amdhsa_system_sgpr_workgroup_id_x 1
		.amdhsa_system_sgpr_workgroup_id_y 1
		.amdhsa_system_sgpr_workgroup_id_z 1
		.amdhsa_system_sgpr_workgroup_info 0
		.amdhsa_system_vgpr_workitem_id 1
		.amdhsa_next_free_vgpr 46
		.amdhsa_next_free_sgpr 22
		.amdhsa_reserve_vcc 1
		.amdhsa_reserve_flat_scratch 0
		.amdhsa_float_round_mode_32 0
		.amdhsa_float_round_mode_16_64 0
		.amdhsa_float_denorm_mode_32 3
		.amdhsa_float_denorm_mode_16_64 3
		.amdhsa_dx10_clamp 1
		.amdhsa_ieee_mode 1
		.amdhsa_fp16_overflow 0
		.amdhsa_workgroup_processor_mode 1
		.amdhsa_memory_ordered 1
		.amdhsa_forward_progress 1
		.amdhsa_shared_vgpr_count 0
		.amdhsa_exception_fp_ieee_invalid_op 0
		.amdhsa_exception_fp_denorm_src 0
		.amdhsa_exception_fp_ieee_div_zero 0
		.amdhsa_exception_fp_ieee_overflow 0
		.amdhsa_exception_fp_ieee_underflow 0
		.amdhsa_exception_fp_ieee_inexact 0
		.amdhsa_exception_int_div_zero 0
	.end_amdhsa_kernel
	.section	.text._ZN12_GLOBAL__N_127rocblas_gemm_batched_kernelIfLi16ELi16ELi32ELi32ELi8ELi32ELi8ELi8ELi32ELc78ELc84EKDF16_KffEEvlllT_PT11_llS5_llS3_PT12_llPT13_lli,"axG",@progbits,_ZN12_GLOBAL__N_127rocblas_gemm_batched_kernelIfLi16ELi16ELi32ELi32ELi8ELi32ELi8ELi8ELi32ELc78ELc84EKDF16_KffEEvlllT_PT11_llS5_llS3_PT12_llPT13_lli,comdat
.Lfunc_end401:
	.size	_ZN12_GLOBAL__N_127rocblas_gemm_batched_kernelIfLi16ELi16ELi32ELi32ELi8ELi32ELi8ELi8ELi32ELc78ELc84EKDF16_KffEEvlllT_PT11_llS5_llS3_PT12_llPT13_lli, .Lfunc_end401-_ZN12_GLOBAL__N_127rocblas_gemm_batched_kernelIfLi16ELi16ELi32ELi32ELi8ELi32ELi8ELi8ELi32ELc78ELc84EKDF16_KffEEvlllT_PT11_llS5_llS3_PT12_llPT13_lli
                                        ; -- End function
	.set _ZN12_GLOBAL__N_127rocblas_gemm_batched_kernelIfLi16ELi16ELi32ELi32ELi8ELi32ELi8ELi8ELi32ELc78ELc84EKDF16_KffEEvlllT_PT11_llS5_llS3_PT12_llPT13_lli.num_vgpr, 46
	.set _ZN12_GLOBAL__N_127rocblas_gemm_batched_kernelIfLi16ELi16ELi32ELi32ELi8ELi32ELi8ELi8ELi32ELc78ELc84EKDF16_KffEEvlllT_PT11_llS5_llS3_PT12_llPT13_lli.num_agpr, 0
	.set _ZN12_GLOBAL__N_127rocblas_gemm_batched_kernelIfLi16ELi16ELi32ELi32ELi8ELi32ELi8ELi8ELi32ELc78ELc84EKDF16_KffEEvlllT_PT11_llS5_llS3_PT12_llPT13_lli.numbered_sgpr, 22
	.set _ZN12_GLOBAL__N_127rocblas_gemm_batched_kernelIfLi16ELi16ELi32ELi32ELi8ELi32ELi8ELi8ELi32ELc78ELc84EKDF16_KffEEvlllT_PT11_llS5_llS3_PT12_llPT13_lli.num_named_barrier, 0
	.set _ZN12_GLOBAL__N_127rocblas_gemm_batched_kernelIfLi16ELi16ELi32ELi32ELi8ELi32ELi8ELi8ELi32ELc78ELc84EKDF16_KffEEvlllT_PT11_llS5_llS3_PT12_llPT13_lli.private_seg_size, 0
	.set _ZN12_GLOBAL__N_127rocblas_gemm_batched_kernelIfLi16ELi16ELi32ELi32ELi8ELi32ELi8ELi8ELi32ELc78ELc84EKDF16_KffEEvlllT_PT11_llS5_llS3_PT12_llPT13_lli.uses_vcc, 1
	.set _ZN12_GLOBAL__N_127rocblas_gemm_batched_kernelIfLi16ELi16ELi32ELi32ELi8ELi32ELi8ELi8ELi32ELc78ELc84EKDF16_KffEEvlllT_PT11_llS5_llS3_PT12_llPT13_lli.uses_flat_scratch, 0
	.set _ZN12_GLOBAL__N_127rocblas_gemm_batched_kernelIfLi16ELi16ELi32ELi32ELi8ELi32ELi8ELi8ELi32ELc78ELc84EKDF16_KffEEvlllT_PT11_llS5_llS3_PT12_llPT13_lli.has_dyn_sized_stack, 0
	.set _ZN12_GLOBAL__N_127rocblas_gemm_batched_kernelIfLi16ELi16ELi32ELi32ELi8ELi32ELi8ELi8ELi32ELc78ELc84EKDF16_KffEEvlllT_PT11_llS5_llS3_PT12_llPT13_lli.has_recursion, 0
	.set _ZN12_GLOBAL__N_127rocblas_gemm_batched_kernelIfLi16ELi16ELi32ELi32ELi8ELi32ELi8ELi8ELi32ELc78ELc84EKDF16_KffEEvlllT_PT11_llS5_llS3_PT12_llPT13_lli.has_indirect_call, 0
	.section	.AMDGPU.csdata,"",@progbits
; Kernel info:
; codeLenInByte = 1364
; TotalNumSgprs: 24
; NumVgprs: 46
; ScratchSize: 0
; MemoryBound: 0
; FloatMode: 240
; IeeeMode: 1
; LDSByteSize: 2048 bytes/workgroup (compile time only)
; SGPRBlocks: 0
; VGPRBlocks: 5
; NumSGPRsForWavesPerEU: 24
; NumVGPRsForWavesPerEU: 46
; Occupancy: 16
; WaveLimiterHint : 0
; COMPUTE_PGM_RSRC2:SCRATCH_EN: 0
; COMPUTE_PGM_RSRC2:USER_SGPR: 6
; COMPUTE_PGM_RSRC2:TRAP_HANDLER: 0
; COMPUTE_PGM_RSRC2:TGID_X_EN: 1
; COMPUTE_PGM_RSRC2:TGID_Y_EN: 1
; COMPUTE_PGM_RSRC2:TGID_Z_EN: 1
; COMPUTE_PGM_RSRC2:TIDIG_COMP_CNT: 1
	.section	.text._ZN12_GLOBAL__N_127rocblas_gemm_batched_kernelIfLi16ELi16ELi32ELi32ELi8ELi32ELi8ELi8ELi32ELc84ELc84EKDF16_KffEEvlllT_PT11_llS5_llS3_PT12_llPT13_lli,"axG",@progbits,_ZN12_GLOBAL__N_127rocblas_gemm_batched_kernelIfLi16ELi16ELi32ELi32ELi8ELi32ELi8ELi8ELi32ELc84ELc84EKDF16_KffEEvlllT_PT11_llS5_llS3_PT12_llPT13_lli,comdat
	.globl	_ZN12_GLOBAL__N_127rocblas_gemm_batched_kernelIfLi16ELi16ELi32ELi32ELi8ELi32ELi8ELi8ELi32ELc84ELc84EKDF16_KffEEvlllT_PT11_llS5_llS3_PT12_llPT13_lli ; -- Begin function _ZN12_GLOBAL__N_127rocblas_gemm_batched_kernelIfLi16ELi16ELi32ELi32ELi8ELi32ELi8ELi8ELi32ELc84ELc84EKDF16_KffEEvlllT_PT11_llS5_llS3_PT12_llPT13_lli
	.p2align	8
	.type	_ZN12_GLOBAL__N_127rocblas_gemm_batched_kernelIfLi16ELi16ELi32ELi32ELi8ELi32ELi8ELi8ELi32ELc84ELc84EKDF16_KffEEvlllT_PT11_llS5_llS3_PT12_llPT13_lli,@function
_ZN12_GLOBAL__N_127rocblas_gemm_batched_kernelIfLi16ELi16ELi32ELi32ELi8ELi32ELi8ELi8ELi32ELc84ELc84EKDF16_KffEEvlllT_PT11_llS5_llS3_PT12_llPT13_lli: ; @_ZN12_GLOBAL__N_127rocblas_gemm_batched_kernelIfLi16ELi16ELi32ELi32ELi8ELi32ELi8ELi8ELi32ELc84ELc84EKDF16_KffEEvlllT_PT11_llS5_llS3_PT12_llPT13_lli
; %bb.0:
	s_load_dwordx2 s[20:21], s[4:5], 0x10
	s_mov_b32 s0, s7
	v_mov_b32_e32 v9, 0
	v_mov_b32_e32 v8, 0
	;; [unrolled: 1-line block ×4, first 2 shown]
	s_ashr_i32 s7, s6, 31
	s_ashr_i32 s1, s0, 31
	s_lshl_b64 s[6:7], s[6:7], 5
	s_lshl_b64 s[10:11], s[0:1], 5
	s_waitcnt lgkmcnt(0)
	v_cmp_lt_i64_e64 s2, s[20:21], 1
	s_and_b32 vcc_lo, exec_lo, s2
	s_cbranch_vccnz .LBB402_3
; %bb.1:
	s_clause 0x1
	s_load_dwordx8 s[12:19], s[4:5], 0x20
	s_load_dwordx4 s[0:3], s[4:5], 0x40
	v_lshl_add_u32 v4, v1, 4, v0
	v_and_b32_e32 v8, 7, v0
	v_mov_b32_e32 v3, 0
	v_lshlrev_b32_e32 v10, 2, v0
	v_lshl_add_u32 v11, v1, 5, 0x400
	v_and_b32_e32 v5, 31, v4
	v_lshrrev_b32_e32 v2, 3, v4
	v_lshlrev_b32_e32 v6, 2, v8
	v_lshrrev_b32_e32 v14, 5, v4
	v_lshlrev_b32_e32 v4, 2, v5
	v_lshl_or_b32 v9, v2, 5, v6
	v_add_co_u32 v6, s9, s6, v5
	v_add_co_ci_u32_e64 v7, null, s7, 0, s9
	v_lshl_or_b32 v12, v14, 7, v4
	s_waitcnt lgkmcnt(0)
	v_mul_lo_u32 v15, s15, v6
	v_mad_u64_u32 v[4:5], null, s0, v8, v[2:3]
	v_mul_lo_u32 v16, s14, v7
	v_mad_u64_u32 v[6:7], null, s14, v6, 0
	s_mul_i32 s3, s3, s8
	s_mul_hi_u32 s9, s2, s8
	s_mul_i32 s2, s2, s8
	v_mov_b32_e32 v2, v5
	s_add_i32 s3, s9, s3
	v_add_nc_u32_e32 v13, 0x400, v9
	v_add3_u32 v7, v7, v16, v15
	s_lshl_b64 s[2:3], s[2:3], 1
	v_mad_u64_u32 v[8:9], null, s1, v8, v[2:3]
	s_add_u32 s9, s18, s2
	s_addc_u32 s14, s19, s3
	s_mul_i32 s2, s17, s8
	s_mul_hi_u32 s3, s16, s8
	v_lshlrev_b64 v[5:6], 1, v[6:7]
	v_add_co_u32 v7, vcc_lo, v4, s10
	s_add_i32 s3, s3, s2
	s_mul_i32 s2, s16, s8
	v_add_co_ci_u32_e64 v8, null, s11, v8, vcc_lo
	s_lshl_b64 s[2:3], s[2:3], 1
	v_lshlrev_b32_e32 v2, 1, v14
	v_add_co_u32 v9, vcc_lo, v5, s2
	v_add_co_ci_u32_e64 v6, null, s3, v6, vcc_lo
	v_lshlrev_b64 v[4:5], 1, v[7:8]
	v_add_co_u32 v2, vcc_lo, v9, v2
	v_add_co_ci_u32_e64 v7, null, 0, v6, vcc_lo
	v_mov_b32_e32 v8, v3
	v_add_co_u32 v4, vcc_lo, s9, v4
	v_add_co_ci_u32_e64 v5, null, s14, v5, vcc_lo
	v_add_co_u32 v6, vcc_lo, s12, v2
	v_add_co_ci_u32_e64 v7, null, s13, v7, vcc_lo
	v_mov_b32_e32 v2, v3
	v_mov_b32_e32 v9, v3
	s_lshl_b64 s[0:1], s[0:1], 4
	s_mov_b64 s[2:3], 0
.LBB402_2:                              ; =>This Inner Loop Header: Depth=1
	global_load_ushort v14, v[6:7], off
	global_load_ushort v15, v[4:5], off
	s_add_u32 s2, s2, 8
	s_addc_u32 s3, s3, 0
	v_add_co_u32 v4, vcc_lo, v4, s0
	v_cmp_lt_i64_e64 s9, s[2:3], s[20:21]
	v_add_co_ci_u32_e64 v5, null, s1, v5, vcc_lo
	v_add_co_u32 v6, vcc_lo, v6, 16
	v_add_co_ci_u32_e64 v7, null, 0, v7, vcc_lo
	s_and_b32 vcc_lo, exec_lo, s9
	s_waitcnt vmcnt(1)
	v_cvt_f32_f16_e32 v14, v14
	s_waitcnt vmcnt(0)
	v_cvt_f32_f16_e32 v15, v15
	ds_write_b32 v12, v14
	ds_write_b32 v13, v15
	s_waitcnt lgkmcnt(0)
	s_barrier
	buffer_gl0_inv
	ds_read_b128 v[14:17], v11
	ds_read2_b32 v[30:31], v10 offset1:16
	ds_read_b128 v[18:21], v11 offset:512
	ds_read2_b32 v[32:33], v10 offset0:32 offset1:48
	ds_read2_b32 v[34:35], v10 offset0:64 offset1:80
	ds_read_b128 v[22:25], v11 offset:16
	ds_read2_b32 v[36:37], v10 offset0:96 offset1:112
	ds_read2_b32 v[38:39], v10 offset0:128 offset1:144
	;; [unrolled: 3-line block ×3, first 2 shown]
	ds_read2_b32 v[44:45], v10 offset0:224 offset1:240
	s_waitcnt lgkmcnt(0)
	s_barrier
	buffer_gl0_inv
	v_fmac_f32_e32 v9, v30, v14
	v_fmac_f32_e32 v8, v31, v14
	;; [unrolled: 1-line block ×32, first 2 shown]
	s_cbranch_vccnz .LBB402_2
.LBB402_3:
	s_clause 0x3
	s_load_dwordx4 s[0:3], s[4:5], 0x78
	s_load_dword s9, s[4:5], 0x50
	s_load_dwordx8 s[12:19], s[4:5], 0x58
	s_load_dword s4, s[4:5], 0x18
	v_add_co_u32 v5, s5, s6, v0
	v_add_co_ci_u32_e64 v6, null, s7, 0, s5
	v_add_co_u32 v4, s5, s10, v1
	v_add_co_ci_u32_e64 v7, null, s11, 0, s5
	v_lshlrev_b64 v[0:1], 2, v[5:6]
	s_waitcnt lgkmcnt(0)
	s_mul_i32 s3, s3, s8
	s_mul_hi_u32 s5, s2, s8
	v_mul_lo_u32 v5, v7, s0
	v_mul_lo_u32 v6, v4, s1
	s_mul_i32 s2, s2, s8
	v_cmp_neq_f32_e64 s6, s9, 0
	s_add_i32 s3, s5, s3
	s_mov_b32 s5, 0
	s_lshl_b64 s[2:3], s[2:3], 2
	s_add_u32 s2, s18, s2
	s_addc_u32 s3, s19, s3
	s_and_b32 vcc_lo, exec_lo, s6
	s_cbranch_vccnz .LBB402_7
; %bb.4:
	v_mad_u64_u32 v[10:11], null, v4, s0, 0
	s_lshl_b64 s[6:7], s[0:1], 6
	v_mul_f32_e32 v14, s4, v9
	v_mul_f32_e32 v15, s4, v8
	v_mul_f32_e32 v16, s4, v2
	v_mul_f32_e32 v17, s4, v3
	v_add3_u32 v11, v11, v6, v5
	v_lshlrev_b64 v[10:11], 2, v[10:11]
	v_add_co_u32 v10, vcc_lo, s2, v10
	v_add_co_ci_u32_e64 v11, null, s3, v11, vcc_lo
	v_add_co_u32 v12, vcc_lo, v10, s6
	v_add_co_ci_u32_e64 v13, null, s7, v11, vcc_lo
	;; [unrolled: 2-line block ×4, first 2 shown]
	global_store_dword v[10:11], v14, off
	global_store_dword v[10:11], v15, off offset:64
	global_store_dword v[12:13], v16, off
	global_store_dword v[12:13], v17, off offset:64
	s_andn2_b32 vcc_lo, exec_lo, s5
	s_cbranch_vccnz .LBB402_6
.LBB402_5:
	v_mul_lo_u32 v7, v7, s14
	v_mul_lo_u32 v12, v4, s15
	v_mad_u64_u32 v[10:11], null, v4, s14, 0
	s_mul_i32 s5, s17, s8
	s_mul_hi_u32 s7, s16, s8
	s_mul_i32 s6, s16, s8
	s_add_i32 s7, s7, s5
	s_lshl_b64 s[6:7], s[6:7], 2
	v_add3_u32 v11, v11, v12, v7
	s_add_u32 s5, s12, s6
	s_addc_u32 s6, s13, s7
	v_mad_u64_u32 v[12:13], null, v4, s0, 0
	v_lshlrev_b64 v[10:11], 2, v[10:11]
	s_lshl_b64 s[0:1], s[0:1], 6
	v_add3_u32 v13, v13, v6, v5
	v_add_co_u32 v7, vcc_lo, s5, v10
	v_add_co_ci_u32_e64 v14, null, s6, v11, vcc_lo
	v_lshlrev_b64 v[4:5], 2, v[12:13]
	v_add_co_u32 v10, vcc_lo, v7, v0
	v_add_co_ci_u32_e64 v11, null, v14, v1, vcc_lo
	v_add_co_u32 v12, vcc_lo, s2, v4
	global_load_dword v15, v[10:11], off
	v_add_co_ci_u32_e64 v13, null, s3, v5, vcc_lo
	v_add_co_u32 v4, vcc_lo, v12, v0
	s_lshl_b64 s[2:3], s[14:15], 6
	v_add_co_ci_u32_e64 v5, null, v13, v1, vcc_lo
	s_waitcnt vmcnt(0)
	v_mul_f32_e32 v6, s9, v15
	v_fmac_f32_e32 v6, s4, v9
	global_store_dword v[4:5], v6, off
	global_load_dword v6, v[10:11], off offset:64
	s_waitcnt vmcnt(0)
	v_mul_f32_e32 v9, s9, v6
	v_add_co_u32 v6, vcc_lo, v7, s2
	v_add_co_ci_u32_e64 v7, null, s3, v14, vcc_lo
	v_fmac_f32_e32 v9, s4, v8
	v_add_co_u32 v6, vcc_lo, v6, v0
	v_add_co_ci_u32_e64 v7, null, v7, v1, vcc_lo
	global_store_dword v[4:5], v9, off offset:64
	v_add_co_u32 v5, vcc_lo, v12, s0
	global_load_dword v4, v[6:7], off
	v_add_co_ci_u32_e64 v8, null, s1, v13, vcc_lo
	v_add_co_u32 v0, vcc_lo, v5, v0
	v_add_co_ci_u32_e64 v1, null, v8, v1, vcc_lo
	s_waitcnt vmcnt(0)
	v_mul_f32_e32 v4, s9, v4
	v_fmac_f32_e32 v4, s4, v2
	global_store_dword v[0:1], v4, off
	global_load_dword v2, v[6:7], off offset:64
	s_waitcnt vmcnt(0)
	v_mul_f32_e32 v2, s9, v2
	v_fmac_f32_e32 v2, s4, v3
	global_store_dword v[0:1], v2, off offset:64
.LBB402_6:
	s_endpgm
.LBB402_7:
	s_branch .LBB402_5
	.section	.rodata,"a",@progbits
	.p2align	6, 0x0
	.amdhsa_kernel _ZN12_GLOBAL__N_127rocblas_gemm_batched_kernelIfLi16ELi16ELi32ELi32ELi8ELi32ELi8ELi8ELi32ELc84ELc84EKDF16_KffEEvlllT_PT11_llS5_llS3_PT12_llPT13_lli
		.amdhsa_group_segment_fixed_size 2048
		.amdhsa_private_segment_fixed_size 0
		.amdhsa_kernarg_size 140
		.amdhsa_user_sgpr_count 6
		.amdhsa_user_sgpr_private_segment_buffer 1
		.amdhsa_user_sgpr_dispatch_ptr 0
		.amdhsa_user_sgpr_queue_ptr 0
		.amdhsa_user_sgpr_kernarg_segment_ptr 1
		.amdhsa_user_sgpr_dispatch_id 0
		.amdhsa_user_sgpr_flat_scratch_init 0
		.amdhsa_user_sgpr_private_segment_size 0
		.amdhsa_wavefront_size32 1
		.amdhsa_uses_dynamic_stack 0
		.amdhsa_system_sgpr_private_segment_wavefront_offset 0
		.amdhsa_system_sgpr_workgroup_id_x 1
		.amdhsa_system_sgpr_workgroup_id_y 1
		.amdhsa_system_sgpr_workgroup_id_z 1
		.amdhsa_system_sgpr_workgroup_info 0
		.amdhsa_system_vgpr_workitem_id 1
		.amdhsa_next_free_vgpr 46
		.amdhsa_next_free_sgpr 22
		.amdhsa_reserve_vcc 1
		.amdhsa_reserve_flat_scratch 0
		.amdhsa_float_round_mode_32 0
		.amdhsa_float_round_mode_16_64 0
		.amdhsa_float_denorm_mode_32 3
		.amdhsa_float_denorm_mode_16_64 3
		.amdhsa_dx10_clamp 1
		.amdhsa_ieee_mode 1
		.amdhsa_fp16_overflow 0
		.amdhsa_workgroup_processor_mode 1
		.amdhsa_memory_ordered 1
		.amdhsa_forward_progress 1
		.amdhsa_shared_vgpr_count 0
		.amdhsa_exception_fp_ieee_invalid_op 0
		.amdhsa_exception_fp_denorm_src 0
		.amdhsa_exception_fp_ieee_div_zero 0
		.amdhsa_exception_fp_ieee_overflow 0
		.amdhsa_exception_fp_ieee_underflow 0
		.amdhsa_exception_fp_ieee_inexact 0
		.amdhsa_exception_int_div_zero 0
	.end_amdhsa_kernel
	.section	.text._ZN12_GLOBAL__N_127rocblas_gemm_batched_kernelIfLi16ELi16ELi32ELi32ELi8ELi32ELi8ELi8ELi32ELc84ELc84EKDF16_KffEEvlllT_PT11_llS5_llS3_PT12_llPT13_lli,"axG",@progbits,_ZN12_GLOBAL__N_127rocblas_gemm_batched_kernelIfLi16ELi16ELi32ELi32ELi8ELi32ELi8ELi8ELi32ELc84ELc84EKDF16_KffEEvlllT_PT11_llS5_llS3_PT12_llPT13_lli,comdat
.Lfunc_end402:
	.size	_ZN12_GLOBAL__N_127rocblas_gemm_batched_kernelIfLi16ELi16ELi32ELi32ELi8ELi32ELi8ELi8ELi32ELc84ELc84EKDF16_KffEEvlllT_PT11_llS5_llS3_PT12_llPT13_lli, .Lfunc_end402-_ZN12_GLOBAL__N_127rocblas_gemm_batched_kernelIfLi16ELi16ELi32ELi32ELi8ELi32ELi8ELi8ELi32ELc84ELc84EKDF16_KffEEvlllT_PT11_llS5_llS3_PT12_llPT13_lli
                                        ; -- End function
	.set _ZN12_GLOBAL__N_127rocblas_gemm_batched_kernelIfLi16ELi16ELi32ELi32ELi8ELi32ELi8ELi8ELi32ELc84ELc84EKDF16_KffEEvlllT_PT11_llS5_llS3_PT12_llPT13_lli.num_vgpr, 46
	.set _ZN12_GLOBAL__N_127rocblas_gemm_batched_kernelIfLi16ELi16ELi32ELi32ELi8ELi32ELi8ELi8ELi32ELc84ELc84EKDF16_KffEEvlllT_PT11_llS5_llS3_PT12_llPT13_lli.num_agpr, 0
	.set _ZN12_GLOBAL__N_127rocblas_gemm_batched_kernelIfLi16ELi16ELi32ELi32ELi8ELi32ELi8ELi8ELi32ELc84ELc84EKDF16_KffEEvlllT_PT11_llS5_llS3_PT12_llPT13_lli.numbered_sgpr, 22
	.set _ZN12_GLOBAL__N_127rocblas_gemm_batched_kernelIfLi16ELi16ELi32ELi32ELi8ELi32ELi8ELi8ELi32ELc84ELc84EKDF16_KffEEvlllT_PT11_llS5_llS3_PT12_llPT13_lli.num_named_barrier, 0
	.set _ZN12_GLOBAL__N_127rocblas_gemm_batched_kernelIfLi16ELi16ELi32ELi32ELi8ELi32ELi8ELi8ELi32ELc84ELc84EKDF16_KffEEvlllT_PT11_llS5_llS3_PT12_llPT13_lli.private_seg_size, 0
	.set _ZN12_GLOBAL__N_127rocblas_gemm_batched_kernelIfLi16ELi16ELi32ELi32ELi8ELi32ELi8ELi8ELi32ELc84ELc84EKDF16_KffEEvlllT_PT11_llS5_llS3_PT12_llPT13_lli.uses_vcc, 1
	.set _ZN12_GLOBAL__N_127rocblas_gemm_batched_kernelIfLi16ELi16ELi32ELi32ELi8ELi32ELi8ELi8ELi32ELc84ELc84EKDF16_KffEEvlllT_PT11_llS5_llS3_PT12_llPT13_lli.uses_flat_scratch, 0
	.set _ZN12_GLOBAL__N_127rocblas_gemm_batched_kernelIfLi16ELi16ELi32ELi32ELi8ELi32ELi8ELi8ELi32ELc84ELc84EKDF16_KffEEvlllT_PT11_llS5_llS3_PT12_llPT13_lli.has_dyn_sized_stack, 0
	.set _ZN12_GLOBAL__N_127rocblas_gemm_batched_kernelIfLi16ELi16ELi32ELi32ELi8ELi32ELi8ELi8ELi32ELc84ELc84EKDF16_KffEEvlllT_PT11_llS5_llS3_PT12_llPT13_lli.has_recursion, 0
	.set _ZN12_GLOBAL__N_127rocblas_gemm_batched_kernelIfLi16ELi16ELi32ELi32ELi8ELi32ELi8ELi8ELi32ELc84ELc84EKDF16_KffEEvlllT_PT11_llS5_llS3_PT12_llPT13_lli.has_indirect_call, 0
	.section	.AMDGPU.csdata,"",@progbits
; Kernel info:
; codeLenInByte = 1400
; TotalNumSgprs: 24
; NumVgprs: 46
; ScratchSize: 0
; MemoryBound: 0
; FloatMode: 240
; IeeeMode: 1
; LDSByteSize: 2048 bytes/workgroup (compile time only)
; SGPRBlocks: 0
; VGPRBlocks: 5
; NumSGPRsForWavesPerEU: 24
; NumVGPRsForWavesPerEU: 46
; Occupancy: 16
; WaveLimiterHint : 0
; COMPUTE_PGM_RSRC2:SCRATCH_EN: 0
; COMPUTE_PGM_RSRC2:USER_SGPR: 6
; COMPUTE_PGM_RSRC2:TRAP_HANDLER: 0
; COMPUTE_PGM_RSRC2:TGID_X_EN: 1
; COMPUTE_PGM_RSRC2:TGID_Y_EN: 1
; COMPUTE_PGM_RSRC2:TGID_Z_EN: 1
; COMPUTE_PGM_RSRC2:TIDIG_COMP_CNT: 1
	.section	.text._ZN12_GLOBAL__N_127rocblas_gemm_batched_kernelIfLi16ELi16ELi32ELi32ELi8ELi32ELi8ELi8ELi32ELc67ELc67EKDF16_KffEEvlllT_PT11_llS5_llS3_PT12_llPT13_lli,"axG",@progbits,_ZN12_GLOBAL__N_127rocblas_gemm_batched_kernelIfLi16ELi16ELi32ELi32ELi8ELi32ELi8ELi8ELi32ELc67ELc67EKDF16_KffEEvlllT_PT11_llS5_llS3_PT12_llPT13_lli,comdat
	.globl	_ZN12_GLOBAL__N_127rocblas_gemm_batched_kernelIfLi16ELi16ELi32ELi32ELi8ELi32ELi8ELi8ELi32ELc67ELc67EKDF16_KffEEvlllT_PT11_llS5_llS3_PT12_llPT13_lli ; -- Begin function _ZN12_GLOBAL__N_127rocblas_gemm_batched_kernelIfLi16ELi16ELi32ELi32ELi8ELi32ELi8ELi8ELi32ELc67ELc67EKDF16_KffEEvlllT_PT11_llS5_llS3_PT12_llPT13_lli
	.p2align	8
	.type	_ZN12_GLOBAL__N_127rocblas_gemm_batched_kernelIfLi16ELi16ELi32ELi32ELi8ELi32ELi8ELi8ELi32ELc67ELc67EKDF16_KffEEvlllT_PT11_llS5_llS3_PT12_llPT13_lli,@function
_ZN12_GLOBAL__N_127rocblas_gemm_batched_kernelIfLi16ELi16ELi32ELi32ELi8ELi32ELi8ELi8ELi32ELc67ELc67EKDF16_KffEEvlllT_PT11_llS5_llS3_PT12_llPT13_lli: ; @_ZN12_GLOBAL__N_127rocblas_gemm_batched_kernelIfLi16ELi16ELi32ELi32ELi8ELi32ELi8ELi8ELi32ELc67ELc67EKDF16_KffEEvlllT_PT11_llS5_llS3_PT12_llPT13_lli
; %bb.0:
	s_load_dwordx2 s[20:21], s[4:5], 0x10
	s_mov_b32 s0, s7
	v_mov_b32_e32 v9, 0
	v_mov_b32_e32 v8, 0
	;; [unrolled: 1-line block ×4, first 2 shown]
	s_ashr_i32 s7, s6, 31
	s_ashr_i32 s1, s0, 31
	s_lshl_b64 s[6:7], s[6:7], 5
	s_lshl_b64 s[10:11], s[0:1], 5
	s_waitcnt lgkmcnt(0)
	v_cmp_lt_i64_e64 s2, s[20:21], 1
	s_and_b32 vcc_lo, exec_lo, s2
	s_cbranch_vccnz .LBB403_3
; %bb.1:
	s_clause 0x1
	s_load_dwordx8 s[12:19], s[4:5], 0x20
	s_load_dwordx4 s[0:3], s[4:5], 0x40
	v_lshl_add_u32 v4, v1, 4, v0
	v_and_b32_e32 v8, 7, v0
	v_mov_b32_e32 v3, 0
	v_lshlrev_b32_e32 v10, 2, v0
	v_lshl_add_u32 v11, v1, 5, 0x400
	v_and_b32_e32 v5, 31, v4
	v_lshrrev_b32_e32 v2, 3, v4
	v_lshlrev_b32_e32 v6, 2, v8
	v_lshrrev_b32_e32 v14, 5, v4
	v_lshlrev_b32_e32 v4, 2, v5
	v_lshl_or_b32 v9, v2, 5, v6
	v_add_co_u32 v6, s9, s6, v5
	v_add_co_ci_u32_e64 v7, null, s7, 0, s9
	v_lshl_or_b32 v12, v14, 7, v4
	s_waitcnt lgkmcnt(0)
	v_mul_lo_u32 v15, s15, v6
	v_mad_u64_u32 v[4:5], null, s0, v8, v[2:3]
	v_mul_lo_u32 v16, s14, v7
	v_mad_u64_u32 v[6:7], null, s14, v6, 0
	s_mul_i32 s3, s3, s8
	s_mul_hi_u32 s9, s2, s8
	s_mul_i32 s2, s2, s8
	v_mov_b32_e32 v2, v5
	s_add_i32 s3, s9, s3
	v_add_nc_u32_e32 v13, 0x400, v9
	v_add3_u32 v7, v7, v16, v15
	s_lshl_b64 s[2:3], s[2:3], 1
	v_mad_u64_u32 v[8:9], null, s1, v8, v[2:3]
	s_add_u32 s9, s18, s2
	s_addc_u32 s14, s19, s3
	s_mul_i32 s2, s17, s8
	s_mul_hi_u32 s3, s16, s8
	v_lshlrev_b64 v[5:6], 1, v[6:7]
	v_add_co_u32 v7, vcc_lo, v4, s10
	s_add_i32 s3, s3, s2
	s_mul_i32 s2, s16, s8
	v_add_co_ci_u32_e64 v8, null, s11, v8, vcc_lo
	s_lshl_b64 s[2:3], s[2:3], 1
	v_lshlrev_b32_e32 v2, 1, v14
	v_add_co_u32 v9, vcc_lo, v5, s2
	v_add_co_ci_u32_e64 v6, null, s3, v6, vcc_lo
	v_lshlrev_b64 v[4:5], 1, v[7:8]
	v_add_co_u32 v2, vcc_lo, v9, v2
	v_add_co_ci_u32_e64 v7, null, 0, v6, vcc_lo
	v_mov_b32_e32 v8, v3
	v_add_co_u32 v4, vcc_lo, s9, v4
	v_add_co_ci_u32_e64 v5, null, s14, v5, vcc_lo
	v_add_co_u32 v6, vcc_lo, s12, v2
	v_add_co_ci_u32_e64 v7, null, s13, v7, vcc_lo
	v_mov_b32_e32 v2, v3
	v_mov_b32_e32 v9, v3
	s_lshl_b64 s[0:1], s[0:1], 4
	s_mov_b64 s[2:3], 0
.LBB403_2:                              ; =>This Inner Loop Header: Depth=1
	global_load_ushort v14, v[6:7], off
	global_load_ushort v15, v[4:5], off
	s_add_u32 s2, s2, 8
	s_addc_u32 s3, s3, 0
	v_add_co_u32 v4, vcc_lo, v4, s0
	v_cmp_lt_i64_e64 s9, s[2:3], s[20:21]
	v_add_co_ci_u32_e64 v5, null, s1, v5, vcc_lo
	v_add_co_u32 v6, vcc_lo, v6, 16
	v_add_co_ci_u32_e64 v7, null, 0, v7, vcc_lo
	s_and_b32 vcc_lo, exec_lo, s9
	s_waitcnt vmcnt(1)
	v_cvt_f32_f16_e32 v14, v14
	s_waitcnt vmcnt(0)
	v_cvt_f32_f16_e32 v15, v15
	ds_write_b32 v12, v14
	ds_write_b32 v13, v15
	s_waitcnt lgkmcnt(0)
	s_barrier
	buffer_gl0_inv
	ds_read_b128 v[14:17], v11
	ds_read2_b32 v[30:31], v10 offset1:16
	ds_read_b128 v[18:21], v11 offset:512
	ds_read2_b32 v[32:33], v10 offset0:32 offset1:48
	ds_read2_b32 v[34:35], v10 offset0:64 offset1:80
	ds_read_b128 v[22:25], v11 offset:16
	ds_read2_b32 v[36:37], v10 offset0:96 offset1:112
	ds_read2_b32 v[38:39], v10 offset0:128 offset1:144
	;; [unrolled: 3-line block ×3, first 2 shown]
	ds_read2_b32 v[44:45], v10 offset0:224 offset1:240
	s_waitcnt lgkmcnt(0)
	s_barrier
	buffer_gl0_inv
	v_fmac_f32_e32 v9, v30, v14
	v_fmac_f32_e32 v8, v31, v14
	;; [unrolled: 1-line block ×32, first 2 shown]
	s_cbranch_vccnz .LBB403_2
.LBB403_3:
	s_clause 0x3
	s_load_dwordx4 s[0:3], s[4:5], 0x78
	s_load_dword s9, s[4:5], 0x50
	s_load_dwordx8 s[12:19], s[4:5], 0x58
	s_load_dword s4, s[4:5], 0x18
	v_add_co_u32 v5, s5, s6, v0
	v_add_co_ci_u32_e64 v6, null, s7, 0, s5
	v_add_co_u32 v4, s5, s10, v1
	v_add_co_ci_u32_e64 v7, null, s11, 0, s5
	v_lshlrev_b64 v[0:1], 2, v[5:6]
	s_waitcnt lgkmcnt(0)
	s_mul_i32 s3, s3, s8
	s_mul_hi_u32 s5, s2, s8
	v_mul_lo_u32 v5, v7, s0
	v_mul_lo_u32 v6, v4, s1
	s_mul_i32 s2, s2, s8
	v_cmp_neq_f32_e64 s6, s9, 0
	s_add_i32 s3, s5, s3
	s_mov_b32 s5, 0
	s_lshl_b64 s[2:3], s[2:3], 2
	s_add_u32 s2, s18, s2
	s_addc_u32 s3, s19, s3
	s_and_b32 vcc_lo, exec_lo, s6
	s_cbranch_vccnz .LBB403_7
; %bb.4:
	v_mad_u64_u32 v[10:11], null, v4, s0, 0
	s_lshl_b64 s[6:7], s[0:1], 6
	v_mul_f32_e32 v14, s4, v9
	v_mul_f32_e32 v15, s4, v8
	;; [unrolled: 1-line block ×4, first 2 shown]
	v_add3_u32 v11, v11, v6, v5
	v_lshlrev_b64 v[10:11], 2, v[10:11]
	v_add_co_u32 v10, vcc_lo, s2, v10
	v_add_co_ci_u32_e64 v11, null, s3, v11, vcc_lo
	v_add_co_u32 v12, vcc_lo, v10, s6
	v_add_co_ci_u32_e64 v13, null, s7, v11, vcc_lo
	;; [unrolled: 2-line block ×4, first 2 shown]
	global_store_dword v[10:11], v14, off
	global_store_dword v[10:11], v15, off offset:64
	global_store_dword v[12:13], v16, off
	global_store_dword v[12:13], v17, off offset:64
	s_andn2_b32 vcc_lo, exec_lo, s5
	s_cbranch_vccnz .LBB403_6
.LBB403_5:
	v_mul_lo_u32 v7, v7, s14
	v_mul_lo_u32 v12, v4, s15
	v_mad_u64_u32 v[10:11], null, v4, s14, 0
	s_mul_i32 s5, s17, s8
	s_mul_hi_u32 s7, s16, s8
	s_mul_i32 s6, s16, s8
	s_add_i32 s7, s7, s5
	s_lshl_b64 s[6:7], s[6:7], 2
	v_add3_u32 v11, v11, v12, v7
	s_add_u32 s5, s12, s6
	s_addc_u32 s6, s13, s7
	v_mad_u64_u32 v[12:13], null, v4, s0, 0
	v_lshlrev_b64 v[10:11], 2, v[10:11]
	s_lshl_b64 s[0:1], s[0:1], 6
	v_add3_u32 v13, v13, v6, v5
	v_add_co_u32 v7, vcc_lo, s5, v10
	v_add_co_ci_u32_e64 v14, null, s6, v11, vcc_lo
	v_lshlrev_b64 v[4:5], 2, v[12:13]
	v_add_co_u32 v10, vcc_lo, v7, v0
	v_add_co_ci_u32_e64 v11, null, v14, v1, vcc_lo
	v_add_co_u32 v12, vcc_lo, s2, v4
	global_load_dword v15, v[10:11], off
	v_add_co_ci_u32_e64 v13, null, s3, v5, vcc_lo
	v_add_co_u32 v4, vcc_lo, v12, v0
	s_lshl_b64 s[2:3], s[14:15], 6
	v_add_co_ci_u32_e64 v5, null, v13, v1, vcc_lo
	s_waitcnt vmcnt(0)
	v_mul_f32_e32 v6, s9, v15
	v_fmac_f32_e32 v6, s4, v9
	global_store_dword v[4:5], v6, off
	global_load_dword v6, v[10:11], off offset:64
	s_waitcnt vmcnt(0)
	v_mul_f32_e32 v9, s9, v6
	v_add_co_u32 v6, vcc_lo, v7, s2
	v_add_co_ci_u32_e64 v7, null, s3, v14, vcc_lo
	v_fmac_f32_e32 v9, s4, v8
	v_add_co_u32 v6, vcc_lo, v6, v0
	v_add_co_ci_u32_e64 v7, null, v7, v1, vcc_lo
	global_store_dword v[4:5], v9, off offset:64
	v_add_co_u32 v5, vcc_lo, v12, s0
	global_load_dword v4, v[6:7], off
	v_add_co_ci_u32_e64 v8, null, s1, v13, vcc_lo
	v_add_co_u32 v0, vcc_lo, v5, v0
	v_add_co_ci_u32_e64 v1, null, v8, v1, vcc_lo
	s_waitcnt vmcnt(0)
	v_mul_f32_e32 v4, s9, v4
	v_fmac_f32_e32 v4, s4, v2
	global_store_dword v[0:1], v4, off
	global_load_dword v2, v[6:7], off offset:64
	s_waitcnt vmcnt(0)
	v_mul_f32_e32 v2, s9, v2
	v_fmac_f32_e32 v2, s4, v3
	global_store_dword v[0:1], v2, off offset:64
.LBB403_6:
	s_endpgm
.LBB403_7:
	s_branch .LBB403_5
	.section	.rodata,"a",@progbits
	.p2align	6, 0x0
	.amdhsa_kernel _ZN12_GLOBAL__N_127rocblas_gemm_batched_kernelIfLi16ELi16ELi32ELi32ELi8ELi32ELi8ELi8ELi32ELc67ELc67EKDF16_KffEEvlllT_PT11_llS5_llS3_PT12_llPT13_lli
		.amdhsa_group_segment_fixed_size 2048
		.amdhsa_private_segment_fixed_size 0
		.amdhsa_kernarg_size 140
		.amdhsa_user_sgpr_count 6
		.amdhsa_user_sgpr_private_segment_buffer 1
		.amdhsa_user_sgpr_dispatch_ptr 0
		.amdhsa_user_sgpr_queue_ptr 0
		.amdhsa_user_sgpr_kernarg_segment_ptr 1
		.amdhsa_user_sgpr_dispatch_id 0
		.amdhsa_user_sgpr_flat_scratch_init 0
		.amdhsa_user_sgpr_private_segment_size 0
		.amdhsa_wavefront_size32 1
		.amdhsa_uses_dynamic_stack 0
		.amdhsa_system_sgpr_private_segment_wavefront_offset 0
		.amdhsa_system_sgpr_workgroup_id_x 1
		.amdhsa_system_sgpr_workgroup_id_y 1
		.amdhsa_system_sgpr_workgroup_id_z 1
		.amdhsa_system_sgpr_workgroup_info 0
		.amdhsa_system_vgpr_workitem_id 1
		.amdhsa_next_free_vgpr 46
		.amdhsa_next_free_sgpr 22
		.amdhsa_reserve_vcc 1
		.amdhsa_reserve_flat_scratch 0
		.amdhsa_float_round_mode_32 0
		.amdhsa_float_round_mode_16_64 0
		.amdhsa_float_denorm_mode_32 3
		.amdhsa_float_denorm_mode_16_64 3
		.amdhsa_dx10_clamp 1
		.amdhsa_ieee_mode 1
		.amdhsa_fp16_overflow 0
		.amdhsa_workgroup_processor_mode 1
		.amdhsa_memory_ordered 1
		.amdhsa_forward_progress 1
		.amdhsa_shared_vgpr_count 0
		.amdhsa_exception_fp_ieee_invalid_op 0
		.amdhsa_exception_fp_denorm_src 0
		.amdhsa_exception_fp_ieee_div_zero 0
		.amdhsa_exception_fp_ieee_overflow 0
		.amdhsa_exception_fp_ieee_underflow 0
		.amdhsa_exception_fp_ieee_inexact 0
		.amdhsa_exception_int_div_zero 0
	.end_amdhsa_kernel
	.section	.text._ZN12_GLOBAL__N_127rocblas_gemm_batched_kernelIfLi16ELi16ELi32ELi32ELi8ELi32ELi8ELi8ELi32ELc67ELc67EKDF16_KffEEvlllT_PT11_llS5_llS3_PT12_llPT13_lli,"axG",@progbits,_ZN12_GLOBAL__N_127rocblas_gemm_batched_kernelIfLi16ELi16ELi32ELi32ELi8ELi32ELi8ELi8ELi32ELc67ELc67EKDF16_KffEEvlllT_PT11_llS5_llS3_PT12_llPT13_lli,comdat
.Lfunc_end403:
	.size	_ZN12_GLOBAL__N_127rocblas_gemm_batched_kernelIfLi16ELi16ELi32ELi32ELi8ELi32ELi8ELi8ELi32ELc67ELc67EKDF16_KffEEvlllT_PT11_llS5_llS3_PT12_llPT13_lli, .Lfunc_end403-_ZN12_GLOBAL__N_127rocblas_gemm_batched_kernelIfLi16ELi16ELi32ELi32ELi8ELi32ELi8ELi8ELi32ELc67ELc67EKDF16_KffEEvlllT_PT11_llS5_llS3_PT12_llPT13_lli
                                        ; -- End function
	.set _ZN12_GLOBAL__N_127rocblas_gemm_batched_kernelIfLi16ELi16ELi32ELi32ELi8ELi32ELi8ELi8ELi32ELc67ELc67EKDF16_KffEEvlllT_PT11_llS5_llS3_PT12_llPT13_lli.num_vgpr, 46
	.set _ZN12_GLOBAL__N_127rocblas_gemm_batched_kernelIfLi16ELi16ELi32ELi32ELi8ELi32ELi8ELi8ELi32ELc67ELc67EKDF16_KffEEvlllT_PT11_llS5_llS3_PT12_llPT13_lli.num_agpr, 0
	.set _ZN12_GLOBAL__N_127rocblas_gemm_batched_kernelIfLi16ELi16ELi32ELi32ELi8ELi32ELi8ELi8ELi32ELc67ELc67EKDF16_KffEEvlllT_PT11_llS5_llS3_PT12_llPT13_lli.numbered_sgpr, 22
	.set _ZN12_GLOBAL__N_127rocblas_gemm_batched_kernelIfLi16ELi16ELi32ELi32ELi8ELi32ELi8ELi8ELi32ELc67ELc67EKDF16_KffEEvlllT_PT11_llS5_llS3_PT12_llPT13_lli.num_named_barrier, 0
	.set _ZN12_GLOBAL__N_127rocblas_gemm_batched_kernelIfLi16ELi16ELi32ELi32ELi8ELi32ELi8ELi8ELi32ELc67ELc67EKDF16_KffEEvlllT_PT11_llS5_llS3_PT12_llPT13_lli.private_seg_size, 0
	.set _ZN12_GLOBAL__N_127rocblas_gemm_batched_kernelIfLi16ELi16ELi32ELi32ELi8ELi32ELi8ELi8ELi32ELc67ELc67EKDF16_KffEEvlllT_PT11_llS5_llS3_PT12_llPT13_lli.uses_vcc, 1
	.set _ZN12_GLOBAL__N_127rocblas_gemm_batched_kernelIfLi16ELi16ELi32ELi32ELi8ELi32ELi8ELi8ELi32ELc67ELc67EKDF16_KffEEvlllT_PT11_llS5_llS3_PT12_llPT13_lli.uses_flat_scratch, 0
	.set _ZN12_GLOBAL__N_127rocblas_gemm_batched_kernelIfLi16ELi16ELi32ELi32ELi8ELi32ELi8ELi8ELi32ELc67ELc67EKDF16_KffEEvlllT_PT11_llS5_llS3_PT12_llPT13_lli.has_dyn_sized_stack, 0
	.set _ZN12_GLOBAL__N_127rocblas_gemm_batched_kernelIfLi16ELi16ELi32ELi32ELi8ELi32ELi8ELi8ELi32ELc67ELc67EKDF16_KffEEvlllT_PT11_llS5_llS3_PT12_llPT13_lli.has_recursion, 0
	.set _ZN12_GLOBAL__N_127rocblas_gemm_batched_kernelIfLi16ELi16ELi32ELi32ELi8ELi32ELi8ELi8ELi32ELc67ELc67EKDF16_KffEEvlllT_PT11_llS5_llS3_PT12_llPT13_lli.has_indirect_call, 0
	.section	.AMDGPU.csdata,"",@progbits
; Kernel info:
; codeLenInByte = 1400
; TotalNumSgprs: 24
; NumVgprs: 46
; ScratchSize: 0
; MemoryBound: 0
; FloatMode: 240
; IeeeMode: 1
; LDSByteSize: 2048 bytes/workgroup (compile time only)
; SGPRBlocks: 0
; VGPRBlocks: 5
; NumSGPRsForWavesPerEU: 24
; NumVGPRsForWavesPerEU: 46
; Occupancy: 16
; WaveLimiterHint : 0
; COMPUTE_PGM_RSRC2:SCRATCH_EN: 0
; COMPUTE_PGM_RSRC2:USER_SGPR: 6
; COMPUTE_PGM_RSRC2:TRAP_HANDLER: 0
; COMPUTE_PGM_RSRC2:TGID_X_EN: 1
; COMPUTE_PGM_RSRC2:TGID_Y_EN: 1
; COMPUTE_PGM_RSRC2:TGID_Z_EN: 1
; COMPUTE_PGM_RSRC2:TIDIG_COMP_CNT: 1
	.section	.text._ZN12_GLOBAL__N_127rocblas_gemm_batched_kernelIfLi16ELi16ELi32ELi32ELi8ELi32ELi8ELi8ELi32ELc67ELc78EKDF16_KffEEvlllT_PT11_llS5_llS3_PT12_llPT13_lli,"axG",@progbits,_ZN12_GLOBAL__N_127rocblas_gemm_batched_kernelIfLi16ELi16ELi32ELi32ELi8ELi32ELi8ELi8ELi32ELc67ELc78EKDF16_KffEEvlllT_PT11_llS5_llS3_PT12_llPT13_lli,comdat
	.globl	_ZN12_GLOBAL__N_127rocblas_gemm_batched_kernelIfLi16ELi16ELi32ELi32ELi8ELi32ELi8ELi8ELi32ELc67ELc78EKDF16_KffEEvlllT_PT11_llS5_llS3_PT12_llPT13_lli ; -- Begin function _ZN12_GLOBAL__N_127rocblas_gemm_batched_kernelIfLi16ELi16ELi32ELi32ELi8ELi32ELi8ELi8ELi32ELc67ELc78EKDF16_KffEEvlllT_PT11_llS5_llS3_PT12_llPT13_lli
	.p2align	8
	.type	_ZN12_GLOBAL__N_127rocblas_gemm_batched_kernelIfLi16ELi16ELi32ELi32ELi8ELi32ELi8ELi8ELi32ELc67ELc78EKDF16_KffEEvlllT_PT11_llS5_llS3_PT12_llPT13_lli,@function
_ZN12_GLOBAL__N_127rocblas_gemm_batched_kernelIfLi16ELi16ELi32ELi32ELi8ELi32ELi8ELi8ELi32ELc67ELc78EKDF16_KffEEvlllT_PT11_llS5_llS3_PT12_llPT13_lli: ; @_ZN12_GLOBAL__N_127rocblas_gemm_batched_kernelIfLi16ELi16ELi32ELi32ELi8ELi32ELi8ELi8ELi32ELc67ELc78EKDF16_KffEEvlllT_PT11_llS5_llS3_PT12_llPT13_lli
; %bb.0:
	s_load_dwordx2 s[20:21], s[4:5], 0x10
	s_mov_b32 s0, s7
	v_mov_b32_e32 v9, 0
	v_mov_b32_e32 v8, 0
	;; [unrolled: 1-line block ×4, first 2 shown]
	s_ashr_i32 s7, s6, 31
	s_ashr_i32 s1, s0, 31
	s_lshl_b64 s[6:7], s[6:7], 5
	s_lshl_b64 s[10:11], s[0:1], 5
	s_waitcnt lgkmcnt(0)
	v_cmp_lt_i64_e64 s2, s[20:21], 1
	s_and_b32 vcc_lo, exec_lo, s2
	s_cbranch_vccnz .LBB404_3
; %bb.1:
	s_load_dwordx4 s[0:3], s[4:5], 0x40
	v_lshl_add_u32 v2, v1, 4, v0
	s_load_dwordx8 s[12:19], s[4:5], 0x20
	v_and_b32_e32 v7, 7, v0
	v_mov_b32_e32 v6, 0
	v_lshlrev_b32_e32 v10, 2, v0
	v_lshrrev_b32_e32 v3, 3, v2
	v_and_b32_e32 v4, 31, v2
	v_lshlrev_b32_e32 v5, 2, v7
	v_lshrrev_b32_e32 v14, 5, v2
	v_add_co_u32 v8, s9, v3, s10
	v_add_co_ci_u32_e64 v9, null, 0, s11, s9
	v_lshl_or_b32 v5, v3, 5, v5
	v_lshlrev_b32_e32 v11, 2, v4
	v_add_nc_u32_e32 v12, 0x400, v5
	s_waitcnt lgkmcnt(0)
	v_mul_lo_u32 v13, s1, v8
	v_mul_lo_u32 v9, s0, v9
	v_mad_u64_u32 v[2:3], null, s0, v8, 0
	v_add_co_u32 v4, s0, s6, v4
	v_add_co_ci_u32_e64 v8, null, s7, 0, s0
	s_mul_i32 s0, s3, s8
	v_mul_lo_u32 v15, s15, v4
	v_add3_u32 v3, v3, v9, v13
	v_mul_lo_u32 v8, s14, v8
	v_mad_u64_u32 v[4:5], null, s14, v4, 0
	s_mul_hi_u32 s1, s2, s8
	v_lshlrev_b64 v[2:3], 1, v[2:3]
	s_add_i32 s1, s1, s0
	s_mul_i32 s0, s2, s8
	v_lshl_or_b32 v11, v14, 7, v11
	s_lshl_b64 s[0:1], s[0:1], 1
	v_add3_u32 v5, v5, v8, v15
	v_add_co_u32 v8, vcc_lo, v2, s0
	v_add_co_ci_u32_e64 v9, null, s1, v3, vcc_lo
	s_mul_i32 s0, s17, s8
	s_mul_hi_u32 s1, s16, s8
	v_lshlrev_b64 v[2:3], 1, v[4:5]
	s_add_i32 s1, s1, s0
	s_mul_i32 s0, s16, s8
	v_lshlrev_b32_e32 v4, 1, v7
	s_lshl_b64 s[0:1], s[0:1], 1
	v_lshlrev_b32_e32 v5, 1, v14
	v_add_co_u32 v2, vcc_lo, v2, s0
	v_add_co_ci_u32_e64 v3, null, s1, v3, vcc_lo
	v_add_co_u32 v4, vcc_lo, v8, v4
	v_add_co_ci_u32_e64 v7, null, 0, v9, vcc_lo
	;; [unrolled: 2-line block ×4, first 2 shown]
	v_add_co_u32 v4, vcc_lo, s12, v5
	v_lshl_add_u32 v13, v1, 5, 0x400
	v_add_co_ci_u32_e64 v5, null, s13, v8, vcc_lo
	v_mov_b32_e32 v7, 0
	v_mov_b32_e32 v8, 0
	;; [unrolled: 1-line block ×3, first 2 shown]
	s_mov_b64 s[0:1], 0
.LBB404_2:                              ; =>This Inner Loop Header: Depth=1
	global_load_ushort v14, v[4:5], off
	global_load_ushort v15, v[2:3], off
	s_add_u32 s0, s0, 8
	s_addc_u32 s1, s1, 0
	v_add_co_u32 v2, vcc_lo, v2, 16
	v_cmp_lt_i64_e64 s2, s[0:1], s[20:21]
	v_add_co_ci_u32_e64 v3, null, 0, v3, vcc_lo
	v_add_co_u32 v4, vcc_lo, v4, 16
	v_add_co_ci_u32_e64 v5, null, 0, v5, vcc_lo
	s_and_b32 vcc_lo, exec_lo, s2
	s_waitcnt vmcnt(1)
	v_cvt_f32_f16_e32 v14, v14
	s_waitcnt vmcnt(0)
	v_cvt_f32_f16_e32 v15, v15
	ds_write_b32 v11, v14
	ds_write_b32 v12, v15
	s_waitcnt lgkmcnt(0)
	s_barrier
	buffer_gl0_inv
	ds_read_b128 v[14:17], v13
	ds_read2_b32 v[30:31], v10 offset1:16
	ds_read_b128 v[18:21], v13 offset:512
	ds_read2_b32 v[32:33], v10 offset0:32 offset1:48
	ds_read2_b32 v[34:35], v10 offset0:64 offset1:80
	ds_read_b128 v[22:25], v13 offset:16
	ds_read2_b32 v[36:37], v10 offset0:96 offset1:112
	ds_read2_b32 v[38:39], v10 offset0:128 offset1:144
	;; [unrolled: 3-line block ×3, first 2 shown]
	ds_read2_b32 v[44:45], v10 offset0:224 offset1:240
	s_waitcnt lgkmcnt(0)
	s_barrier
	buffer_gl0_inv
	v_fmac_f32_e32 v9, v30, v14
	v_fmac_f32_e32 v8, v31, v14
	;; [unrolled: 1-line block ×32, first 2 shown]
	s_cbranch_vccnz .LBB404_2
.LBB404_3:
	s_clause 0x3
	s_load_dwordx4 s[0:3], s[4:5], 0x78
	s_load_dword s9, s[4:5], 0x50
	s_load_dwordx8 s[12:19], s[4:5], 0x58
	s_load_dword s4, s[4:5], 0x18
	v_add_co_u32 v3, s5, s6, v0
	v_add_co_ci_u32_e64 v4, null, s7, 0, s5
	v_add_co_u32 v2, s5, s10, v1
	v_add_co_ci_u32_e64 v5, null, s11, 0, s5
	v_lshlrev_b64 v[0:1], 2, v[3:4]
	s_waitcnt lgkmcnt(0)
	s_mul_i32 s3, s3, s8
	s_mul_hi_u32 s5, s2, s8
	v_mul_lo_u32 v3, v5, s0
	v_mul_lo_u32 v4, v2, s1
	s_mul_i32 s2, s2, s8
	v_cmp_neq_f32_e64 s6, s9, 0
	s_add_i32 s3, s5, s3
	s_mov_b32 s5, 0
	s_lshl_b64 s[2:3], s[2:3], 2
	s_add_u32 s2, s18, s2
	s_addc_u32 s3, s19, s3
	s_and_b32 vcc_lo, exec_lo, s6
	s_cbranch_vccnz .LBB404_7
; %bb.4:
	v_mad_u64_u32 v[10:11], null, v2, s0, 0
	s_lshl_b64 s[6:7], s[0:1], 6
	v_mul_f32_e32 v14, s4, v9
	v_mul_f32_e32 v15, s4, v8
	;; [unrolled: 1-line block ×4, first 2 shown]
	v_add3_u32 v11, v11, v4, v3
	v_lshlrev_b64 v[10:11], 2, v[10:11]
	v_add_co_u32 v10, vcc_lo, s2, v10
	v_add_co_ci_u32_e64 v11, null, s3, v11, vcc_lo
	v_add_co_u32 v12, vcc_lo, v10, s6
	v_add_co_ci_u32_e64 v13, null, s7, v11, vcc_lo
	;; [unrolled: 2-line block ×4, first 2 shown]
	global_store_dword v[10:11], v14, off
	global_store_dword v[10:11], v15, off offset:64
	global_store_dword v[12:13], v16, off
	global_store_dword v[12:13], v17, off offset:64
	s_andn2_b32 vcc_lo, exec_lo, s5
	s_cbranch_vccnz .LBB404_6
.LBB404_5:
	v_mul_lo_u32 v5, v5, s14
	v_mul_lo_u32 v12, v2, s15
	v_mad_u64_u32 v[10:11], null, v2, s14, 0
	s_mul_i32 s5, s17, s8
	s_mul_hi_u32 s7, s16, s8
	s_mul_i32 s6, s16, s8
	s_add_i32 s7, s7, s5
	s_lshl_b64 s[6:7], s[6:7], 2
	v_add3_u32 v11, v11, v12, v5
	s_add_u32 s5, s12, s6
	s_addc_u32 s6, s13, s7
	v_mad_u64_u32 v[12:13], null, v2, s0, 0
	v_lshlrev_b64 v[10:11], 2, v[10:11]
	s_lshl_b64 s[0:1], s[0:1], 6
	v_add3_u32 v13, v13, v4, v3
	v_add_co_u32 v5, vcc_lo, s5, v10
	v_add_co_ci_u32_e64 v14, null, s6, v11, vcc_lo
	v_lshlrev_b64 v[2:3], 2, v[12:13]
	v_add_co_u32 v10, vcc_lo, v5, v0
	v_add_co_ci_u32_e64 v11, null, v14, v1, vcc_lo
	v_add_co_u32 v12, vcc_lo, s2, v2
	global_load_dword v15, v[10:11], off
	v_add_co_ci_u32_e64 v13, null, s3, v3, vcc_lo
	v_add_co_u32 v2, vcc_lo, v12, v0
	s_lshl_b64 s[2:3], s[14:15], 6
	v_add_co_ci_u32_e64 v3, null, v13, v1, vcc_lo
	s_waitcnt vmcnt(0)
	v_mul_f32_e32 v4, s9, v15
	v_fmac_f32_e32 v4, s4, v9
	global_store_dword v[2:3], v4, off
	global_load_dword v4, v[10:11], off offset:64
	s_waitcnt vmcnt(0)
	v_mul_f32_e32 v9, s9, v4
	v_add_co_u32 v4, vcc_lo, v5, s2
	v_add_co_ci_u32_e64 v5, null, s3, v14, vcc_lo
	v_fmac_f32_e32 v9, s4, v8
	v_add_co_u32 v4, vcc_lo, v4, v0
	v_add_co_ci_u32_e64 v5, null, v5, v1, vcc_lo
	global_store_dword v[2:3], v9, off offset:64
	v_add_co_u32 v3, vcc_lo, v12, s0
	global_load_dword v2, v[4:5], off
	v_add_co_ci_u32_e64 v8, null, s1, v13, vcc_lo
	v_add_co_u32 v0, vcc_lo, v3, v0
	v_add_co_ci_u32_e64 v1, null, v8, v1, vcc_lo
	s_waitcnt vmcnt(0)
	v_mul_f32_e32 v2, s9, v2
	v_fmac_f32_e32 v2, s4, v7
	global_store_dword v[0:1], v2, off
	global_load_dword v2, v[4:5], off offset:64
	s_waitcnt vmcnt(0)
	v_mul_f32_e32 v2, s9, v2
	v_fmac_f32_e32 v2, s4, v6
	global_store_dword v[0:1], v2, off offset:64
.LBB404_6:
	s_endpgm
.LBB404_7:
	s_branch .LBB404_5
	.section	.rodata,"a",@progbits
	.p2align	6, 0x0
	.amdhsa_kernel _ZN12_GLOBAL__N_127rocblas_gemm_batched_kernelIfLi16ELi16ELi32ELi32ELi8ELi32ELi8ELi8ELi32ELc67ELc78EKDF16_KffEEvlllT_PT11_llS5_llS3_PT12_llPT13_lli
		.amdhsa_group_segment_fixed_size 2048
		.amdhsa_private_segment_fixed_size 0
		.amdhsa_kernarg_size 140
		.amdhsa_user_sgpr_count 6
		.amdhsa_user_sgpr_private_segment_buffer 1
		.amdhsa_user_sgpr_dispatch_ptr 0
		.amdhsa_user_sgpr_queue_ptr 0
		.amdhsa_user_sgpr_kernarg_segment_ptr 1
		.amdhsa_user_sgpr_dispatch_id 0
		.amdhsa_user_sgpr_flat_scratch_init 0
		.amdhsa_user_sgpr_private_segment_size 0
		.amdhsa_wavefront_size32 1
		.amdhsa_uses_dynamic_stack 0
		.amdhsa_system_sgpr_private_segment_wavefront_offset 0
		.amdhsa_system_sgpr_workgroup_id_x 1
		.amdhsa_system_sgpr_workgroup_id_y 1
		.amdhsa_system_sgpr_workgroup_id_z 1
		.amdhsa_system_sgpr_workgroup_info 0
		.amdhsa_system_vgpr_workitem_id 1
		.amdhsa_next_free_vgpr 46
		.amdhsa_next_free_sgpr 22
		.amdhsa_reserve_vcc 1
		.amdhsa_reserve_flat_scratch 0
		.amdhsa_float_round_mode_32 0
		.amdhsa_float_round_mode_16_64 0
		.amdhsa_float_denorm_mode_32 3
		.amdhsa_float_denorm_mode_16_64 3
		.amdhsa_dx10_clamp 1
		.amdhsa_ieee_mode 1
		.amdhsa_fp16_overflow 0
		.amdhsa_workgroup_processor_mode 1
		.amdhsa_memory_ordered 1
		.amdhsa_forward_progress 1
		.amdhsa_shared_vgpr_count 0
		.amdhsa_exception_fp_ieee_invalid_op 0
		.amdhsa_exception_fp_denorm_src 0
		.amdhsa_exception_fp_ieee_div_zero 0
		.amdhsa_exception_fp_ieee_overflow 0
		.amdhsa_exception_fp_ieee_underflow 0
		.amdhsa_exception_fp_ieee_inexact 0
		.amdhsa_exception_int_div_zero 0
	.end_amdhsa_kernel
	.section	.text._ZN12_GLOBAL__N_127rocblas_gemm_batched_kernelIfLi16ELi16ELi32ELi32ELi8ELi32ELi8ELi8ELi32ELc67ELc78EKDF16_KffEEvlllT_PT11_llS5_llS3_PT12_llPT13_lli,"axG",@progbits,_ZN12_GLOBAL__N_127rocblas_gemm_batched_kernelIfLi16ELi16ELi32ELi32ELi8ELi32ELi8ELi8ELi32ELc67ELc78EKDF16_KffEEvlllT_PT11_llS5_llS3_PT12_llPT13_lli,comdat
.Lfunc_end404:
	.size	_ZN12_GLOBAL__N_127rocblas_gemm_batched_kernelIfLi16ELi16ELi32ELi32ELi8ELi32ELi8ELi8ELi32ELc67ELc78EKDF16_KffEEvlllT_PT11_llS5_llS3_PT12_llPT13_lli, .Lfunc_end404-_ZN12_GLOBAL__N_127rocblas_gemm_batched_kernelIfLi16ELi16ELi32ELi32ELi8ELi32ELi8ELi8ELi32ELc67ELc78EKDF16_KffEEvlllT_PT11_llS5_llS3_PT12_llPT13_lli
                                        ; -- End function
	.set _ZN12_GLOBAL__N_127rocblas_gemm_batched_kernelIfLi16ELi16ELi32ELi32ELi8ELi32ELi8ELi8ELi32ELc67ELc78EKDF16_KffEEvlllT_PT11_llS5_llS3_PT12_llPT13_lli.num_vgpr, 46
	.set _ZN12_GLOBAL__N_127rocblas_gemm_batched_kernelIfLi16ELi16ELi32ELi32ELi8ELi32ELi8ELi8ELi32ELc67ELc78EKDF16_KffEEvlllT_PT11_llS5_llS3_PT12_llPT13_lli.num_agpr, 0
	.set _ZN12_GLOBAL__N_127rocblas_gemm_batched_kernelIfLi16ELi16ELi32ELi32ELi8ELi32ELi8ELi8ELi32ELc67ELc78EKDF16_KffEEvlllT_PT11_llS5_llS3_PT12_llPT13_lli.numbered_sgpr, 22
	.set _ZN12_GLOBAL__N_127rocblas_gemm_batched_kernelIfLi16ELi16ELi32ELi32ELi8ELi32ELi8ELi8ELi32ELc67ELc78EKDF16_KffEEvlllT_PT11_llS5_llS3_PT12_llPT13_lli.num_named_barrier, 0
	.set _ZN12_GLOBAL__N_127rocblas_gemm_batched_kernelIfLi16ELi16ELi32ELi32ELi8ELi32ELi8ELi8ELi32ELc67ELc78EKDF16_KffEEvlllT_PT11_llS5_llS3_PT12_llPT13_lli.private_seg_size, 0
	.set _ZN12_GLOBAL__N_127rocblas_gemm_batched_kernelIfLi16ELi16ELi32ELi32ELi8ELi32ELi8ELi8ELi32ELc67ELc78EKDF16_KffEEvlllT_PT11_llS5_llS3_PT12_llPT13_lli.uses_vcc, 1
	.set _ZN12_GLOBAL__N_127rocblas_gemm_batched_kernelIfLi16ELi16ELi32ELi32ELi8ELi32ELi8ELi8ELi32ELc67ELc78EKDF16_KffEEvlllT_PT11_llS5_llS3_PT12_llPT13_lli.uses_flat_scratch, 0
	.set _ZN12_GLOBAL__N_127rocblas_gemm_batched_kernelIfLi16ELi16ELi32ELi32ELi8ELi32ELi8ELi8ELi32ELc67ELc78EKDF16_KffEEvlllT_PT11_llS5_llS3_PT12_llPT13_lli.has_dyn_sized_stack, 0
	.set _ZN12_GLOBAL__N_127rocblas_gemm_batched_kernelIfLi16ELi16ELi32ELi32ELi8ELi32ELi8ELi8ELi32ELc67ELc78EKDF16_KffEEvlllT_PT11_llS5_llS3_PT12_llPT13_lli.has_recursion, 0
	.set _ZN12_GLOBAL__N_127rocblas_gemm_batched_kernelIfLi16ELi16ELi32ELi32ELi8ELi32ELi8ELi8ELi32ELc67ELc78EKDF16_KffEEvlllT_PT11_llS5_llS3_PT12_llPT13_lli.has_indirect_call, 0
	.section	.AMDGPU.csdata,"",@progbits
; Kernel info:
; codeLenInByte = 1432
; TotalNumSgprs: 24
; NumVgprs: 46
; ScratchSize: 0
; MemoryBound: 0
; FloatMode: 240
; IeeeMode: 1
; LDSByteSize: 2048 bytes/workgroup (compile time only)
; SGPRBlocks: 0
; VGPRBlocks: 5
; NumSGPRsForWavesPerEU: 24
; NumVGPRsForWavesPerEU: 46
; Occupancy: 16
; WaveLimiterHint : 0
; COMPUTE_PGM_RSRC2:SCRATCH_EN: 0
; COMPUTE_PGM_RSRC2:USER_SGPR: 6
; COMPUTE_PGM_RSRC2:TRAP_HANDLER: 0
; COMPUTE_PGM_RSRC2:TGID_X_EN: 1
; COMPUTE_PGM_RSRC2:TGID_Y_EN: 1
; COMPUTE_PGM_RSRC2:TGID_Z_EN: 1
; COMPUTE_PGM_RSRC2:TIDIG_COMP_CNT: 1
	.section	.text._ZN12_GLOBAL__N_127rocblas_gemm_batched_kernelIfLi16ELi16ELi32ELi32ELi8ELi32ELi8ELi8ELi32ELc67ELc84EKDF16_KffEEvlllT_PT11_llS5_llS3_PT12_llPT13_lli,"axG",@progbits,_ZN12_GLOBAL__N_127rocblas_gemm_batched_kernelIfLi16ELi16ELi32ELi32ELi8ELi32ELi8ELi8ELi32ELc67ELc84EKDF16_KffEEvlllT_PT11_llS5_llS3_PT12_llPT13_lli,comdat
	.globl	_ZN12_GLOBAL__N_127rocblas_gemm_batched_kernelIfLi16ELi16ELi32ELi32ELi8ELi32ELi8ELi8ELi32ELc67ELc84EKDF16_KffEEvlllT_PT11_llS5_llS3_PT12_llPT13_lli ; -- Begin function _ZN12_GLOBAL__N_127rocblas_gemm_batched_kernelIfLi16ELi16ELi32ELi32ELi8ELi32ELi8ELi8ELi32ELc67ELc84EKDF16_KffEEvlllT_PT11_llS5_llS3_PT12_llPT13_lli
	.p2align	8
	.type	_ZN12_GLOBAL__N_127rocblas_gemm_batched_kernelIfLi16ELi16ELi32ELi32ELi8ELi32ELi8ELi8ELi32ELc67ELc84EKDF16_KffEEvlllT_PT11_llS5_llS3_PT12_llPT13_lli,@function
_ZN12_GLOBAL__N_127rocblas_gemm_batched_kernelIfLi16ELi16ELi32ELi32ELi8ELi32ELi8ELi8ELi32ELc67ELc84EKDF16_KffEEvlllT_PT11_llS5_llS3_PT12_llPT13_lli: ; @_ZN12_GLOBAL__N_127rocblas_gemm_batched_kernelIfLi16ELi16ELi32ELi32ELi8ELi32ELi8ELi8ELi32ELc67ELc84EKDF16_KffEEvlllT_PT11_llS5_llS3_PT12_llPT13_lli
; %bb.0:
	s_load_dwordx2 s[20:21], s[4:5], 0x10
	s_mov_b32 s0, s7
	v_mov_b32_e32 v9, 0
	v_mov_b32_e32 v8, 0
	;; [unrolled: 1-line block ×4, first 2 shown]
	s_ashr_i32 s7, s6, 31
	s_ashr_i32 s1, s0, 31
	s_lshl_b64 s[6:7], s[6:7], 5
	s_lshl_b64 s[10:11], s[0:1], 5
	s_waitcnt lgkmcnt(0)
	v_cmp_lt_i64_e64 s2, s[20:21], 1
	s_and_b32 vcc_lo, exec_lo, s2
	s_cbranch_vccnz .LBB405_3
; %bb.1:
	s_clause 0x1
	s_load_dwordx8 s[12:19], s[4:5], 0x20
	s_load_dwordx4 s[0:3], s[4:5], 0x40
	v_lshl_add_u32 v4, v1, 4, v0
	v_and_b32_e32 v8, 7, v0
	v_mov_b32_e32 v3, 0
	v_lshlrev_b32_e32 v10, 2, v0
	v_lshl_add_u32 v11, v1, 5, 0x400
	v_and_b32_e32 v5, 31, v4
	v_lshrrev_b32_e32 v2, 3, v4
	v_lshlrev_b32_e32 v6, 2, v8
	v_lshrrev_b32_e32 v14, 5, v4
	v_lshlrev_b32_e32 v4, 2, v5
	v_lshl_or_b32 v9, v2, 5, v6
	v_add_co_u32 v6, s9, s6, v5
	v_add_co_ci_u32_e64 v7, null, s7, 0, s9
	v_lshl_or_b32 v12, v14, 7, v4
	s_waitcnt lgkmcnt(0)
	v_mul_lo_u32 v15, s15, v6
	v_mad_u64_u32 v[4:5], null, s0, v8, v[2:3]
	v_mul_lo_u32 v16, s14, v7
	v_mad_u64_u32 v[6:7], null, s14, v6, 0
	s_mul_i32 s3, s3, s8
	s_mul_hi_u32 s9, s2, s8
	s_mul_i32 s2, s2, s8
	v_mov_b32_e32 v2, v5
	s_add_i32 s3, s9, s3
	v_add_nc_u32_e32 v13, 0x400, v9
	v_add3_u32 v7, v7, v16, v15
	s_lshl_b64 s[2:3], s[2:3], 1
	v_mad_u64_u32 v[8:9], null, s1, v8, v[2:3]
	s_add_u32 s9, s18, s2
	s_addc_u32 s14, s19, s3
	s_mul_i32 s2, s17, s8
	s_mul_hi_u32 s3, s16, s8
	v_lshlrev_b64 v[5:6], 1, v[6:7]
	v_add_co_u32 v7, vcc_lo, v4, s10
	s_add_i32 s3, s3, s2
	s_mul_i32 s2, s16, s8
	v_add_co_ci_u32_e64 v8, null, s11, v8, vcc_lo
	s_lshl_b64 s[2:3], s[2:3], 1
	v_lshlrev_b32_e32 v2, 1, v14
	v_add_co_u32 v9, vcc_lo, v5, s2
	v_add_co_ci_u32_e64 v6, null, s3, v6, vcc_lo
	v_lshlrev_b64 v[4:5], 1, v[7:8]
	v_add_co_u32 v2, vcc_lo, v9, v2
	v_add_co_ci_u32_e64 v7, null, 0, v6, vcc_lo
	v_mov_b32_e32 v8, v3
	v_add_co_u32 v4, vcc_lo, s9, v4
	v_add_co_ci_u32_e64 v5, null, s14, v5, vcc_lo
	v_add_co_u32 v6, vcc_lo, s12, v2
	v_add_co_ci_u32_e64 v7, null, s13, v7, vcc_lo
	v_mov_b32_e32 v2, v3
	v_mov_b32_e32 v9, v3
	s_lshl_b64 s[0:1], s[0:1], 4
	s_mov_b64 s[2:3], 0
.LBB405_2:                              ; =>This Inner Loop Header: Depth=1
	global_load_ushort v14, v[6:7], off
	global_load_ushort v15, v[4:5], off
	s_add_u32 s2, s2, 8
	s_addc_u32 s3, s3, 0
	v_add_co_u32 v4, vcc_lo, v4, s0
	v_cmp_lt_i64_e64 s9, s[2:3], s[20:21]
	v_add_co_ci_u32_e64 v5, null, s1, v5, vcc_lo
	v_add_co_u32 v6, vcc_lo, v6, 16
	v_add_co_ci_u32_e64 v7, null, 0, v7, vcc_lo
	s_and_b32 vcc_lo, exec_lo, s9
	s_waitcnt vmcnt(1)
	v_cvt_f32_f16_e32 v14, v14
	s_waitcnt vmcnt(0)
	v_cvt_f32_f16_e32 v15, v15
	ds_write_b32 v12, v14
	ds_write_b32 v13, v15
	s_waitcnt lgkmcnt(0)
	s_barrier
	buffer_gl0_inv
	ds_read_b128 v[14:17], v11
	ds_read2_b32 v[30:31], v10 offset1:16
	ds_read_b128 v[18:21], v11 offset:512
	ds_read2_b32 v[32:33], v10 offset0:32 offset1:48
	ds_read2_b32 v[34:35], v10 offset0:64 offset1:80
	ds_read_b128 v[22:25], v11 offset:16
	ds_read2_b32 v[36:37], v10 offset0:96 offset1:112
	ds_read2_b32 v[38:39], v10 offset0:128 offset1:144
	ds_read_b128 v[26:29], v11 offset:528
	ds_read2_b32 v[40:41], v10 offset0:160 offset1:176
	ds_read2_b32 v[42:43], v10 offset0:192 offset1:208
	ds_read2_b32 v[44:45], v10 offset0:224 offset1:240
	s_waitcnt lgkmcnt(0)
	s_barrier
	buffer_gl0_inv
	v_fmac_f32_e32 v9, v30, v14
	v_fmac_f32_e32 v8, v31, v14
	v_fmac_f32_e32 v2, v30, v18
	v_fmac_f32_e32 v3, v31, v18
	v_fmac_f32_e32 v9, v32, v15
	v_fmac_f32_e32 v8, v33, v15
	v_fmac_f32_e32 v2, v32, v19
	v_fmac_f32_e32 v3, v33, v19
	v_fmac_f32_e32 v9, v34, v16
	v_fmac_f32_e32 v8, v35, v16
	v_fmac_f32_e32 v2, v34, v20
	v_fmac_f32_e32 v3, v35, v20
	v_fmac_f32_e32 v9, v36, v17
	v_fmac_f32_e32 v8, v37, v17
	v_fmac_f32_e32 v2, v36, v21
	v_fmac_f32_e32 v3, v37, v21
	v_fmac_f32_e32 v9, v38, v22
	v_fmac_f32_e32 v8, v39, v22
	v_fmac_f32_e32 v2, v38, v26
	v_fmac_f32_e32 v3, v39, v26
	v_fmac_f32_e32 v9, v40, v23
	v_fmac_f32_e32 v8, v41, v23
	v_fmac_f32_e32 v2, v40, v27
	v_fmac_f32_e32 v3, v41, v27
	v_fmac_f32_e32 v9, v42, v24
	v_fmac_f32_e32 v8, v43, v24
	v_fmac_f32_e32 v2, v42, v28
	v_fmac_f32_e32 v3, v43, v28
	v_fmac_f32_e32 v9, v44, v25
	v_fmac_f32_e32 v8, v45, v25
	v_fmac_f32_e32 v2, v44, v29
	v_fmac_f32_e32 v3, v45, v29
	s_cbranch_vccnz .LBB405_2
.LBB405_3:
	s_clause 0x3
	s_load_dwordx4 s[0:3], s[4:5], 0x78
	s_load_dword s9, s[4:5], 0x50
	s_load_dwordx8 s[12:19], s[4:5], 0x58
	s_load_dword s4, s[4:5], 0x18
	v_add_co_u32 v5, s5, s6, v0
	v_add_co_ci_u32_e64 v6, null, s7, 0, s5
	v_add_co_u32 v4, s5, s10, v1
	v_add_co_ci_u32_e64 v7, null, s11, 0, s5
	v_lshlrev_b64 v[0:1], 2, v[5:6]
	s_waitcnt lgkmcnt(0)
	s_mul_i32 s3, s3, s8
	s_mul_hi_u32 s5, s2, s8
	v_mul_lo_u32 v5, v7, s0
	v_mul_lo_u32 v6, v4, s1
	s_mul_i32 s2, s2, s8
	v_cmp_neq_f32_e64 s6, s9, 0
	s_add_i32 s3, s5, s3
	s_mov_b32 s5, 0
	s_lshl_b64 s[2:3], s[2:3], 2
	s_add_u32 s2, s18, s2
	s_addc_u32 s3, s19, s3
	s_and_b32 vcc_lo, exec_lo, s6
	s_cbranch_vccnz .LBB405_7
; %bb.4:
	v_mad_u64_u32 v[10:11], null, v4, s0, 0
	s_lshl_b64 s[6:7], s[0:1], 6
	v_mul_f32_e32 v14, s4, v9
	v_mul_f32_e32 v15, s4, v8
	;; [unrolled: 1-line block ×4, first 2 shown]
	v_add3_u32 v11, v11, v6, v5
	v_lshlrev_b64 v[10:11], 2, v[10:11]
	v_add_co_u32 v10, vcc_lo, s2, v10
	v_add_co_ci_u32_e64 v11, null, s3, v11, vcc_lo
	v_add_co_u32 v12, vcc_lo, v10, s6
	v_add_co_ci_u32_e64 v13, null, s7, v11, vcc_lo
	;; [unrolled: 2-line block ×4, first 2 shown]
	global_store_dword v[10:11], v14, off
	global_store_dword v[10:11], v15, off offset:64
	global_store_dword v[12:13], v16, off
	global_store_dword v[12:13], v17, off offset:64
	s_andn2_b32 vcc_lo, exec_lo, s5
	s_cbranch_vccnz .LBB405_6
.LBB405_5:
	v_mul_lo_u32 v7, v7, s14
	v_mul_lo_u32 v12, v4, s15
	v_mad_u64_u32 v[10:11], null, v4, s14, 0
	s_mul_i32 s5, s17, s8
	s_mul_hi_u32 s7, s16, s8
	s_mul_i32 s6, s16, s8
	s_add_i32 s7, s7, s5
	s_lshl_b64 s[6:7], s[6:7], 2
	v_add3_u32 v11, v11, v12, v7
	s_add_u32 s5, s12, s6
	s_addc_u32 s6, s13, s7
	v_mad_u64_u32 v[12:13], null, v4, s0, 0
	v_lshlrev_b64 v[10:11], 2, v[10:11]
	s_lshl_b64 s[0:1], s[0:1], 6
	v_add3_u32 v13, v13, v6, v5
	v_add_co_u32 v7, vcc_lo, s5, v10
	v_add_co_ci_u32_e64 v14, null, s6, v11, vcc_lo
	v_lshlrev_b64 v[4:5], 2, v[12:13]
	v_add_co_u32 v10, vcc_lo, v7, v0
	v_add_co_ci_u32_e64 v11, null, v14, v1, vcc_lo
	v_add_co_u32 v12, vcc_lo, s2, v4
	global_load_dword v15, v[10:11], off
	v_add_co_ci_u32_e64 v13, null, s3, v5, vcc_lo
	v_add_co_u32 v4, vcc_lo, v12, v0
	s_lshl_b64 s[2:3], s[14:15], 6
	v_add_co_ci_u32_e64 v5, null, v13, v1, vcc_lo
	s_waitcnt vmcnt(0)
	v_mul_f32_e32 v6, s9, v15
	v_fmac_f32_e32 v6, s4, v9
	global_store_dword v[4:5], v6, off
	global_load_dword v6, v[10:11], off offset:64
	s_waitcnt vmcnt(0)
	v_mul_f32_e32 v9, s9, v6
	v_add_co_u32 v6, vcc_lo, v7, s2
	v_add_co_ci_u32_e64 v7, null, s3, v14, vcc_lo
	v_fmac_f32_e32 v9, s4, v8
	v_add_co_u32 v6, vcc_lo, v6, v0
	v_add_co_ci_u32_e64 v7, null, v7, v1, vcc_lo
	global_store_dword v[4:5], v9, off offset:64
	v_add_co_u32 v5, vcc_lo, v12, s0
	global_load_dword v4, v[6:7], off
	v_add_co_ci_u32_e64 v8, null, s1, v13, vcc_lo
	v_add_co_u32 v0, vcc_lo, v5, v0
	v_add_co_ci_u32_e64 v1, null, v8, v1, vcc_lo
	s_waitcnt vmcnt(0)
	v_mul_f32_e32 v4, s9, v4
	v_fmac_f32_e32 v4, s4, v2
	global_store_dword v[0:1], v4, off
	global_load_dword v2, v[6:7], off offset:64
	s_waitcnt vmcnt(0)
	v_mul_f32_e32 v2, s9, v2
	v_fmac_f32_e32 v2, s4, v3
	global_store_dword v[0:1], v2, off offset:64
.LBB405_6:
	s_endpgm
.LBB405_7:
	s_branch .LBB405_5
	.section	.rodata,"a",@progbits
	.p2align	6, 0x0
	.amdhsa_kernel _ZN12_GLOBAL__N_127rocblas_gemm_batched_kernelIfLi16ELi16ELi32ELi32ELi8ELi32ELi8ELi8ELi32ELc67ELc84EKDF16_KffEEvlllT_PT11_llS5_llS3_PT12_llPT13_lli
		.amdhsa_group_segment_fixed_size 2048
		.amdhsa_private_segment_fixed_size 0
		.amdhsa_kernarg_size 140
		.amdhsa_user_sgpr_count 6
		.amdhsa_user_sgpr_private_segment_buffer 1
		.amdhsa_user_sgpr_dispatch_ptr 0
		.amdhsa_user_sgpr_queue_ptr 0
		.amdhsa_user_sgpr_kernarg_segment_ptr 1
		.amdhsa_user_sgpr_dispatch_id 0
		.amdhsa_user_sgpr_flat_scratch_init 0
		.amdhsa_user_sgpr_private_segment_size 0
		.amdhsa_wavefront_size32 1
		.amdhsa_uses_dynamic_stack 0
		.amdhsa_system_sgpr_private_segment_wavefront_offset 0
		.amdhsa_system_sgpr_workgroup_id_x 1
		.amdhsa_system_sgpr_workgroup_id_y 1
		.amdhsa_system_sgpr_workgroup_id_z 1
		.amdhsa_system_sgpr_workgroup_info 0
		.amdhsa_system_vgpr_workitem_id 1
		.amdhsa_next_free_vgpr 46
		.amdhsa_next_free_sgpr 22
		.amdhsa_reserve_vcc 1
		.amdhsa_reserve_flat_scratch 0
		.amdhsa_float_round_mode_32 0
		.amdhsa_float_round_mode_16_64 0
		.amdhsa_float_denorm_mode_32 3
		.amdhsa_float_denorm_mode_16_64 3
		.amdhsa_dx10_clamp 1
		.amdhsa_ieee_mode 1
		.amdhsa_fp16_overflow 0
		.amdhsa_workgroup_processor_mode 1
		.amdhsa_memory_ordered 1
		.amdhsa_forward_progress 1
		.amdhsa_shared_vgpr_count 0
		.amdhsa_exception_fp_ieee_invalid_op 0
		.amdhsa_exception_fp_denorm_src 0
		.amdhsa_exception_fp_ieee_div_zero 0
		.amdhsa_exception_fp_ieee_overflow 0
		.amdhsa_exception_fp_ieee_underflow 0
		.amdhsa_exception_fp_ieee_inexact 0
		.amdhsa_exception_int_div_zero 0
	.end_amdhsa_kernel
	.section	.text._ZN12_GLOBAL__N_127rocblas_gemm_batched_kernelIfLi16ELi16ELi32ELi32ELi8ELi32ELi8ELi8ELi32ELc67ELc84EKDF16_KffEEvlllT_PT11_llS5_llS3_PT12_llPT13_lli,"axG",@progbits,_ZN12_GLOBAL__N_127rocblas_gemm_batched_kernelIfLi16ELi16ELi32ELi32ELi8ELi32ELi8ELi8ELi32ELc67ELc84EKDF16_KffEEvlllT_PT11_llS5_llS3_PT12_llPT13_lli,comdat
.Lfunc_end405:
	.size	_ZN12_GLOBAL__N_127rocblas_gemm_batched_kernelIfLi16ELi16ELi32ELi32ELi8ELi32ELi8ELi8ELi32ELc67ELc84EKDF16_KffEEvlllT_PT11_llS5_llS3_PT12_llPT13_lli, .Lfunc_end405-_ZN12_GLOBAL__N_127rocblas_gemm_batched_kernelIfLi16ELi16ELi32ELi32ELi8ELi32ELi8ELi8ELi32ELc67ELc84EKDF16_KffEEvlllT_PT11_llS5_llS3_PT12_llPT13_lli
                                        ; -- End function
	.set _ZN12_GLOBAL__N_127rocblas_gemm_batched_kernelIfLi16ELi16ELi32ELi32ELi8ELi32ELi8ELi8ELi32ELc67ELc84EKDF16_KffEEvlllT_PT11_llS5_llS3_PT12_llPT13_lli.num_vgpr, 46
	.set _ZN12_GLOBAL__N_127rocblas_gemm_batched_kernelIfLi16ELi16ELi32ELi32ELi8ELi32ELi8ELi8ELi32ELc67ELc84EKDF16_KffEEvlllT_PT11_llS5_llS3_PT12_llPT13_lli.num_agpr, 0
	.set _ZN12_GLOBAL__N_127rocblas_gemm_batched_kernelIfLi16ELi16ELi32ELi32ELi8ELi32ELi8ELi8ELi32ELc67ELc84EKDF16_KffEEvlllT_PT11_llS5_llS3_PT12_llPT13_lli.numbered_sgpr, 22
	.set _ZN12_GLOBAL__N_127rocblas_gemm_batched_kernelIfLi16ELi16ELi32ELi32ELi8ELi32ELi8ELi8ELi32ELc67ELc84EKDF16_KffEEvlllT_PT11_llS5_llS3_PT12_llPT13_lli.num_named_barrier, 0
	.set _ZN12_GLOBAL__N_127rocblas_gemm_batched_kernelIfLi16ELi16ELi32ELi32ELi8ELi32ELi8ELi8ELi32ELc67ELc84EKDF16_KffEEvlllT_PT11_llS5_llS3_PT12_llPT13_lli.private_seg_size, 0
	.set _ZN12_GLOBAL__N_127rocblas_gemm_batched_kernelIfLi16ELi16ELi32ELi32ELi8ELi32ELi8ELi8ELi32ELc67ELc84EKDF16_KffEEvlllT_PT11_llS5_llS3_PT12_llPT13_lli.uses_vcc, 1
	.set _ZN12_GLOBAL__N_127rocblas_gemm_batched_kernelIfLi16ELi16ELi32ELi32ELi8ELi32ELi8ELi8ELi32ELc67ELc84EKDF16_KffEEvlllT_PT11_llS5_llS3_PT12_llPT13_lli.uses_flat_scratch, 0
	.set _ZN12_GLOBAL__N_127rocblas_gemm_batched_kernelIfLi16ELi16ELi32ELi32ELi8ELi32ELi8ELi8ELi32ELc67ELc84EKDF16_KffEEvlllT_PT11_llS5_llS3_PT12_llPT13_lli.has_dyn_sized_stack, 0
	.set _ZN12_GLOBAL__N_127rocblas_gemm_batched_kernelIfLi16ELi16ELi32ELi32ELi8ELi32ELi8ELi8ELi32ELc67ELc84EKDF16_KffEEvlllT_PT11_llS5_llS3_PT12_llPT13_lli.has_recursion, 0
	.set _ZN12_GLOBAL__N_127rocblas_gemm_batched_kernelIfLi16ELi16ELi32ELi32ELi8ELi32ELi8ELi8ELi32ELc67ELc84EKDF16_KffEEvlllT_PT11_llS5_llS3_PT12_llPT13_lli.has_indirect_call, 0
	.section	.AMDGPU.csdata,"",@progbits
; Kernel info:
; codeLenInByte = 1400
; TotalNumSgprs: 24
; NumVgprs: 46
; ScratchSize: 0
; MemoryBound: 0
; FloatMode: 240
; IeeeMode: 1
; LDSByteSize: 2048 bytes/workgroup (compile time only)
; SGPRBlocks: 0
; VGPRBlocks: 5
; NumSGPRsForWavesPerEU: 24
; NumVGPRsForWavesPerEU: 46
; Occupancy: 16
; WaveLimiterHint : 0
; COMPUTE_PGM_RSRC2:SCRATCH_EN: 0
; COMPUTE_PGM_RSRC2:USER_SGPR: 6
; COMPUTE_PGM_RSRC2:TRAP_HANDLER: 0
; COMPUTE_PGM_RSRC2:TGID_X_EN: 1
; COMPUTE_PGM_RSRC2:TGID_Y_EN: 1
; COMPUTE_PGM_RSRC2:TGID_Z_EN: 1
; COMPUTE_PGM_RSRC2:TIDIG_COMP_CNT: 1
	.section	.text._ZN12_GLOBAL__N_127rocblas_gemm_batched_kernelIfLi16ELi16ELi32ELi32ELi8ELi32ELi8ELi8ELi32ELc78ELc67EKDF16_KffEEvlllT_PT11_llS5_llS3_PT12_llPT13_lli,"axG",@progbits,_ZN12_GLOBAL__N_127rocblas_gemm_batched_kernelIfLi16ELi16ELi32ELi32ELi8ELi32ELi8ELi8ELi32ELc78ELc67EKDF16_KffEEvlllT_PT11_llS5_llS3_PT12_llPT13_lli,comdat
	.globl	_ZN12_GLOBAL__N_127rocblas_gemm_batched_kernelIfLi16ELi16ELi32ELi32ELi8ELi32ELi8ELi8ELi32ELc78ELc67EKDF16_KffEEvlllT_PT11_llS5_llS3_PT12_llPT13_lli ; -- Begin function _ZN12_GLOBAL__N_127rocblas_gemm_batched_kernelIfLi16ELi16ELi32ELi32ELi8ELi32ELi8ELi8ELi32ELc78ELc67EKDF16_KffEEvlllT_PT11_llS5_llS3_PT12_llPT13_lli
	.p2align	8
	.type	_ZN12_GLOBAL__N_127rocblas_gemm_batched_kernelIfLi16ELi16ELi32ELi32ELi8ELi32ELi8ELi8ELi32ELc78ELc67EKDF16_KffEEvlllT_PT11_llS5_llS3_PT12_llPT13_lli,@function
_ZN12_GLOBAL__N_127rocblas_gemm_batched_kernelIfLi16ELi16ELi32ELi32ELi8ELi32ELi8ELi8ELi32ELc78ELc67EKDF16_KffEEvlllT_PT11_llS5_llS3_PT12_llPT13_lli: ; @_ZN12_GLOBAL__N_127rocblas_gemm_batched_kernelIfLi16ELi16ELi32ELi32ELi8ELi32ELi8ELi8ELi32ELc78ELc67EKDF16_KffEEvlllT_PT11_llS5_llS3_PT12_llPT13_lli
; %bb.0:
	s_load_dwordx2 s[20:21], s[4:5], 0x10
	s_mov_b32 s0, s7
	v_mov_b32_e32 v9, 0
	v_mov_b32_e32 v8, 0
	;; [unrolled: 1-line block ×4, first 2 shown]
	s_ashr_i32 s7, s6, 31
	s_ashr_i32 s1, s0, 31
	s_lshl_b64 s[6:7], s[6:7], 5
	s_lshl_b64 s[10:11], s[0:1], 5
	s_waitcnt lgkmcnt(0)
	v_cmp_lt_i64_e64 s2, s[20:21], 1
	s_and_b32 vcc_lo, exec_lo, s2
	s_cbranch_vccnz .LBB406_3
; %bb.1:
	s_clause 0x1
	s_load_dwordx4 s[0:3], s[4:5], 0x40
	s_load_dwordx8 s[12:19], s[4:5], 0x20
	v_lshl_add_u32 v3, v1, 4, v0
	v_and_b32_e32 v8, 7, v0
	v_lshlrev_b32_e32 v10, 2, v0
	v_lshl_add_u32 v11, v1, 5, 0x400
	v_lshrrev_b32_e32 v2, 3, v3
	v_and_b32_e32 v14, 31, v3
	v_lshlrev_b32_e32 v4, 2, v8
	v_lshrrev_b32_e32 v9, 5, v3
	v_mov_b32_e32 v3, 0
	v_lshlrev_b32_e32 v5, 2, v14
	v_lshl_or_b32 v4, v2, 5, v4
	v_lshl_or_b32 v12, v9, 7, v5
	v_add_nc_u32_e32 v13, 0x400, v4
	s_waitcnt lgkmcnt(0)
	v_mad_u64_u32 v[4:5], null, s0, v8, v[2:3]
	v_mad_u64_u32 v[6:7], null, s14, v9, s[6:7]
	s_mul_i32 s3, s3, s8
	s_mul_hi_u32 s9, s2, s8
	s_mul_i32 s2, s2, s8
	s_add_i32 s3, s9, s3
	v_mov_b32_e32 v2, v5
	v_add_co_u32 v4, vcc_lo, v4, s10
	v_mov_b32_e32 v5, v7
	s_lshl_b64 s[2:3], s[2:3], 1
	v_mad_u64_u32 v[7:8], null, s1, v8, v[2:3]
	s_mul_i32 s17, s17, s8
	v_mad_u64_u32 v[8:9], null, s15, v9, v[5:6]
	s_mul_hi_u32 s9, s16, s8
	s_add_u32 s18, s18, s2
	s_mul_i32 s16, s16, s8
	v_add_co_ci_u32_e64 v5, null, s11, v7, vcc_lo
	v_add_co_u32 v6, vcc_lo, v6, v14
	v_add_co_ci_u32_e64 v7, null, 0, v8, vcc_lo
	v_lshlrev_b64 v[4:5], 1, v[4:5]
	s_addc_u32 s19, s19, s3
	s_add_i32 s17, s9, s17
	v_lshlrev_b64 v[6:7], 1, v[6:7]
	s_lshl_b64 s[2:3], s[16:17], 1
	s_lshl_b64 s[0:1], s[0:1], 4
	s_add_u32 s2, s12, s2
	v_add_co_u32 v4, vcc_lo, s18, v4
	v_add_co_ci_u32_e64 v5, null, s19, v5, vcc_lo
	s_addc_u32 s3, s13, s3
	v_add_co_u32 v6, vcc_lo, s2, v6
	v_add_co_ci_u32_e64 v7, null, s3, v7, vcc_lo
	v_mov_b32_e32 v2, v3
	v_mov_b32_e32 v8, v3
	;; [unrolled: 1-line block ×3, first 2 shown]
	s_lshl_b64 s[2:3], s[14:15], 4
	s_mov_b64 s[12:13], 0
.LBB406_2:                              ; =>This Inner Loop Header: Depth=1
	global_load_ushort v14, v[6:7], off
	global_load_ushort v15, v[4:5], off
	s_add_u32 s12, s12, 8
	s_addc_u32 s13, s13, 0
	v_add_co_u32 v4, vcc_lo, v4, s0
	v_cmp_lt_i64_e64 s9, s[12:13], s[20:21]
	v_add_co_ci_u32_e64 v5, null, s1, v5, vcc_lo
	v_add_co_u32 v6, vcc_lo, v6, s2
	v_add_co_ci_u32_e64 v7, null, s3, v7, vcc_lo
	s_and_b32 vcc_lo, exec_lo, s9
	s_waitcnt vmcnt(1)
	v_cvt_f32_f16_e32 v14, v14
	s_waitcnt vmcnt(0)
	v_cvt_f32_f16_e32 v15, v15
	ds_write_b32 v12, v14
	ds_write_b32 v13, v15
	s_waitcnt lgkmcnt(0)
	s_barrier
	buffer_gl0_inv
	ds_read_b128 v[14:17], v11
	ds_read2_b32 v[30:31], v10 offset1:16
	ds_read_b128 v[18:21], v11 offset:512
	ds_read2_b32 v[32:33], v10 offset0:32 offset1:48
	ds_read2_b32 v[34:35], v10 offset0:64 offset1:80
	ds_read_b128 v[22:25], v11 offset:16
	ds_read2_b32 v[36:37], v10 offset0:96 offset1:112
	ds_read2_b32 v[38:39], v10 offset0:128 offset1:144
	;; [unrolled: 3-line block ×3, first 2 shown]
	ds_read2_b32 v[44:45], v10 offset0:224 offset1:240
	s_waitcnt lgkmcnt(0)
	s_barrier
	buffer_gl0_inv
	v_fmac_f32_e32 v9, v30, v14
	v_fmac_f32_e32 v8, v31, v14
	;; [unrolled: 1-line block ×32, first 2 shown]
	s_cbranch_vccnz .LBB406_2
.LBB406_3:
	s_clause 0x3
	s_load_dwordx4 s[0:3], s[4:5], 0x78
	s_load_dword s9, s[4:5], 0x50
	s_load_dwordx8 s[12:19], s[4:5], 0x58
	s_load_dword s4, s[4:5], 0x18
	v_add_co_u32 v5, s5, s6, v0
	v_add_co_ci_u32_e64 v6, null, s7, 0, s5
	v_add_co_u32 v4, s5, s10, v1
	v_add_co_ci_u32_e64 v7, null, s11, 0, s5
	v_lshlrev_b64 v[0:1], 2, v[5:6]
	s_waitcnt lgkmcnt(0)
	s_mul_i32 s3, s3, s8
	s_mul_hi_u32 s5, s2, s8
	v_mul_lo_u32 v5, v7, s0
	v_mul_lo_u32 v6, v4, s1
	s_mul_i32 s2, s2, s8
	v_cmp_neq_f32_e64 s6, s9, 0
	s_add_i32 s3, s5, s3
	s_mov_b32 s5, 0
	s_lshl_b64 s[2:3], s[2:3], 2
	s_add_u32 s2, s18, s2
	s_addc_u32 s3, s19, s3
	s_and_b32 vcc_lo, exec_lo, s6
	s_cbranch_vccnz .LBB406_7
; %bb.4:
	v_mad_u64_u32 v[10:11], null, v4, s0, 0
	s_lshl_b64 s[6:7], s[0:1], 6
	v_mul_f32_e32 v14, s4, v9
	v_mul_f32_e32 v15, s4, v8
	;; [unrolled: 1-line block ×4, first 2 shown]
	v_add3_u32 v11, v11, v6, v5
	v_lshlrev_b64 v[10:11], 2, v[10:11]
	v_add_co_u32 v10, vcc_lo, s2, v10
	v_add_co_ci_u32_e64 v11, null, s3, v11, vcc_lo
	v_add_co_u32 v12, vcc_lo, v10, s6
	v_add_co_ci_u32_e64 v13, null, s7, v11, vcc_lo
	;; [unrolled: 2-line block ×4, first 2 shown]
	global_store_dword v[10:11], v14, off
	global_store_dword v[10:11], v15, off offset:64
	global_store_dword v[12:13], v16, off
	global_store_dword v[12:13], v17, off offset:64
	s_andn2_b32 vcc_lo, exec_lo, s5
	s_cbranch_vccnz .LBB406_6
.LBB406_5:
	v_mul_lo_u32 v7, v7, s14
	v_mul_lo_u32 v12, v4, s15
	v_mad_u64_u32 v[10:11], null, v4, s14, 0
	s_mul_i32 s5, s17, s8
	s_mul_hi_u32 s7, s16, s8
	s_mul_i32 s6, s16, s8
	s_add_i32 s7, s7, s5
	s_lshl_b64 s[6:7], s[6:7], 2
	v_add3_u32 v11, v11, v12, v7
	s_add_u32 s5, s12, s6
	s_addc_u32 s6, s13, s7
	v_mad_u64_u32 v[12:13], null, v4, s0, 0
	v_lshlrev_b64 v[10:11], 2, v[10:11]
	s_lshl_b64 s[0:1], s[0:1], 6
	v_add3_u32 v13, v13, v6, v5
	v_add_co_u32 v7, vcc_lo, s5, v10
	v_add_co_ci_u32_e64 v14, null, s6, v11, vcc_lo
	v_lshlrev_b64 v[4:5], 2, v[12:13]
	v_add_co_u32 v10, vcc_lo, v7, v0
	v_add_co_ci_u32_e64 v11, null, v14, v1, vcc_lo
	v_add_co_u32 v12, vcc_lo, s2, v4
	global_load_dword v15, v[10:11], off
	v_add_co_ci_u32_e64 v13, null, s3, v5, vcc_lo
	v_add_co_u32 v4, vcc_lo, v12, v0
	s_lshl_b64 s[2:3], s[14:15], 6
	v_add_co_ci_u32_e64 v5, null, v13, v1, vcc_lo
	s_waitcnt vmcnt(0)
	v_mul_f32_e32 v6, s9, v15
	v_fmac_f32_e32 v6, s4, v9
	global_store_dword v[4:5], v6, off
	global_load_dword v6, v[10:11], off offset:64
	s_waitcnt vmcnt(0)
	v_mul_f32_e32 v9, s9, v6
	v_add_co_u32 v6, vcc_lo, v7, s2
	v_add_co_ci_u32_e64 v7, null, s3, v14, vcc_lo
	v_fmac_f32_e32 v9, s4, v8
	v_add_co_u32 v6, vcc_lo, v6, v0
	v_add_co_ci_u32_e64 v7, null, v7, v1, vcc_lo
	global_store_dword v[4:5], v9, off offset:64
	v_add_co_u32 v5, vcc_lo, v12, s0
	global_load_dword v4, v[6:7], off
	v_add_co_ci_u32_e64 v8, null, s1, v13, vcc_lo
	v_add_co_u32 v0, vcc_lo, v5, v0
	v_add_co_ci_u32_e64 v1, null, v8, v1, vcc_lo
	s_waitcnt vmcnt(0)
	v_mul_f32_e32 v4, s9, v4
	v_fmac_f32_e32 v4, s4, v2
	global_store_dword v[0:1], v4, off
	global_load_dword v2, v[6:7], off offset:64
	s_waitcnt vmcnt(0)
	v_mul_f32_e32 v2, s9, v2
	v_fmac_f32_e32 v2, s4, v3
	global_store_dword v[0:1], v2, off offset:64
.LBB406_6:
	s_endpgm
.LBB406_7:
	s_branch .LBB406_5
	.section	.rodata,"a",@progbits
	.p2align	6, 0x0
	.amdhsa_kernel _ZN12_GLOBAL__N_127rocblas_gemm_batched_kernelIfLi16ELi16ELi32ELi32ELi8ELi32ELi8ELi8ELi32ELc78ELc67EKDF16_KffEEvlllT_PT11_llS5_llS3_PT12_llPT13_lli
		.amdhsa_group_segment_fixed_size 2048
		.amdhsa_private_segment_fixed_size 0
		.amdhsa_kernarg_size 140
		.amdhsa_user_sgpr_count 6
		.amdhsa_user_sgpr_private_segment_buffer 1
		.amdhsa_user_sgpr_dispatch_ptr 0
		.amdhsa_user_sgpr_queue_ptr 0
		.amdhsa_user_sgpr_kernarg_segment_ptr 1
		.amdhsa_user_sgpr_dispatch_id 0
		.amdhsa_user_sgpr_flat_scratch_init 0
		.amdhsa_user_sgpr_private_segment_size 0
		.amdhsa_wavefront_size32 1
		.amdhsa_uses_dynamic_stack 0
		.amdhsa_system_sgpr_private_segment_wavefront_offset 0
		.amdhsa_system_sgpr_workgroup_id_x 1
		.amdhsa_system_sgpr_workgroup_id_y 1
		.amdhsa_system_sgpr_workgroup_id_z 1
		.amdhsa_system_sgpr_workgroup_info 0
		.amdhsa_system_vgpr_workitem_id 1
		.amdhsa_next_free_vgpr 46
		.amdhsa_next_free_sgpr 22
		.amdhsa_reserve_vcc 1
		.amdhsa_reserve_flat_scratch 0
		.amdhsa_float_round_mode_32 0
		.amdhsa_float_round_mode_16_64 0
		.amdhsa_float_denorm_mode_32 3
		.amdhsa_float_denorm_mode_16_64 3
		.amdhsa_dx10_clamp 1
		.amdhsa_ieee_mode 1
		.amdhsa_fp16_overflow 0
		.amdhsa_workgroup_processor_mode 1
		.amdhsa_memory_ordered 1
		.amdhsa_forward_progress 1
		.amdhsa_shared_vgpr_count 0
		.amdhsa_exception_fp_ieee_invalid_op 0
		.amdhsa_exception_fp_denorm_src 0
		.amdhsa_exception_fp_ieee_div_zero 0
		.amdhsa_exception_fp_ieee_overflow 0
		.amdhsa_exception_fp_ieee_underflow 0
		.amdhsa_exception_fp_ieee_inexact 0
		.amdhsa_exception_int_div_zero 0
	.end_amdhsa_kernel
	.section	.text._ZN12_GLOBAL__N_127rocblas_gemm_batched_kernelIfLi16ELi16ELi32ELi32ELi8ELi32ELi8ELi8ELi32ELc78ELc67EKDF16_KffEEvlllT_PT11_llS5_llS3_PT12_llPT13_lli,"axG",@progbits,_ZN12_GLOBAL__N_127rocblas_gemm_batched_kernelIfLi16ELi16ELi32ELi32ELi8ELi32ELi8ELi8ELi32ELc78ELc67EKDF16_KffEEvlllT_PT11_llS5_llS3_PT12_llPT13_lli,comdat
.Lfunc_end406:
	.size	_ZN12_GLOBAL__N_127rocblas_gemm_batched_kernelIfLi16ELi16ELi32ELi32ELi8ELi32ELi8ELi8ELi32ELc78ELc67EKDF16_KffEEvlllT_PT11_llS5_llS3_PT12_llPT13_lli, .Lfunc_end406-_ZN12_GLOBAL__N_127rocblas_gemm_batched_kernelIfLi16ELi16ELi32ELi32ELi8ELi32ELi8ELi8ELi32ELc78ELc67EKDF16_KffEEvlllT_PT11_llS5_llS3_PT12_llPT13_lli
                                        ; -- End function
	.set _ZN12_GLOBAL__N_127rocblas_gemm_batched_kernelIfLi16ELi16ELi32ELi32ELi8ELi32ELi8ELi8ELi32ELc78ELc67EKDF16_KffEEvlllT_PT11_llS5_llS3_PT12_llPT13_lli.num_vgpr, 46
	.set _ZN12_GLOBAL__N_127rocblas_gemm_batched_kernelIfLi16ELi16ELi32ELi32ELi8ELi32ELi8ELi8ELi32ELc78ELc67EKDF16_KffEEvlllT_PT11_llS5_llS3_PT12_llPT13_lli.num_agpr, 0
	.set _ZN12_GLOBAL__N_127rocblas_gemm_batched_kernelIfLi16ELi16ELi32ELi32ELi8ELi32ELi8ELi8ELi32ELc78ELc67EKDF16_KffEEvlllT_PT11_llS5_llS3_PT12_llPT13_lli.numbered_sgpr, 22
	.set _ZN12_GLOBAL__N_127rocblas_gemm_batched_kernelIfLi16ELi16ELi32ELi32ELi8ELi32ELi8ELi8ELi32ELc78ELc67EKDF16_KffEEvlllT_PT11_llS5_llS3_PT12_llPT13_lli.num_named_barrier, 0
	.set _ZN12_GLOBAL__N_127rocblas_gemm_batched_kernelIfLi16ELi16ELi32ELi32ELi8ELi32ELi8ELi8ELi32ELc78ELc67EKDF16_KffEEvlllT_PT11_llS5_llS3_PT12_llPT13_lli.private_seg_size, 0
	.set _ZN12_GLOBAL__N_127rocblas_gemm_batched_kernelIfLi16ELi16ELi32ELi32ELi8ELi32ELi8ELi8ELi32ELc78ELc67EKDF16_KffEEvlllT_PT11_llS5_llS3_PT12_llPT13_lli.uses_vcc, 1
	.set _ZN12_GLOBAL__N_127rocblas_gemm_batched_kernelIfLi16ELi16ELi32ELi32ELi8ELi32ELi8ELi8ELi32ELc78ELc67EKDF16_KffEEvlllT_PT11_llS5_llS3_PT12_llPT13_lli.uses_flat_scratch, 0
	.set _ZN12_GLOBAL__N_127rocblas_gemm_batched_kernelIfLi16ELi16ELi32ELi32ELi8ELi32ELi8ELi8ELi32ELc78ELc67EKDF16_KffEEvlllT_PT11_llS5_llS3_PT12_llPT13_lli.has_dyn_sized_stack, 0
	.set _ZN12_GLOBAL__N_127rocblas_gemm_batched_kernelIfLi16ELi16ELi32ELi32ELi8ELi32ELi8ELi8ELi32ELc78ELc67EKDF16_KffEEvlllT_PT11_llS5_llS3_PT12_llPT13_lli.has_recursion, 0
	.set _ZN12_GLOBAL__N_127rocblas_gemm_batched_kernelIfLi16ELi16ELi32ELi32ELi8ELi32ELi8ELi8ELi32ELc78ELc67EKDF16_KffEEvlllT_PT11_llS5_llS3_PT12_llPT13_lli.has_indirect_call, 0
	.section	.AMDGPU.csdata,"",@progbits
; Kernel info:
; codeLenInByte = 1364
; TotalNumSgprs: 24
; NumVgprs: 46
; ScratchSize: 0
; MemoryBound: 0
; FloatMode: 240
; IeeeMode: 1
; LDSByteSize: 2048 bytes/workgroup (compile time only)
; SGPRBlocks: 0
; VGPRBlocks: 5
; NumSGPRsForWavesPerEU: 24
; NumVGPRsForWavesPerEU: 46
; Occupancy: 16
; WaveLimiterHint : 0
; COMPUTE_PGM_RSRC2:SCRATCH_EN: 0
; COMPUTE_PGM_RSRC2:USER_SGPR: 6
; COMPUTE_PGM_RSRC2:TRAP_HANDLER: 0
; COMPUTE_PGM_RSRC2:TGID_X_EN: 1
; COMPUTE_PGM_RSRC2:TGID_Y_EN: 1
; COMPUTE_PGM_RSRC2:TGID_Z_EN: 1
; COMPUTE_PGM_RSRC2:TIDIG_COMP_CNT: 1
	.section	.text._ZN12_GLOBAL__N_127rocblas_gemm_batched_kernelIfLi16ELi16ELi32ELi32ELi8ELi32ELi8ELi8ELi32ELc84ELc67EKDF16_KffEEvlllT_PT11_llS5_llS3_PT12_llPT13_lli,"axG",@progbits,_ZN12_GLOBAL__N_127rocblas_gemm_batched_kernelIfLi16ELi16ELi32ELi32ELi8ELi32ELi8ELi8ELi32ELc84ELc67EKDF16_KffEEvlllT_PT11_llS5_llS3_PT12_llPT13_lli,comdat
	.globl	_ZN12_GLOBAL__N_127rocblas_gemm_batched_kernelIfLi16ELi16ELi32ELi32ELi8ELi32ELi8ELi8ELi32ELc84ELc67EKDF16_KffEEvlllT_PT11_llS5_llS3_PT12_llPT13_lli ; -- Begin function _ZN12_GLOBAL__N_127rocblas_gemm_batched_kernelIfLi16ELi16ELi32ELi32ELi8ELi32ELi8ELi8ELi32ELc84ELc67EKDF16_KffEEvlllT_PT11_llS5_llS3_PT12_llPT13_lli
	.p2align	8
	.type	_ZN12_GLOBAL__N_127rocblas_gemm_batched_kernelIfLi16ELi16ELi32ELi32ELi8ELi32ELi8ELi8ELi32ELc84ELc67EKDF16_KffEEvlllT_PT11_llS5_llS3_PT12_llPT13_lli,@function
_ZN12_GLOBAL__N_127rocblas_gemm_batched_kernelIfLi16ELi16ELi32ELi32ELi8ELi32ELi8ELi8ELi32ELc84ELc67EKDF16_KffEEvlllT_PT11_llS5_llS3_PT12_llPT13_lli: ; @_ZN12_GLOBAL__N_127rocblas_gemm_batched_kernelIfLi16ELi16ELi32ELi32ELi8ELi32ELi8ELi8ELi32ELc84ELc67EKDF16_KffEEvlllT_PT11_llS5_llS3_PT12_llPT13_lli
; %bb.0:
	s_load_dwordx2 s[20:21], s[4:5], 0x10
	s_mov_b32 s0, s7
	v_mov_b32_e32 v9, 0
	v_mov_b32_e32 v8, 0
	;; [unrolled: 1-line block ×4, first 2 shown]
	s_ashr_i32 s7, s6, 31
	s_ashr_i32 s1, s0, 31
	s_lshl_b64 s[6:7], s[6:7], 5
	s_lshl_b64 s[10:11], s[0:1], 5
	s_waitcnt lgkmcnt(0)
	v_cmp_lt_i64_e64 s2, s[20:21], 1
	s_and_b32 vcc_lo, exec_lo, s2
	s_cbranch_vccnz .LBB407_3
; %bb.1:
	s_clause 0x1
	s_load_dwordx8 s[12:19], s[4:5], 0x20
	s_load_dwordx4 s[0:3], s[4:5], 0x40
	v_lshl_add_u32 v4, v1, 4, v0
	v_and_b32_e32 v8, 7, v0
	v_mov_b32_e32 v3, 0
	v_lshlrev_b32_e32 v10, 2, v0
	v_lshl_add_u32 v11, v1, 5, 0x400
	v_and_b32_e32 v5, 31, v4
	v_lshrrev_b32_e32 v2, 3, v4
	v_lshlrev_b32_e32 v6, 2, v8
	v_lshrrev_b32_e32 v14, 5, v4
	v_lshlrev_b32_e32 v4, 2, v5
	v_lshl_or_b32 v9, v2, 5, v6
	v_add_co_u32 v6, s9, s6, v5
	v_add_co_ci_u32_e64 v7, null, s7, 0, s9
	v_lshl_or_b32 v12, v14, 7, v4
	s_waitcnt lgkmcnt(0)
	v_mul_lo_u32 v15, s15, v6
	v_mad_u64_u32 v[4:5], null, s0, v8, v[2:3]
	v_mul_lo_u32 v16, s14, v7
	v_mad_u64_u32 v[6:7], null, s14, v6, 0
	s_mul_i32 s3, s3, s8
	s_mul_hi_u32 s9, s2, s8
	s_mul_i32 s2, s2, s8
	v_mov_b32_e32 v2, v5
	s_add_i32 s3, s9, s3
	v_add_nc_u32_e32 v13, 0x400, v9
	v_add3_u32 v7, v7, v16, v15
	s_lshl_b64 s[2:3], s[2:3], 1
	v_mad_u64_u32 v[8:9], null, s1, v8, v[2:3]
	s_add_u32 s9, s18, s2
	s_addc_u32 s14, s19, s3
	s_mul_i32 s2, s17, s8
	s_mul_hi_u32 s3, s16, s8
	v_lshlrev_b64 v[5:6], 1, v[6:7]
	v_add_co_u32 v7, vcc_lo, v4, s10
	s_add_i32 s3, s3, s2
	s_mul_i32 s2, s16, s8
	v_add_co_ci_u32_e64 v8, null, s11, v8, vcc_lo
	s_lshl_b64 s[2:3], s[2:3], 1
	v_lshlrev_b32_e32 v2, 1, v14
	v_add_co_u32 v9, vcc_lo, v5, s2
	v_add_co_ci_u32_e64 v6, null, s3, v6, vcc_lo
	v_lshlrev_b64 v[4:5], 1, v[7:8]
	v_add_co_u32 v2, vcc_lo, v9, v2
	v_add_co_ci_u32_e64 v7, null, 0, v6, vcc_lo
	v_mov_b32_e32 v8, v3
	v_add_co_u32 v4, vcc_lo, s9, v4
	v_add_co_ci_u32_e64 v5, null, s14, v5, vcc_lo
	v_add_co_u32 v6, vcc_lo, s12, v2
	v_add_co_ci_u32_e64 v7, null, s13, v7, vcc_lo
	v_mov_b32_e32 v2, v3
	v_mov_b32_e32 v9, v3
	s_lshl_b64 s[0:1], s[0:1], 4
	s_mov_b64 s[2:3], 0
.LBB407_2:                              ; =>This Inner Loop Header: Depth=1
	global_load_ushort v14, v[6:7], off
	global_load_ushort v15, v[4:5], off
	s_add_u32 s2, s2, 8
	s_addc_u32 s3, s3, 0
	v_add_co_u32 v4, vcc_lo, v4, s0
	v_cmp_lt_i64_e64 s9, s[2:3], s[20:21]
	v_add_co_ci_u32_e64 v5, null, s1, v5, vcc_lo
	v_add_co_u32 v6, vcc_lo, v6, 16
	v_add_co_ci_u32_e64 v7, null, 0, v7, vcc_lo
	s_and_b32 vcc_lo, exec_lo, s9
	s_waitcnt vmcnt(1)
	v_cvt_f32_f16_e32 v14, v14
	s_waitcnt vmcnt(0)
	v_cvt_f32_f16_e32 v15, v15
	ds_write_b32 v12, v14
	ds_write_b32 v13, v15
	s_waitcnt lgkmcnt(0)
	s_barrier
	buffer_gl0_inv
	ds_read_b128 v[14:17], v11
	ds_read2_b32 v[30:31], v10 offset1:16
	ds_read_b128 v[18:21], v11 offset:512
	ds_read2_b32 v[32:33], v10 offset0:32 offset1:48
	ds_read2_b32 v[34:35], v10 offset0:64 offset1:80
	ds_read_b128 v[22:25], v11 offset:16
	ds_read2_b32 v[36:37], v10 offset0:96 offset1:112
	ds_read2_b32 v[38:39], v10 offset0:128 offset1:144
	;; [unrolled: 3-line block ×3, first 2 shown]
	ds_read2_b32 v[44:45], v10 offset0:224 offset1:240
	s_waitcnt lgkmcnt(0)
	s_barrier
	buffer_gl0_inv
	v_fmac_f32_e32 v9, v30, v14
	v_fmac_f32_e32 v8, v31, v14
	;; [unrolled: 1-line block ×32, first 2 shown]
	s_cbranch_vccnz .LBB407_2
.LBB407_3:
	s_clause 0x3
	s_load_dwordx4 s[0:3], s[4:5], 0x78
	s_load_dword s9, s[4:5], 0x50
	s_load_dwordx8 s[12:19], s[4:5], 0x58
	s_load_dword s4, s[4:5], 0x18
	v_add_co_u32 v5, s5, s6, v0
	v_add_co_ci_u32_e64 v6, null, s7, 0, s5
	v_add_co_u32 v4, s5, s10, v1
	v_add_co_ci_u32_e64 v7, null, s11, 0, s5
	v_lshlrev_b64 v[0:1], 2, v[5:6]
	s_waitcnt lgkmcnt(0)
	s_mul_i32 s3, s3, s8
	s_mul_hi_u32 s5, s2, s8
	v_mul_lo_u32 v5, v7, s0
	v_mul_lo_u32 v6, v4, s1
	s_mul_i32 s2, s2, s8
	v_cmp_neq_f32_e64 s6, s9, 0
	s_add_i32 s3, s5, s3
	s_mov_b32 s5, 0
	s_lshl_b64 s[2:3], s[2:3], 2
	s_add_u32 s2, s18, s2
	s_addc_u32 s3, s19, s3
	s_and_b32 vcc_lo, exec_lo, s6
	s_cbranch_vccnz .LBB407_7
; %bb.4:
	v_mad_u64_u32 v[10:11], null, v4, s0, 0
	s_lshl_b64 s[6:7], s[0:1], 6
	v_mul_f32_e32 v14, s4, v9
	v_mul_f32_e32 v15, s4, v8
	;; [unrolled: 1-line block ×4, first 2 shown]
	v_add3_u32 v11, v11, v6, v5
	v_lshlrev_b64 v[10:11], 2, v[10:11]
	v_add_co_u32 v10, vcc_lo, s2, v10
	v_add_co_ci_u32_e64 v11, null, s3, v11, vcc_lo
	v_add_co_u32 v12, vcc_lo, v10, s6
	v_add_co_ci_u32_e64 v13, null, s7, v11, vcc_lo
	;; [unrolled: 2-line block ×4, first 2 shown]
	global_store_dword v[10:11], v14, off
	global_store_dword v[10:11], v15, off offset:64
	global_store_dword v[12:13], v16, off
	global_store_dword v[12:13], v17, off offset:64
	s_andn2_b32 vcc_lo, exec_lo, s5
	s_cbranch_vccnz .LBB407_6
.LBB407_5:
	v_mul_lo_u32 v7, v7, s14
	v_mul_lo_u32 v12, v4, s15
	v_mad_u64_u32 v[10:11], null, v4, s14, 0
	s_mul_i32 s5, s17, s8
	s_mul_hi_u32 s7, s16, s8
	s_mul_i32 s6, s16, s8
	s_add_i32 s7, s7, s5
	s_lshl_b64 s[6:7], s[6:7], 2
	v_add3_u32 v11, v11, v12, v7
	s_add_u32 s5, s12, s6
	s_addc_u32 s6, s13, s7
	v_mad_u64_u32 v[12:13], null, v4, s0, 0
	v_lshlrev_b64 v[10:11], 2, v[10:11]
	s_lshl_b64 s[0:1], s[0:1], 6
	v_add3_u32 v13, v13, v6, v5
	v_add_co_u32 v7, vcc_lo, s5, v10
	v_add_co_ci_u32_e64 v14, null, s6, v11, vcc_lo
	v_lshlrev_b64 v[4:5], 2, v[12:13]
	v_add_co_u32 v10, vcc_lo, v7, v0
	v_add_co_ci_u32_e64 v11, null, v14, v1, vcc_lo
	v_add_co_u32 v12, vcc_lo, s2, v4
	global_load_dword v15, v[10:11], off
	v_add_co_ci_u32_e64 v13, null, s3, v5, vcc_lo
	v_add_co_u32 v4, vcc_lo, v12, v0
	s_lshl_b64 s[2:3], s[14:15], 6
	v_add_co_ci_u32_e64 v5, null, v13, v1, vcc_lo
	s_waitcnt vmcnt(0)
	v_mul_f32_e32 v6, s9, v15
	v_fmac_f32_e32 v6, s4, v9
	global_store_dword v[4:5], v6, off
	global_load_dword v6, v[10:11], off offset:64
	s_waitcnt vmcnt(0)
	v_mul_f32_e32 v9, s9, v6
	v_add_co_u32 v6, vcc_lo, v7, s2
	v_add_co_ci_u32_e64 v7, null, s3, v14, vcc_lo
	v_fmac_f32_e32 v9, s4, v8
	v_add_co_u32 v6, vcc_lo, v6, v0
	v_add_co_ci_u32_e64 v7, null, v7, v1, vcc_lo
	global_store_dword v[4:5], v9, off offset:64
	v_add_co_u32 v5, vcc_lo, v12, s0
	global_load_dword v4, v[6:7], off
	v_add_co_ci_u32_e64 v8, null, s1, v13, vcc_lo
	v_add_co_u32 v0, vcc_lo, v5, v0
	v_add_co_ci_u32_e64 v1, null, v8, v1, vcc_lo
	s_waitcnt vmcnt(0)
	v_mul_f32_e32 v4, s9, v4
	v_fmac_f32_e32 v4, s4, v2
	global_store_dword v[0:1], v4, off
	global_load_dword v2, v[6:7], off offset:64
	s_waitcnt vmcnt(0)
	v_mul_f32_e32 v2, s9, v2
	v_fmac_f32_e32 v2, s4, v3
	global_store_dword v[0:1], v2, off offset:64
.LBB407_6:
	s_endpgm
.LBB407_7:
	s_branch .LBB407_5
	.section	.rodata,"a",@progbits
	.p2align	6, 0x0
	.amdhsa_kernel _ZN12_GLOBAL__N_127rocblas_gemm_batched_kernelIfLi16ELi16ELi32ELi32ELi8ELi32ELi8ELi8ELi32ELc84ELc67EKDF16_KffEEvlllT_PT11_llS5_llS3_PT12_llPT13_lli
		.amdhsa_group_segment_fixed_size 2048
		.amdhsa_private_segment_fixed_size 0
		.amdhsa_kernarg_size 140
		.amdhsa_user_sgpr_count 6
		.amdhsa_user_sgpr_private_segment_buffer 1
		.amdhsa_user_sgpr_dispatch_ptr 0
		.amdhsa_user_sgpr_queue_ptr 0
		.amdhsa_user_sgpr_kernarg_segment_ptr 1
		.amdhsa_user_sgpr_dispatch_id 0
		.amdhsa_user_sgpr_flat_scratch_init 0
		.amdhsa_user_sgpr_private_segment_size 0
		.amdhsa_wavefront_size32 1
		.amdhsa_uses_dynamic_stack 0
		.amdhsa_system_sgpr_private_segment_wavefront_offset 0
		.amdhsa_system_sgpr_workgroup_id_x 1
		.amdhsa_system_sgpr_workgroup_id_y 1
		.amdhsa_system_sgpr_workgroup_id_z 1
		.amdhsa_system_sgpr_workgroup_info 0
		.amdhsa_system_vgpr_workitem_id 1
		.amdhsa_next_free_vgpr 46
		.amdhsa_next_free_sgpr 22
		.amdhsa_reserve_vcc 1
		.amdhsa_reserve_flat_scratch 0
		.amdhsa_float_round_mode_32 0
		.amdhsa_float_round_mode_16_64 0
		.amdhsa_float_denorm_mode_32 3
		.amdhsa_float_denorm_mode_16_64 3
		.amdhsa_dx10_clamp 1
		.amdhsa_ieee_mode 1
		.amdhsa_fp16_overflow 0
		.amdhsa_workgroup_processor_mode 1
		.amdhsa_memory_ordered 1
		.amdhsa_forward_progress 1
		.amdhsa_shared_vgpr_count 0
		.amdhsa_exception_fp_ieee_invalid_op 0
		.amdhsa_exception_fp_denorm_src 0
		.amdhsa_exception_fp_ieee_div_zero 0
		.amdhsa_exception_fp_ieee_overflow 0
		.amdhsa_exception_fp_ieee_underflow 0
		.amdhsa_exception_fp_ieee_inexact 0
		.amdhsa_exception_int_div_zero 0
	.end_amdhsa_kernel
	.section	.text._ZN12_GLOBAL__N_127rocblas_gemm_batched_kernelIfLi16ELi16ELi32ELi32ELi8ELi32ELi8ELi8ELi32ELc84ELc67EKDF16_KffEEvlllT_PT11_llS5_llS3_PT12_llPT13_lli,"axG",@progbits,_ZN12_GLOBAL__N_127rocblas_gemm_batched_kernelIfLi16ELi16ELi32ELi32ELi8ELi32ELi8ELi8ELi32ELc84ELc67EKDF16_KffEEvlllT_PT11_llS5_llS3_PT12_llPT13_lli,comdat
.Lfunc_end407:
	.size	_ZN12_GLOBAL__N_127rocblas_gemm_batched_kernelIfLi16ELi16ELi32ELi32ELi8ELi32ELi8ELi8ELi32ELc84ELc67EKDF16_KffEEvlllT_PT11_llS5_llS3_PT12_llPT13_lli, .Lfunc_end407-_ZN12_GLOBAL__N_127rocblas_gemm_batched_kernelIfLi16ELi16ELi32ELi32ELi8ELi32ELi8ELi8ELi32ELc84ELc67EKDF16_KffEEvlllT_PT11_llS5_llS3_PT12_llPT13_lli
                                        ; -- End function
	.set _ZN12_GLOBAL__N_127rocblas_gemm_batched_kernelIfLi16ELi16ELi32ELi32ELi8ELi32ELi8ELi8ELi32ELc84ELc67EKDF16_KffEEvlllT_PT11_llS5_llS3_PT12_llPT13_lli.num_vgpr, 46
	.set _ZN12_GLOBAL__N_127rocblas_gemm_batched_kernelIfLi16ELi16ELi32ELi32ELi8ELi32ELi8ELi8ELi32ELc84ELc67EKDF16_KffEEvlllT_PT11_llS5_llS3_PT12_llPT13_lli.num_agpr, 0
	.set _ZN12_GLOBAL__N_127rocblas_gemm_batched_kernelIfLi16ELi16ELi32ELi32ELi8ELi32ELi8ELi8ELi32ELc84ELc67EKDF16_KffEEvlllT_PT11_llS5_llS3_PT12_llPT13_lli.numbered_sgpr, 22
	.set _ZN12_GLOBAL__N_127rocblas_gemm_batched_kernelIfLi16ELi16ELi32ELi32ELi8ELi32ELi8ELi8ELi32ELc84ELc67EKDF16_KffEEvlllT_PT11_llS5_llS3_PT12_llPT13_lli.num_named_barrier, 0
	.set _ZN12_GLOBAL__N_127rocblas_gemm_batched_kernelIfLi16ELi16ELi32ELi32ELi8ELi32ELi8ELi8ELi32ELc84ELc67EKDF16_KffEEvlllT_PT11_llS5_llS3_PT12_llPT13_lli.private_seg_size, 0
	.set _ZN12_GLOBAL__N_127rocblas_gemm_batched_kernelIfLi16ELi16ELi32ELi32ELi8ELi32ELi8ELi8ELi32ELc84ELc67EKDF16_KffEEvlllT_PT11_llS5_llS3_PT12_llPT13_lli.uses_vcc, 1
	.set _ZN12_GLOBAL__N_127rocblas_gemm_batched_kernelIfLi16ELi16ELi32ELi32ELi8ELi32ELi8ELi8ELi32ELc84ELc67EKDF16_KffEEvlllT_PT11_llS5_llS3_PT12_llPT13_lli.uses_flat_scratch, 0
	.set _ZN12_GLOBAL__N_127rocblas_gemm_batched_kernelIfLi16ELi16ELi32ELi32ELi8ELi32ELi8ELi8ELi32ELc84ELc67EKDF16_KffEEvlllT_PT11_llS5_llS3_PT12_llPT13_lli.has_dyn_sized_stack, 0
	.set _ZN12_GLOBAL__N_127rocblas_gemm_batched_kernelIfLi16ELi16ELi32ELi32ELi8ELi32ELi8ELi8ELi32ELc84ELc67EKDF16_KffEEvlllT_PT11_llS5_llS3_PT12_llPT13_lli.has_recursion, 0
	.set _ZN12_GLOBAL__N_127rocblas_gemm_batched_kernelIfLi16ELi16ELi32ELi32ELi8ELi32ELi8ELi8ELi32ELc84ELc67EKDF16_KffEEvlllT_PT11_llS5_llS3_PT12_llPT13_lli.has_indirect_call, 0
	.section	.AMDGPU.csdata,"",@progbits
; Kernel info:
; codeLenInByte = 1400
; TotalNumSgprs: 24
; NumVgprs: 46
; ScratchSize: 0
; MemoryBound: 0
; FloatMode: 240
; IeeeMode: 1
; LDSByteSize: 2048 bytes/workgroup (compile time only)
; SGPRBlocks: 0
; VGPRBlocks: 5
; NumSGPRsForWavesPerEU: 24
; NumVGPRsForWavesPerEU: 46
; Occupancy: 16
; WaveLimiterHint : 0
; COMPUTE_PGM_RSRC2:SCRATCH_EN: 0
; COMPUTE_PGM_RSRC2:USER_SGPR: 6
; COMPUTE_PGM_RSRC2:TRAP_HANDLER: 0
; COMPUTE_PGM_RSRC2:TGID_X_EN: 1
; COMPUTE_PGM_RSRC2:TGID_Y_EN: 1
; COMPUTE_PGM_RSRC2:TGID_Z_EN: 1
; COMPUTE_PGM_RSRC2:TIDIG_COMP_CNT: 1
	.section	.text._ZN12_GLOBAL__N_135rocblas_gemm_batched_general_kernelIfLi16ELi16ELi32ELi32ELi8ELi32ELi8ELi8ELi32ELc78ELc78EKDF16_KffEEvlllT_PT11_llS5_llS3_PT12_llPT13_lli,"axG",@progbits,_ZN12_GLOBAL__N_135rocblas_gemm_batched_general_kernelIfLi16ELi16ELi32ELi32ELi8ELi32ELi8ELi8ELi32ELc78ELc78EKDF16_KffEEvlllT_PT11_llS5_llS3_PT12_llPT13_lli,comdat
	.globl	_ZN12_GLOBAL__N_135rocblas_gemm_batched_general_kernelIfLi16ELi16ELi32ELi32ELi8ELi32ELi8ELi8ELi32ELc78ELc78EKDF16_KffEEvlllT_PT11_llS5_llS3_PT12_llPT13_lli ; -- Begin function _ZN12_GLOBAL__N_135rocblas_gemm_batched_general_kernelIfLi16ELi16ELi32ELi32ELi8ELi32ELi8ELi8ELi32ELc78ELc78EKDF16_KffEEvlllT_PT11_llS5_llS3_PT12_llPT13_lli
	.p2align	8
	.type	_ZN12_GLOBAL__N_135rocblas_gemm_batched_general_kernelIfLi16ELi16ELi32ELi32ELi8ELi32ELi8ELi8ELi32ELc78ELc78EKDF16_KffEEvlllT_PT11_llS5_llS3_PT12_llPT13_lli,@function
_ZN12_GLOBAL__N_135rocblas_gemm_batched_general_kernelIfLi16ELi16ELi32ELi32ELi8ELi32ELi8ELi8ELi32ELc78ELc78EKDF16_KffEEvlllT_PT11_llS5_llS3_PT12_llPT13_lli: ; @_ZN12_GLOBAL__N_135rocblas_gemm_batched_general_kernelIfLi16ELi16ELi32ELi32ELi8ELi32ELi8ELi8ELi32ELc78ELc78EKDF16_KffEEvlllT_PT11_llS5_llS3_PT12_llPT13_lli
; %bb.0:
	s_clause 0x1
	s_load_dwordx2 s[24:25], s[4:5], 0x10
	s_load_dwordx4 s[20:23], s[4:5], 0x0
	s_mov_b32 s0, s7
	v_mov_b32_e32 v10, 0
	v_mov_b32_e32 v9, 0
	;; [unrolled: 1-line block ×4, first 2 shown]
	s_ashr_i32 s7, s6, 31
	s_ashr_i32 s1, s0, 31
	s_lshl_b64 s[10:11], s[6:7], 5
	s_lshl_b64 s[28:29], s[0:1], 5
	s_waitcnt lgkmcnt(0)
	v_cmp_lt_i64_e64 s2, s[24:25], 1
	s_and_b32 vcc_lo, exec_lo, s2
	s_cbranch_vccnz .LBB408_7
; %bb.1:
	s_clause 0x1
	s_load_dwordx4 s[0:3], s[4:5], 0x40
	s_load_dwordx8 s[12:19], s[4:5], 0x20
	v_lshl_add_u32 v2, v1, 4, v0
	v_mov_b32_e32 v3, s11
	v_and_b32_e32 v6, 7, v0
	s_lshl_b64 s[6:7], s[6:7], 6
	v_mov_b32_e32 v7, 0
	v_lshrrev_b32_e32 v10, 3, v2
	v_lshrrev_b32_e32 v13, 5, v2
	v_and_b32_e32 v18, 31, v2
	v_lshlrev_b32_e32 v14, 2, v6
	v_lshlrev_b32_e32 v11, 2, v0
	v_add_co_u32 v4, s9, v10, s28
	v_add_co_ci_u32_e64 v5, null, 0, s29, s9
	v_or_b32_e32 v2, s10, v18
	v_lshlrev_b32_e32 v15, 2, v18
	v_lshl_or_b32 v10, v10, 5, v14
	v_lshl_add_u32 v12, v1, 5, 0x400
	s_waitcnt lgkmcnt(0)
	v_mul_lo_u32 v19, s1, v4
	v_mad_u64_u32 v[8:9], null, s14, v13, 0
	v_mul_lo_u32 v20, s0, v5
	v_mad_u64_u32 v[16:17], null, s0, v4, 0
	v_cmp_gt_i64_e64 s0, s[20:21], v[2:3]
	v_cmp_gt_i64_e64 s1, s[22:23], v[4:5]
	s_mul_i32 s3, s3, s8
	v_mov_b32_e32 v2, v9
	s_mul_hi_u32 s9, s2, s8
	s_mul_i32 s2, s2, s8
	v_add3_u32 v17, v17, v20, v19
	s_add_i32 s3, s9, s3
	v_mad_u64_u32 v[2:3], null, s15, v13, v[2:3]
	s_lshl_b64 s[2:3], s[2:3], 1
	v_lshlrev_b64 v[3:4], 1, v[16:17]
	s_mul_i32 s17, s17, s8
	s_mul_hi_u32 s9, s16, s8
	v_lshl_or_b32 v14, v13, 7, v15
	v_add_nc_u32_e32 v15, 0x400, v10
	v_mov_b32_e32 v9, v2
	v_add_co_u32 v5, vcc_lo, v3, s2
	v_add_co_ci_u32_e64 v4, null, s3, v4, vcc_lo
	s_add_i32 s3, s9, s17
	s_mul_i32 s2, s16, s8
	v_lshlrev_b64 v[2:3], 1, v[8:9]
	s_lshl_b64 s[2:3], s[2:3], 1
	v_lshlrev_b32_e32 v8, 1, v6
	s_add_u32 s2, s6, s2
	s_addc_u32 s3, s7, s3
	v_lshlrev_b32_e32 v9, 1, v18
	v_add_co_u32 v2, vcc_lo, s2, v2
	v_add_co_ci_u32_e64 v3, null, s3, v3, vcc_lo
	v_add_co_u32 v5, vcc_lo, v5, v8
	v_add_co_ci_u32_e64 v4, null, 0, v4, vcc_lo
	;; [unrolled: 2-line block ×5, first 2 shown]
	v_mov_b32_e32 v8, 0
	v_mov_b32_e32 v9, 0
	;; [unrolled: 1-line block ×3, first 2 shown]
	s_lshl_b64 s[2:3], s[14:15], 4
	s_mov_b64 s[6:7], 0
	s_branch .LBB408_3
.LBB408_2:                              ;   in Loop: Header=BB408_3 Depth=1
	s_or_b32 exec_lo, exec_lo, s9
	ds_write_b32 v15, v17
	s_waitcnt lgkmcnt(0)
	s_barrier
	buffer_gl0_inv
	ds_read_b128 v[16:19], v12
	ds_read2_b32 v[32:33], v11 offset1:16
	ds_read_b128 v[20:23], v12 offset:512
	ds_read2_b32 v[34:35], v11 offset0:32 offset1:48
	ds_read2_b32 v[36:37], v11 offset0:64 offset1:80
	ds_read2_b32 v[38:39], v11 offset0:96 offset1:112
	ds_read_b128 v[24:27], v12 offset:16
	ds_read2_b32 v[40:41], v11 offset0:128 offset1:144
	ds_read_b128 v[28:31], v12 offset:528
	ds_read2_b32 v[42:43], v11 offset0:160 offset1:176
	s_add_u32 s6, s6, 8
	s_addc_u32 s7, s7, 0
	v_add_co_u32 v2, vcc_lo, v2, 16
	v_cmp_lt_i64_e64 s9, s[6:7], s[24:25]
	v_add_co_ci_u32_e64 v3, null, 0, v3, vcc_lo
	v_add_co_u32 v4, vcc_lo, v4, s2
	v_add_co_ci_u32_e64 v5, null, s3, v5, vcc_lo
	s_waitcnt lgkmcnt(8)
	v_fmac_f32_e32 v10, v32, v16
	v_fmac_f32_e32 v9, v33, v16
	s_waitcnt lgkmcnt(7)
	v_fmac_f32_e32 v8, v32, v20
	v_fmac_f32_e32 v7, v33, v20
	ds_read2_b32 v[32:33], v11 offset0:192 offset1:208
	s_waitcnt lgkmcnt(7)
	v_fmac_f32_e32 v10, v34, v17
	v_fmac_f32_e32 v9, v35, v17
	;; [unrolled: 1-line block ×4, first 2 shown]
	ds_read2_b32 v[16:17], v11 offset0:224 offset1:240
	s_waitcnt lgkmcnt(7)
	v_fmac_f32_e32 v10, v36, v18
	v_fmac_f32_e32 v9, v37, v18
	;; [unrolled: 1-line block ×4, first 2 shown]
	s_and_b32 vcc_lo, exec_lo, s9
	s_waitcnt lgkmcnt(6)
	v_fmac_f32_e32 v10, v38, v19
	v_fmac_f32_e32 v9, v39, v19
	;; [unrolled: 1-line block ×4, first 2 shown]
	s_waitcnt lgkmcnt(0)
	v_fmac_f32_e32 v10, v40, v24
	v_fmac_f32_e32 v9, v41, v24
	;; [unrolled: 1-line block ×4, first 2 shown]
	s_barrier
	v_fmac_f32_e32 v10, v42, v25
	v_fmac_f32_e32 v9, v43, v25
	;; [unrolled: 1-line block ×4, first 2 shown]
	buffer_gl0_inv
	v_fmac_f32_e32 v10, v32, v26
	v_fmac_f32_e32 v9, v33, v26
	;; [unrolled: 1-line block ×8, first 2 shown]
	s_cbranch_vccz .LBB408_7
.LBB408_3:                              ; =>This Inner Loop Header: Depth=1
	v_add_co_u32 v16, s9, v13, s6
	v_add_co_ci_u32_e64 v17, null, 0, s7, s9
	v_cmp_gt_i64_e32 vcc_lo, s[24:25], v[16:17]
	v_mov_b32_e32 v16, 0
	s_and_b32 s12, s0, vcc_lo
	s_and_saveexec_b32 s9, s12
	s_cbranch_execz .LBB408_5
; %bb.4:                                ;   in Loop: Header=BB408_3 Depth=1
	global_load_ushort v16, v[4:5], off
	s_waitcnt vmcnt(0)
	v_cvt_f32_f16_e32 v16, v16
.LBB408_5:                              ;   in Loop: Header=BB408_3 Depth=1
	s_or_b32 exec_lo, exec_lo, s9
	v_add_co_u32 v17, s9, v6, s6
	v_add_co_ci_u32_e64 v18, null, 0, s7, s9
	ds_write_b32 v14, v16
	v_cmp_gt_i64_e32 vcc_lo, s[24:25], v[17:18]
	v_mov_b32_e32 v17, 0
	s_and_b32 s12, vcc_lo, s1
	s_and_saveexec_b32 s9, s12
	s_cbranch_execz .LBB408_2
; %bb.6:                                ;   in Loop: Header=BB408_3 Depth=1
	global_load_ushort v16, v[2:3], off
	s_waitcnt vmcnt(0)
	v_cvt_f32_f16_e32 v17, v16
	s_branch .LBB408_2
.LBB408_7:
	s_clause 0x3
	s_load_dwordx4 s[24:27], s[4:5], 0x78
	s_load_dword s6, s[4:5], 0x50
	s_load_dwordx8 s[12:19], s[4:5], 0x58
	s_load_dword s3, s[4:5], 0x18
	v_add_co_u32 v1, s0, s28, v1
	v_add_co_ci_u32_e64 v2, null, s29, 0, s0
	s_waitcnt lgkmcnt(0)
	s_mul_i32 s1, s27, s8
	s_mul_hi_u32 s2, s26, s8
	s_mul_i32 s0, s26, s8
	s_add_i32 s1, s2, s1
	v_cmp_neq_f32_e64 s2, s6, 0
	s_lshl_b64 s[4:5], s[0:1], 2
	v_cmp_gt_i64_e64 s0, s[22:23], v[1:2]
	s_add_u32 s4, s18, s4
	s_addc_u32 s5, s19, s5
	s_and_b32 vcc_lo, exec_lo, s2
	s_cbranch_vccnz .LBB408_20
; %bb.8:
	s_and_saveexec_b32 s7, s0
	s_cbranch_execz .LBB408_18
; %bb.9:
	v_mul_lo_u32 v5, v2, s24
	v_mul_lo_u32 v6, v1, s25
	v_mad_u64_u32 v[3:4], null, v1, s24, 0
	v_add3_u32 v4, v4, v6, v5
	v_add_co_u32 v5, s1, s10, v0
	v_add_co_ci_u32_e64 v6, null, s11, 0, s1
	v_lshlrev_b64 v[11:12], 2, v[3:4]
	v_cmp_gt_i64_e32 vcc_lo, s[20:21], v[5:6]
	v_lshlrev_b64 v[3:4], 2, v[5:6]
	v_add_co_u32 v11, s1, s4, v11
	v_add_co_ci_u32_e64 v12, null, s5, v12, s1
	s_and_saveexec_b32 s2, vcc_lo
	s_cbranch_execz .LBB408_11
; %bb.10:
	v_add_co_u32 v13, s1, v11, v3
	v_add_co_ci_u32_e64 v14, null, v12, v4, s1
	v_mul_f32_e32 v15, s3, v10
	global_store_dword v[13:14], v15, off
.LBB408_11:
	s_or_b32 exec_lo, exec_lo, s2
	v_add_co_u32 v5, s1, v5, 16
	v_add_co_ci_u32_e64 v6, null, 0, v6, s1
	v_cmp_gt_i64_e64 s1, s[20:21], v[5:6]
	s_and_saveexec_b32 s9, s1
	s_cbranch_execz .LBB408_13
; %bb.12:
	v_add_co_u32 v5, s2, v11, v3
	v_add_co_ci_u32_e64 v6, null, v12, v4, s2
	v_mul_f32_e32 v13, s3, v9
	global_store_dword v[5:6], v13, off offset:64
.LBB408_13:
	s_or_b32 exec_lo, exec_lo, s9
	v_add_co_u32 v5, s2, v1, 16
	v_add_co_ci_u32_e64 v6, null, 0, v2, s2
	v_cmp_gt_i64_e64 s2, s[22:23], v[5:6]
	s_and_b32 exec_lo, exec_lo, s2
	s_cbranch_execz .LBB408_18
; %bb.14:
	s_lshl_b64 s[18:19], s[24:25], 6
	v_add_co_u32 v5, s2, v11, s18
	v_add_co_ci_u32_e64 v6, null, s19, v12, s2
	v_add_co_u32 v3, s2, v5, v3
	v_add_co_ci_u32_e64 v4, null, v6, v4, s2
	s_and_saveexec_b32 s2, vcc_lo
	s_cbranch_execz .LBB408_16
; %bb.15:
	v_mul_f32_e32 v5, s3, v8
	global_store_dword v[3:4], v5, off
.LBB408_16:
	s_or_b32 exec_lo, exec_lo, s2
	s_and_b32 exec_lo, exec_lo, s1
	s_cbranch_execz .LBB408_18
; %bb.17:
	v_mul_f32_e32 v5, s3, v7
	global_store_dword v[3:4], v5, off offset:64
.LBB408_18:
	s_or_b32 exec_lo, exec_lo, s7
	s_cbranch_execz .LBB408_21
.LBB408_19:
	s_endpgm
.LBB408_20:
.LBB408_21:
	s_and_saveexec_b32 s1, s0
	s_cbranch_execz .LBB408_19
; %bb.22:
	v_mul_lo_u32 v5, v2, s14
	v_mul_lo_u32 v6, v1, s15
	v_mad_u64_u32 v[3:4], null, v1, s14, 0
	v_mul_lo_u32 v13, v2, s24
	v_mul_lo_u32 v14, v1, s25
	v_mad_u64_u32 v[11:12], null, v1, s24, 0
	s_mul_i32 s0, s17, s8
	s_mul_hi_u32 s1, s16, s8
	v_add3_u32 v4, v4, v6, v5
	s_add_i32 s1, s1, s0
	s_mul_i32 s0, s16, s8
	v_add_co_u32 v5, s2, s10, v0
	v_add3_u32 v12, v12, v14, v13
	v_lshlrev_b64 v[3:4], 2, v[3:4]
	s_lshl_b64 s[0:1], s[0:1], 2
	v_add_co_ci_u32_e64 v6, null, s11, 0, s2
	v_lshlrev_b64 v[12:13], 2, v[11:12]
	s_add_u32 s0, s12, s0
	s_addc_u32 s1, s13, s1
	v_add_co_u32 v0, s0, s0, v3
	v_add_co_ci_u32_e64 v11, null, s1, v4, s0
	v_add_co_u32 v12, s0, s4, v12
	v_cmp_gt_i64_e32 vcc_lo, s[20:21], v[5:6]
	v_lshlrev_b64 v[3:4], 2, v[5:6]
	v_add_co_ci_u32_e64 v13, null, s5, v13, s0
	s_and_saveexec_b32 s1, vcc_lo
	s_cbranch_execz .LBB408_24
; %bb.23:
	v_add_co_u32 v14, s0, v0, v3
	v_add_co_ci_u32_e64 v15, null, v11, v4, s0
	global_load_dword v14, v[14:15], off
	s_waitcnt vmcnt(0)
	v_mul_f32_e32 v16, s6, v14
	v_add_co_u32 v14, s0, v12, v3
	v_add_co_ci_u32_e64 v15, null, v13, v4, s0
	v_fmac_f32_e32 v16, s3, v10
	global_store_dword v[14:15], v16, off
.LBB408_24:
	s_or_b32 exec_lo, exec_lo, s1
	v_add_co_u32 v5, s0, v5, 16
	v_add_co_ci_u32_e64 v6, null, 0, v6, s0
	v_cmp_gt_i64_e64 s0, s[20:21], v[5:6]
	s_and_saveexec_b32 s2, s0
	s_cbranch_execz .LBB408_26
; %bb.25:
	v_add_co_u32 v5, s1, v0, v3
	v_add_co_ci_u32_e64 v6, null, v11, v4, s1
	global_load_dword v5, v[5:6], off offset:64
	s_waitcnt vmcnt(0)
	v_mul_f32_e32 v10, s6, v5
	v_add_co_u32 v5, s1, v12, v3
	v_add_co_ci_u32_e64 v6, null, v13, v4, s1
	v_fmac_f32_e32 v10, s3, v9
	global_store_dword v[5:6], v10, off offset:64
.LBB408_26:
	s_or_b32 exec_lo, exec_lo, s2
	v_add_co_u32 v1, s1, v1, 16
	v_add_co_ci_u32_e64 v2, null, 0, v2, s1
	v_cmp_gt_i64_e64 s1, s[22:23], v[1:2]
	s_and_b32 exec_lo, exec_lo, s1
	s_cbranch_execz .LBB408_19
; %bb.27:
	s_lshl_b64 s[4:5], s[14:15], 6
	v_add_co_u32 v0, s1, v0, s4
	v_add_co_ci_u32_e64 v1, null, s5, v11, s1
	s_lshl_b64 s[4:5], s[24:25], 6
	v_add_co_u32 v2, s1, v12, s4
	v_add_co_ci_u32_e64 v5, null, s5, v13, s1
	v_add_co_u32 v0, s1, v0, v3
	v_add_co_ci_u32_e64 v1, null, v1, v4, s1
	;; [unrolled: 2-line block ×3, first 2 shown]
	s_and_saveexec_b32 s1, vcc_lo
	s_cbranch_execz .LBB408_29
; %bb.28:
	global_load_dword v4, v[0:1], off
	s_waitcnt vmcnt(0)
	v_mul_f32_e32 v4, s6, v4
	v_fmac_f32_e32 v4, s3, v8
	global_store_dword v[2:3], v4, off
.LBB408_29:
	s_or_b32 exec_lo, exec_lo, s1
	s_and_b32 exec_lo, exec_lo, s0
	s_cbranch_execz .LBB408_19
; %bb.30:
	global_load_dword v0, v[0:1], off offset:64
	s_waitcnt vmcnt(0)
	v_mul_f32_e32 v0, s6, v0
	v_fmac_f32_e32 v0, s3, v7
	global_store_dword v[2:3], v0, off offset:64
	s_endpgm
	.section	.rodata,"a",@progbits
	.p2align	6, 0x0
	.amdhsa_kernel _ZN12_GLOBAL__N_135rocblas_gemm_batched_general_kernelIfLi16ELi16ELi32ELi32ELi8ELi32ELi8ELi8ELi32ELc78ELc78EKDF16_KffEEvlllT_PT11_llS5_llS3_PT12_llPT13_lli
		.amdhsa_group_segment_fixed_size 2048
		.amdhsa_private_segment_fixed_size 0
		.amdhsa_kernarg_size 140
		.amdhsa_user_sgpr_count 6
		.amdhsa_user_sgpr_private_segment_buffer 1
		.amdhsa_user_sgpr_dispatch_ptr 0
		.amdhsa_user_sgpr_queue_ptr 0
		.amdhsa_user_sgpr_kernarg_segment_ptr 1
		.amdhsa_user_sgpr_dispatch_id 0
		.amdhsa_user_sgpr_flat_scratch_init 0
		.amdhsa_user_sgpr_private_segment_size 0
		.amdhsa_wavefront_size32 1
		.amdhsa_uses_dynamic_stack 0
		.amdhsa_system_sgpr_private_segment_wavefront_offset 0
		.amdhsa_system_sgpr_workgroup_id_x 1
		.amdhsa_system_sgpr_workgroup_id_y 1
		.amdhsa_system_sgpr_workgroup_id_z 1
		.amdhsa_system_sgpr_workgroup_info 0
		.amdhsa_system_vgpr_workitem_id 1
		.amdhsa_next_free_vgpr 44
		.amdhsa_next_free_sgpr 30
		.amdhsa_reserve_vcc 1
		.amdhsa_reserve_flat_scratch 0
		.amdhsa_float_round_mode_32 0
		.amdhsa_float_round_mode_16_64 0
		.amdhsa_float_denorm_mode_32 3
		.amdhsa_float_denorm_mode_16_64 3
		.amdhsa_dx10_clamp 1
		.amdhsa_ieee_mode 1
		.amdhsa_fp16_overflow 0
		.amdhsa_workgroup_processor_mode 1
		.amdhsa_memory_ordered 1
		.amdhsa_forward_progress 1
		.amdhsa_shared_vgpr_count 0
		.amdhsa_exception_fp_ieee_invalid_op 0
		.amdhsa_exception_fp_denorm_src 0
		.amdhsa_exception_fp_ieee_div_zero 0
		.amdhsa_exception_fp_ieee_overflow 0
		.amdhsa_exception_fp_ieee_underflow 0
		.amdhsa_exception_fp_ieee_inexact 0
		.amdhsa_exception_int_div_zero 0
	.end_amdhsa_kernel
	.section	.text._ZN12_GLOBAL__N_135rocblas_gemm_batched_general_kernelIfLi16ELi16ELi32ELi32ELi8ELi32ELi8ELi8ELi32ELc78ELc78EKDF16_KffEEvlllT_PT11_llS5_llS3_PT12_llPT13_lli,"axG",@progbits,_ZN12_GLOBAL__N_135rocblas_gemm_batched_general_kernelIfLi16ELi16ELi32ELi32ELi8ELi32ELi8ELi8ELi32ELc78ELc78EKDF16_KffEEvlllT_PT11_llS5_llS3_PT12_llPT13_lli,comdat
.Lfunc_end408:
	.size	_ZN12_GLOBAL__N_135rocblas_gemm_batched_general_kernelIfLi16ELi16ELi32ELi32ELi8ELi32ELi8ELi8ELi32ELc78ELc78EKDF16_KffEEvlllT_PT11_llS5_llS3_PT12_llPT13_lli, .Lfunc_end408-_ZN12_GLOBAL__N_135rocblas_gemm_batched_general_kernelIfLi16ELi16ELi32ELi32ELi8ELi32ELi8ELi8ELi32ELc78ELc78EKDF16_KffEEvlllT_PT11_llS5_llS3_PT12_llPT13_lli
                                        ; -- End function
	.set _ZN12_GLOBAL__N_135rocblas_gemm_batched_general_kernelIfLi16ELi16ELi32ELi32ELi8ELi32ELi8ELi8ELi32ELc78ELc78EKDF16_KffEEvlllT_PT11_llS5_llS3_PT12_llPT13_lli.num_vgpr, 44
	.set _ZN12_GLOBAL__N_135rocblas_gemm_batched_general_kernelIfLi16ELi16ELi32ELi32ELi8ELi32ELi8ELi8ELi32ELc78ELc78EKDF16_KffEEvlllT_PT11_llS5_llS3_PT12_llPT13_lli.num_agpr, 0
	.set _ZN12_GLOBAL__N_135rocblas_gemm_batched_general_kernelIfLi16ELi16ELi32ELi32ELi8ELi32ELi8ELi8ELi32ELc78ELc78EKDF16_KffEEvlllT_PT11_llS5_llS3_PT12_llPT13_lli.numbered_sgpr, 30
	.set _ZN12_GLOBAL__N_135rocblas_gemm_batched_general_kernelIfLi16ELi16ELi32ELi32ELi8ELi32ELi8ELi8ELi32ELc78ELc78EKDF16_KffEEvlllT_PT11_llS5_llS3_PT12_llPT13_lli.num_named_barrier, 0
	.set _ZN12_GLOBAL__N_135rocblas_gemm_batched_general_kernelIfLi16ELi16ELi32ELi32ELi8ELi32ELi8ELi8ELi32ELc78ELc78EKDF16_KffEEvlllT_PT11_llS5_llS3_PT12_llPT13_lli.private_seg_size, 0
	.set _ZN12_GLOBAL__N_135rocblas_gemm_batched_general_kernelIfLi16ELi16ELi32ELi32ELi8ELi32ELi8ELi8ELi32ELc78ELc78EKDF16_KffEEvlllT_PT11_llS5_llS3_PT12_llPT13_lli.uses_vcc, 1
	.set _ZN12_GLOBAL__N_135rocblas_gemm_batched_general_kernelIfLi16ELi16ELi32ELi32ELi8ELi32ELi8ELi8ELi32ELc78ELc78EKDF16_KffEEvlllT_PT11_llS5_llS3_PT12_llPT13_lli.uses_flat_scratch, 0
	.set _ZN12_GLOBAL__N_135rocblas_gemm_batched_general_kernelIfLi16ELi16ELi32ELi32ELi8ELi32ELi8ELi8ELi32ELc78ELc78EKDF16_KffEEvlllT_PT11_llS5_llS3_PT12_llPT13_lli.has_dyn_sized_stack, 0
	.set _ZN12_GLOBAL__N_135rocblas_gemm_batched_general_kernelIfLi16ELi16ELi32ELi32ELi8ELi32ELi8ELi8ELi32ELc78ELc78EKDF16_KffEEvlllT_PT11_llS5_llS3_PT12_llPT13_lli.has_recursion, 0
	.set _ZN12_GLOBAL__N_135rocblas_gemm_batched_general_kernelIfLi16ELi16ELi32ELi32ELi8ELi32ELi8ELi8ELi32ELc78ELc78EKDF16_KffEEvlllT_PT11_llS5_llS3_PT12_llPT13_lli.has_indirect_call, 0
	.section	.AMDGPU.csdata,"",@progbits
; Kernel info:
; codeLenInByte = 1888
; TotalNumSgprs: 32
; NumVgprs: 44
; ScratchSize: 0
; MemoryBound: 0
; FloatMode: 240
; IeeeMode: 1
; LDSByteSize: 2048 bytes/workgroup (compile time only)
; SGPRBlocks: 0
; VGPRBlocks: 5
; NumSGPRsForWavesPerEU: 32
; NumVGPRsForWavesPerEU: 44
; Occupancy: 16
; WaveLimiterHint : 0
; COMPUTE_PGM_RSRC2:SCRATCH_EN: 0
; COMPUTE_PGM_RSRC2:USER_SGPR: 6
; COMPUTE_PGM_RSRC2:TRAP_HANDLER: 0
; COMPUTE_PGM_RSRC2:TGID_X_EN: 1
; COMPUTE_PGM_RSRC2:TGID_Y_EN: 1
; COMPUTE_PGM_RSRC2:TGID_Z_EN: 1
; COMPUTE_PGM_RSRC2:TIDIG_COMP_CNT: 1
	.section	.text._ZN12_GLOBAL__N_135rocblas_gemm_batched_general_kernelIfLi16ELi16ELi32ELi32ELi8ELi32ELi8ELi8ELi32ELc84ELc78EKDF16_KffEEvlllT_PT11_llS5_llS3_PT12_llPT13_lli,"axG",@progbits,_ZN12_GLOBAL__N_135rocblas_gemm_batched_general_kernelIfLi16ELi16ELi32ELi32ELi8ELi32ELi8ELi8ELi32ELc84ELc78EKDF16_KffEEvlllT_PT11_llS5_llS3_PT12_llPT13_lli,comdat
	.globl	_ZN12_GLOBAL__N_135rocblas_gemm_batched_general_kernelIfLi16ELi16ELi32ELi32ELi8ELi32ELi8ELi8ELi32ELc84ELc78EKDF16_KffEEvlllT_PT11_llS5_llS3_PT12_llPT13_lli ; -- Begin function _ZN12_GLOBAL__N_135rocblas_gemm_batched_general_kernelIfLi16ELi16ELi32ELi32ELi8ELi32ELi8ELi8ELi32ELc84ELc78EKDF16_KffEEvlllT_PT11_llS5_llS3_PT12_llPT13_lli
	.p2align	8
	.type	_ZN12_GLOBAL__N_135rocblas_gemm_batched_general_kernelIfLi16ELi16ELi32ELi32ELi8ELi32ELi8ELi8ELi32ELc84ELc78EKDF16_KffEEvlllT_PT11_llS5_llS3_PT12_llPT13_lli,@function
_ZN12_GLOBAL__N_135rocblas_gemm_batched_general_kernelIfLi16ELi16ELi32ELi32ELi8ELi32ELi8ELi8ELi32ELc84ELc78EKDF16_KffEEvlllT_PT11_llS5_llS3_PT12_llPT13_lli: ; @_ZN12_GLOBAL__N_135rocblas_gemm_batched_general_kernelIfLi16ELi16ELi32ELi32ELi8ELi32ELi8ELi8ELi32ELc84ELc78EKDF16_KffEEvlllT_PT11_llS5_llS3_PT12_llPT13_lli
; %bb.0:
	s_clause 0x1
	s_load_dwordx2 s[10:11], s[4:5], 0x10
	s_load_dwordx4 s[20:23], s[4:5], 0x0
	s_mov_b32 s0, s7
	v_mov_b32_e32 v10, 0
	v_mov_b32_e32 v9, 0
	;; [unrolled: 1-line block ×4, first 2 shown]
	s_ashr_i32 s7, s6, 31
	s_ashr_i32 s1, s0, 31
	s_lshl_b64 s[6:7], s[6:7], 5
	s_waitcnt lgkmcnt(0)
	v_cmp_lt_i64_e64 s2, s[10:11], 1
	s_and_b32 vcc_lo, exec_lo, s2
	s_lshl_b64 s[2:3], s[0:1], 5
	s_cbranch_vccnz .LBB409_7
; %bb.1:
	s_clause 0x1
	s_load_dwordx4 s[24:27], s[4:5], 0x40
	s_load_dwordx8 s[12:19], s[4:5], 0x20
	v_lshl_add_u32 v2, v1, 4, v0
	v_and_b32_e32 v6, 7, v0
	v_mov_b32_e32 v3, s7
	v_mov_b32_e32 v7, 0
	v_lshlrev_b32_e32 v14, 2, v0
	v_lshrrev_b32_e32 v9, 3, v2
	v_and_b32_e32 v8, 31, v2
	v_lshrrev_b32_e32 v11, 5, v2
	v_lshlrev_b32_e32 v13, 2, v6
	v_lshl_add_u32 v15, v1, 5, 0x400
	v_add_co_u32 v4, s0, v9, s2
	v_or_b32_e32 v2, s6, v8
	v_lshlrev_b32_e32 v10, 2, v8
	v_add_co_ci_u32_e64 v5, null, 0, s3, s0
	v_add_co_u32 v8, s9, s6, v8
	v_cmp_gt_i64_e64 s0, s[20:21], v[2:3]
	v_lshl_or_b32 v12, v11, 7, v10
	v_cmp_gt_i64_e64 s1, s[22:23], v[4:5]
	s_waitcnt lgkmcnt(0)
	v_mul_lo_u32 v10, s25, v4
	v_mul_lo_u32 v5, s24, v5
	v_mad_u64_u32 v[2:3], null, s24, v4, 0
	v_lshl_or_b32 v4, v9, 5, v13
	v_add_co_ci_u32_e64 v9, null, s7, 0, s9
	s_mul_i32 s9, s27, s8
	v_add_nc_u32_e32 v13, 0x400, v4
	v_add3_u32 v3, v3, v5, v10
	v_mul_lo_u32 v10, s15, v8
	v_mul_lo_u32 v9, s14, v9
	v_mad_u64_u32 v[4:5], null, s14, v8, 0
	s_mul_hi_u32 s14, s26, s8
	v_lshlrev_b64 v[2:3], 1, v[2:3]
	s_add_i32 s15, s14, s9
	s_mul_i32 s14, s26, s8
	s_mul_i32 s9, s17, s8
	s_lshl_b64 s[14:15], s[14:15], 1
	v_add3_u32 v5, v5, v9, v10
	v_add_co_u32 v8, vcc_lo, v2, s14
	v_add_co_ci_u32_e64 v9, null, s15, v3, vcc_lo
	s_mul_hi_u32 s14, s16, s8
	v_lshlrev_b64 v[2:3], 1, v[4:5]
	s_add_i32 s15, s14, s9
	s_mul_i32 s14, s16, s8
	v_lshlrev_b32_e32 v4, 1, v6
	s_lshl_b64 s[14:15], s[14:15], 1
	v_lshlrev_b32_e32 v5, 1, v11
	v_add_co_u32 v2, vcc_lo, v2, s14
	v_add_co_ci_u32_e64 v3, null, s15, v3, vcc_lo
	v_add_co_u32 v4, vcc_lo, v8, v4
	v_add_co_ci_u32_e64 v8, null, 0, v9, vcc_lo
	;; [unrolled: 2-line block ×5, first 2 shown]
	v_mov_b32_e32 v8, 0
	v_mov_b32_e32 v9, 0
	;; [unrolled: 1-line block ×3, first 2 shown]
	s_mov_b64 s[12:13], 0
	s_branch .LBB409_3
.LBB409_2:                              ;   in Loop: Header=BB409_3 Depth=1
	s_or_b32 exec_lo, exec_lo, s9
	ds_write_b32 v13, v17
	s_waitcnt lgkmcnt(0)
	s_barrier
	buffer_gl0_inv
	ds_read_b128 v[16:19], v15
	ds_read2_b32 v[32:33], v14 offset1:16
	ds_read_b128 v[20:23], v15 offset:512
	ds_read2_b32 v[34:35], v14 offset0:32 offset1:48
	ds_read2_b32 v[36:37], v14 offset0:64 offset1:80
	;; [unrolled: 1-line block ×3, first 2 shown]
	ds_read_b128 v[24:27], v15 offset:16
	ds_read2_b32 v[40:41], v14 offset0:128 offset1:144
	ds_read_b128 v[28:31], v15 offset:528
	ds_read2_b32 v[42:43], v14 offset0:160 offset1:176
	s_add_u32 s12, s12, 8
	s_addc_u32 s13, s13, 0
	v_add_co_u32 v2, vcc_lo, v2, 16
	v_cmp_lt_i64_e64 s9, s[12:13], s[10:11]
	v_add_co_ci_u32_e64 v3, null, 0, v3, vcc_lo
	v_add_co_u32 v4, vcc_lo, v4, 16
	v_add_co_ci_u32_e64 v5, null, 0, v5, vcc_lo
	s_waitcnt lgkmcnt(8)
	v_fmac_f32_e32 v10, v32, v16
	v_fmac_f32_e32 v9, v33, v16
	s_waitcnt lgkmcnt(7)
	v_fmac_f32_e32 v8, v32, v20
	v_fmac_f32_e32 v7, v33, v20
	ds_read2_b32 v[32:33], v14 offset0:192 offset1:208
	s_waitcnt lgkmcnt(7)
	v_fmac_f32_e32 v10, v34, v17
	v_fmac_f32_e32 v9, v35, v17
	;; [unrolled: 1-line block ×4, first 2 shown]
	ds_read2_b32 v[16:17], v14 offset0:224 offset1:240
	s_waitcnt lgkmcnt(7)
	v_fmac_f32_e32 v10, v36, v18
	v_fmac_f32_e32 v9, v37, v18
	;; [unrolled: 1-line block ×4, first 2 shown]
	s_and_b32 vcc_lo, exec_lo, s9
	s_waitcnt lgkmcnt(6)
	v_fmac_f32_e32 v10, v38, v19
	v_fmac_f32_e32 v9, v39, v19
	v_fmac_f32_e32 v8, v38, v23
	v_fmac_f32_e32 v7, v39, v23
	s_waitcnt lgkmcnt(0)
	v_fmac_f32_e32 v10, v40, v24
	v_fmac_f32_e32 v9, v41, v24
	;; [unrolled: 1-line block ×4, first 2 shown]
	s_barrier
	v_fmac_f32_e32 v10, v42, v25
	v_fmac_f32_e32 v9, v43, v25
	;; [unrolled: 1-line block ×4, first 2 shown]
	buffer_gl0_inv
	v_fmac_f32_e32 v10, v32, v26
	v_fmac_f32_e32 v9, v33, v26
	;; [unrolled: 1-line block ×8, first 2 shown]
	s_cbranch_vccz .LBB409_7
.LBB409_3:                              ; =>This Inner Loop Header: Depth=1
	v_add_co_u32 v16, s9, v11, s12
	v_add_co_ci_u32_e64 v17, null, 0, s13, s9
	v_cmp_gt_i64_e32 vcc_lo, s[10:11], v[16:17]
	v_mov_b32_e32 v16, 0
	s_and_b32 s14, s0, vcc_lo
	s_and_saveexec_b32 s9, s14
	s_cbranch_execz .LBB409_5
; %bb.4:                                ;   in Loop: Header=BB409_3 Depth=1
	global_load_ushort v16, v[4:5], off
	s_waitcnt vmcnt(0)
	v_cvt_f32_f16_e32 v16, v16
.LBB409_5:                              ;   in Loop: Header=BB409_3 Depth=1
	s_or_b32 exec_lo, exec_lo, s9
	v_add_co_u32 v17, s9, v6, s12
	v_add_co_ci_u32_e64 v18, null, 0, s13, s9
	ds_write_b32 v12, v16
	v_cmp_gt_i64_e32 vcc_lo, s[10:11], v[17:18]
	v_mov_b32_e32 v17, 0
	s_and_b32 s14, vcc_lo, s1
	s_and_saveexec_b32 s9, s14
	s_cbranch_execz .LBB409_2
; %bb.6:                                ;   in Loop: Header=BB409_3 Depth=1
	global_load_ushort v16, v[2:3], off
	s_waitcnt vmcnt(0)
	v_cvt_f32_f16_e32 v17, v16
	s_branch .LBB409_2
.LBB409_7:
	s_clause 0x3
	s_load_dwordx4 s[24:27], s[4:5], 0x78
	s_load_dword s9, s[4:5], 0x50
	s_load_dwordx8 s[12:19], s[4:5], 0x58
	s_load_dword s4, s[4:5], 0x18
	v_add_co_u32 v1, s0, s2, v1
	v_add_co_ci_u32_e64 v2, null, s3, 0, s0
	s_waitcnt lgkmcnt(0)
	s_mul_i32 s1, s27, s8
	s_mul_hi_u32 s2, s26, s8
	s_mul_i32 s0, s26, s8
	s_add_i32 s1, s2, s1
	v_cmp_neq_f32_e64 s2, s9, 0
	s_lshl_b64 s[10:11], s[0:1], 2
	v_cmp_gt_i64_e64 s0, s[22:23], v[1:2]
	s_add_u32 s3, s18, s10
	s_addc_u32 s5, s19, s11
	s_and_b32 vcc_lo, exec_lo, s2
	s_cbranch_vccnz .LBB409_20
; %bb.8:
	s_and_saveexec_b32 s10, s0
	s_cbranch_execz .LBB409_18
; %bb.9:
	v_mul_lo_u32 v5, v2, s24
	v_mul_lo_u32 v6, v1, s25
	v_mad_u64_u32 v[3:4], null, v1, s24, 0
	v_add3_u32 v4, v4, v6, v5
	v_add_co_u32 v5, s1, s6, v0
	v_add_co_ci_u32_e64 v6, null, s7, 0, s1
	v_lshlrev_b64 v[11:12], 2, v[3:4]
	v_cmp_gt_i64_e32 vcc_lo, s[20:21], v[5:6]
	v_lshlrev_b64 v[3:4], 2, v[5:6]
	v_add_co_u32 v11, s1, s3, v11
	v_add_co_ci_u32_e64 v12, null, s5, v12, s1
	s_and_saveexec_b32 s2, vcc_lo
	s_cbranch_execz .LBB409_11
; %bb.10:
	v_add_co_u32 v13, s1, v11, v3
	v_add_co_ci_u32_e64 v14, null, v12, v4, s1
	v_mul_f32_e32 v15, s4, v10
	global_store_dword v[13:14], v15, off
.LBB409_11:
	s_or_b32 exec_lo, exec_lo, s2
	v_add_co_u32 v5, s1, v5, 16
	v_add_co_ci_u32_e64 v6, null, 0, v6, s1
	v_cmp_gt_i64_e64 s1, s[20:21], v[5:6]
	s_and_saveexec_b32 s11, s1
	s_cbranch_execz .LBB409_13
; %bb.12:
	v_add_co_u32 v5, s2, v11, v3
	v_add_co_ci_u32_e64 v6, null, v12, v4, s2
	v_mul_f32_e32 v13, s4, v9
	global_store_dword v[5:6], v13, off offset:64
.LBB409_13:
	s_or_b32 exec_lo, exec_lo, s11
	v_add_co_u32 v5, s2, v1, 16
	v_add_co_ci_u32_e64 v6, null, 0, v2, s2
	v_cmp_gt_i64_e64 s2, s[22:23], v[5:6]
	s_and_b32 exec_lo, exec_lo, s2
	s_cbranch_execz .LBB409_18
; %bb.14:
	s_lshl_b64 s[18:19], s[24:25], 6
	v_add_co_u32 v5, s2, v11, s18
	v_add_co_ci_u32_e64 v6, null, s19, v12, s2
	v_add_co_u32 v3, s2, v5, v3
	v_add_co_ci_u32_e64 v4, null, v6, v4, s2
	s_and_saveexec_b32 s2, vcc_lo
	s_cbranch_execz .LBB409_16
; %bb.15:
	v_mul_f32_e32 v5, s4, v8
	global_store_dword v[3:4], v5, off
.LBB409_16:
	s_or_b32 exec_lo, exec_lo, s2
	s_and_b32 exec_lo, exec_lo, s1
	s_cbranch_execz .LBB409_18
; %bb.17:
	v_mul_f32_e32 v5, s4, v7
	global_store_dword v[3:4], v5, off offset:64
.LBB409_18:
	s_or_b32 exec_lo, exec_lo, s10
	s_cbranch_execz .LBB409_21
.LBB409_19:
	s_endpgm
.LBB409_20:
.LBB409_21:
	s_and_saveexec_b32 s1, s0
	s_cbranch_execz .LBB409_19
; %bb.22:
	v_mul_lo_u32 v5, v2, s14
	v_mul_lo_u32 v6, v1, s15
	v_mad_u64_u32 v[3:4], null, v1, s14, 0
	v_mul_lo_u32 v13, v2, s24
	v_mul_lo_u32 v14, v1, s25
	v_mad_u64_u32 v[11:12], null, v1, s24, 0
	s_mul_i32 s0, s17, s8
	s_mul_hi_u32 s1, s16, s8
	v_add3_u32 v4, v4, v6, v5
	s_add_i32 s1, s1, s0
	s_mul_i32 s0, s16, s8
	v_add_co_u32 v5, s2, s6, v0
	v_add3_u32 v12, v12, v14, v13
	v_lshlrev_b64 v[3:4], 2, v[3:4]
	s_lshl_b64 s[0:1], s[0:1], 2
	v_add_co_ci_u32_e64 v6, null, s7, 0, s2
	v_lshlrev_b64 v[12:13], 2, v[11:12]
	s_add_u32 s0, s12, s0
	s_addc_u32 s1, s13, s1
	v_add_co_u32 v0, s0, s0, v3
	v_add_co_ci_u32_e64 v11, null, s1, v4, s0
	v_add_co_u32 v12, s0, s3, v12
	v_cmp_gt_i64_e32 vcc_lo, s[20:21], v[5:6]
	v_lshlrev_b64 v[3:4], 2, v[5:6]
	v_add_co_ci_u32_e64 v13, null, s5, v13, s0
	s_and_saveexec_b32 s1, vcc_lo
	s_cbranch_execz .LBB409_24
; %bb.23:
	v_add_co_u32 v14, s0, v0, v3
	v_add_co_ci_u32_e64 v15, null, v11, v4, s0
	global_load_dword v14, v[14:15], off
	s_waitcnt vmcnt(0)
	v_mul_f32_e32 v16, s9, v14
	v_add_co_u32 v14, s0, v12, v3
	v_add_co_ci_u32_e64 v15, null, v13, v4, s0
	v_fmac_f32_e32 v16, s4, v10
	global_store_dword v[14:15], v16, off
.LBB409_24:
	s_or_b32 exec_lo, exec_lo, s1
	v_add_co_u32 v5, s0, v5, 16
	v_add_co_ci_u32_e64 v6, null, 0, v6, s0
	v_cmp_gt_i64_e64 s0, s[20:21], v[5:6]
	s_and_saveexec_b32 s2, s0
	s_cbranch_execz .LBB409_26
; %bb.25:
	v_add_co_u32 v5, s1, v0, v3
	v_add_co_ci_u32_e64 v6, null, v11, v4, s1
	global_load_dword v5, v[5:6], off offset:64
	s_waitcnt vmcnt(0)
	v_mul_f32_e32 v10, s9, v5
	v_add_co_u32 v5, s1, v12, v3
	v_add_co_ci_u32_e64 v6, null, v13, v4, s1
	v_fmac_f32_e32 v10, s4, v9
	global_store_dword v[5:6], v10, off offset:64
.LBB409_26:
	s_or_b32 exec_lo, exec_lo, s2
	v_add_co_u32 v1, s1, v1, 16
	v_add_co_ci_u32_e64 v2, null, 0, v2, s1
	v_cmp_gt_i64_e64 s1, s[22:23], v[1:2]
	s_and_b32 exec_lo, exec_lo, s1
	s_cbranch_execz .LBB409_19
; %bb.27:
	s_lshl_b64 s[2:3], s[14:15], 6
	v_add_co_u32 v0, s1, v0, s2
	v_add_co_ci_u32_e64 v1, null, s3, v11, s1
	s_lshl_b64 s[2:3], s[24:25], 6
	v_add_co_u32 v2, s1, v12, s2
	v_add_co_ci_u32_e64 v5, null, s3, v13, s1
	v_add_co_u32 v0, s1, v0, v3
	v_add_co_ci_u32_e64 v1, null, v1, v4, s1
	;; [unrolled: 2-line block ×3, first 2 shown]
	s_and_saveexec_b32 s1, vcc_lo
	s_cbranch_execz .LBB409_29
; %bb.28:
	global_load_dword v4, v[0:1], off
	s_waitcnt vmcnt(0)
	v_mul_f32_e32 v4, s9, v4
	v_fmac_f32_e32 v4, s4, v8
	global_store_dword v[2:3], v4, off
.LBB409_29:
	s_or_b32 exec_lo, exec_lo, s1
	s_and_b32 exec_lo, exec_lo, s0
	s_cbranch_execz .LBB409_19
; %bb.30:
	global_load_dword v0, v[0:1], off offset:64
	s_waitcnt vmcnt(0)
	v_mul_f32_e32 v0, s9, v0
	v_fmac_f32_e32 v0, s4, v7
	global_store_dword v[2:3], v0, off offset:64
	s_endpgm
	.section	.rodata,"a",@progbits
	.p2align	6, 0x0
	.amdhsa_kernel _ZN12_GLOBAL__N_135rocblas_gemm_batched_general_kernelIfLi16ELi16ELi32ELi32ELi8ELi32ELi8ELi8ELi32ELc84ELc78EKDF16_KffEEvlllT_PT11_llS5_llS3_PT12_llPT13_lli
		.amdhsa_group_segment_fixed_size 2048
		.amdhsa_private_segment_fixed_size 0
		.amdhsa_kernarg_size 140
		.amdhsa_user_sgpr_count 6
		.amdhsa_user_sgpr_private_segment_buffer 1
		.amdhsa_user_sgpr_dispatch_ptr 0
		.amdhsa_user_sgpr_queue_ptr 0
		.amdhsa_user_sgpr_kernarg_segment_ptr 1
		.amdhsa_user_sgpr_dispatch_id 0
		.amdhsa_user_sgpr_flat_scratch_init 0
		.amdhsa_user_sgpr_private_segment_size 0
		.amdhsa_wavefront_size32 1
		.amdhsa_uses_dynamic_stack 0
		.amdhsa_system_sgpr_private_segment_wavefront_offset 0
		.amdhsa_system_sgpr_workgroup_id_x 1
		.amdhsa_system_sgpr_workgroup_id_y 1
		.amdhsa_system_sgpr_workgroup_id_z 1
		.amdhsa_system_sgpr_workgroup_info 0
		.amdhsa_system_vgpr_workitem_id 1
		.amdhsa_next_free_vgpr 44
		.amdhsa_next_free_sgpr 28
		.amdhsa_reserve_vcc 1
		.amdhsa_reserve_flat_scratch 0
		.amdhsa_float_round_mode_32 0
		.amdhsa_float_round_mode_16_64 0
		.amdhsa_float_denorm_mode_32 3
		.amdhsa_float_denorm_mode_16_64 3
		.amdhsa_dx10_clamp 1
		.amdhsa_ieee_mode 1
		.amdhsa_fp16_overflow 0
		.amdhsa_workgroup_processor_mode 1
		.amdhsa_memory_ordered 1
		.amdhsa_forward_progress 1
		.amdhsa_shared_vgpr_count 0
		.amdhsa_exception_fp_ieee_invalid_op 0
		.amdhsa_exception_fp_denorm_src 0
		.amdhsa_exception_fp_ieee_div_zero 0
		.amdhsa_exception_fp_ieee_overflow 0
		.amdhsa_exception_fp_ieee_underflow 0
		.amdhsa_exception_fp_ieee_inexact 0
		.amdhsa_exception_int_div_zero 0
	.end_amdhsa_kernel
	.section	.text._ZN12_GLOBAL__N_135rocblas_gemm_batched_general_kernelIfLi16ELi16ELi32ELi32ELi8ELi32ELi8ELi8ELi32ELc84ELc78EKDF16_KffEEvlllT_PT11_llS5_llS3_PT12_llPT13_lli,"axG",@progbits,_ZN12_GLOBAL__N_135rocblas_gemm_batched_general_kernelIfLi16ELi16ELi32ELi32ELi8ELi32ELi8ELi8ELi32ELc84ELc78EKDF16_KffEEvlllT_PT11_llS5_llS3_PT12_llPT13_lli,comdat
.Lfunc_end409:
	.size	_ZN12_GLOBAL__N_135rocblas_gemm_batched_general_kernelIfLi16ELi16ELi32ELi32ELi8ELi32ELi8ELi8ELi32ELc84ELc78EKDF16_KffEEvlllT_PT11_llS5_llS3_PT12_llPT13_lli, .Lfunc_end409-_ZN12_GLOBAL__N_135rocblas_gemm_batched_general_kernelIfLi16ELi16ELi32ELi32ELi8ELi32ELi8ELi8ELi32ELc84ELc78EKDF16_KffEEvlllT_PT11_llS5_llS3_PT12_llPT13_lli
                                        ; -- End function
	.set _ZN12_GLOBAL__N_135rocblas_gemm_batched_general_kernelIfLi16ELi16ELi32ELi32ELi8ELi32ELi8ELi8ELi32ELc84ELc78EKDF16_KffEEvlllT_PT11_llS5_llS3_PT12_llPT13_lli.num_vgpr, 44
	.set _ZN12_GLOBAL__N_135rocblas_gemm_batched_general_kernelIfLi16ELi16ELi32ELi32ELi8ELi32ELi8ELi8ELi32ELc84ELc78EKDF16_KffEEvlllT_PT11_llS5_llS3_PT12_llPT13_lli.num_agpr, 0
	.set _ZN12_GLOBAL__N_135rocblas_gemm_batched_general_kernelIfLi16ELi16ELi32ELi32ELi8ELi32ELi8ELi8ELi32ELc84ELc78EKDF16_KffEEvlllT_PT11_llS5_llS3_PT12_llPT13_lli.numbered_sgpr, 28
	.set _ZN12_GLOBAL__N_135rocblas_gemm_batched_general_kernelIfLi16ELi16ELi32ELi32ELi8ELi32ELi8ELi8ELi32ELc84ELc78EKDF16_KffEEvlllT_PT11_llS5_llS3_PT12_llPT13_lli.num_named_barrier, 0
	.set _ZN12_GLOBAL__N_135rocblas_gemm_batched_general_kernelIfLi16ELi16ELi32ELi32ELi8ELi32ELi8ELi8ELi32ELc84ELc78EKDF16_KffEEvlllT_PT11_llS5_llS3_PT12_llPT13_lli.private_seg_size, 0
	.set _ZN12_GLOBAL__N_135rocblas_gemm_batched_general_kernelIfLi16ELi16ELi32ELi32ELi8ELi32ELi8ELi8ELi32ELc84ELc78EKDF16_KffEEvlllT_PT11_llS5_llS3_PT12_llPT13_lli.uses_vcc, 1
	.set _ZN12_GLOBAL__N_135rocblas_gemm_batched_general_kernelIfLi16ELi16ELi32ELi32ELi8ELi32ELi8ELi8ELi32ELc84ELc78EKDF16_KffEEvlllT_PT11_llS5_llS3_PT12_llPT13_lli.uses_flat_scratch, 0
	.set _ZN12_GLOBAL__N_135rocblas_gemm_batched_general_kernelIfLi16ELi16ELi32ELi32ELi8ELi32ELi8ELi8ELi32ELc84ELc78EKDF16_KffEEvlllT_PT11_llS5_llS3_PT12_llPT13_lli.has_dyn_sized_stack, 0
	.set _ZN12_GLOBAL__N_135rocblas_gemm_batched_general_kernelIfLi16ELi16ELi32ELi32ELi8ELi32ELi8ELi8ELi32ELc84ELc78EKDF16_KffEEvlllT_PT11_llS5_llS3_PT12_llPT13_lli.has_recursion, 0
	.set _ZN12_GLOBAL__N_135rocblas_gemm_batched_general_kernelIfLi16ELi16ELi32ELi32ELi8ELi32ELi8ELi8ELi32ELc84ELc78EKDF16_KffEEvlllT_PT11_llS5_llS3_PT12_llPT13_lli.has_indirect_call, 0
	.section	.AMDGPU.csdata,"",@progbits
; Kernel info:
; codeLenInByte = 1896
; TotalNumSgprs: 30
; NumVgprs: 44
; ScratchSize: 0
; MemoryBound: 0
; FloatMode: 240
; IeeeMode: 1
; LDSByteSize: 2048 bytes/workgroup (compile time only)
; SGPRBlocks: 0
; VGPRBlocks: 5
; NumSGPRsForWavesPerEU: 30
; NumVGPRsForWavesPerEU: 44
; Occupancy: 16
; WaveLimiterHint : 0
; COMPUTE_PGM_RSRC2:SCRATCH_EN: 0
; COMPUTE_PGM_RSRC2:USER_SGPR: 6
; COMPUTE_PGM_RSRC2:TRAP_HANDLER: 0
; COMPUTE_PGM_RSRC2:TGID_X_EN: 1
; COMPUTE_PGM_RSRC2:TGID_Y_EN: 1
; COMPUTE_PGM_RSRC2:TGID_Z_EN: 1
; COMPUTE_PGM_RSRC2:TIDIG_COMP_CNT: 1
	.section	.text._ZN12_GLOBAL__N_135rocblas_gemm_batched_general_kernelIfLi16ELi16ELi32ELi32ELi8ELi32ELi8ELi8ELi32ELc78ELc84EKDF16_KffEEvlllT_PT11_llS5_llS3_PT12_llPT13_lli,"axG",@progbits,_ZN12_GLOBAL__N_135rocblas_gemm_batched_general_kernelIfLi16ELi16ELi32ELi32ELi8ELi32ELi8ELi8ELi32ELc78ELc84EKDF16_KffEEvlllT_PT11_llS5_llS3_PT12_llPT13_lli,comdat
	.globl	_ZN12_GLOBAL__N_135rocblas_gemm_batched_general_kernelIfLi16ELi16ELi32ELi32ELi8ELi32ELi8ELi8ELi32ELc78ELc84EKDF16_KffEEvlllT_PT11_llS5_llS3_PT12_llPT13_lli ; -- Begin function _ZN12_GLOBAL__N_135rocblas_gemm_batched_general_kernelIfLi16ELi16ELi32ELi32ELi8ELi32ELi8ELi8ELi32ELc78ELc84EKDF16_KffEEvlllT_PT11_llS5_llS3_PT12_llPT13_lli
	.p2align	8
	.type	_ZN12_GLOBAL__N_135rocblas_gemm_batched_general_kernelIfLi16ELi16ELi32ELi32ELi8ELi32ELi8ELi8ELi32ELc78ELc84EKDF16_KffEEvlllT_PT11_llS5_llS3_PT12_llPT13_lli,@function
_ZN12_GLOBAL__N_135rocblas_gemm_batched_general_kernelIfLi16ELi16ELi32ELi32ELi8ELi32ELi8ELi8ELi32ELc78ELc84EKDF16_KffEEvlllT_PT11_llS5_llS3_PT12_llPT13_lli: ; @_ZN12_GLOBAL__N_135rocblas_gemm_batched_general_kernelIfLi16ELi16ELi32ELi32ELi8ELi32ELi8ELi8ELi32ELc78ELc84EKDF16_KffEEvlllT_PT11_llS5_llS3_PT12_llPT13_lli
; %bb.0:
	s_clause 0x1
	s_load_dwordx2 s[28:29], s[4:5], 0x10
	s_load_dwordx4 s[20:23], s[4:5], 0x0
	s_mov_b32 s0, s7
	v_mov_b32_e32 v10, 0
	v_mov_b32_e32 v9, 0
	;; [unrolled: 1-line block ×4, first 2 shown]
	s_ashr_i32 s7, s6, 31
	s_ashr_i32 s1, s0, 31
	s_lshl_b64 s[10:11], s[6:7], 5
	s_waitcnt lgkmcnt(0)
	v_cmp_lt_i64_e64 s2, s[28:29], 1
	s_and_b32 vcc_lo, exec_lo, s2
	s_lshl_b64 s[2:3], s[0:1], 5
	s_cbranch_vccnz .LBB410_7
; %bb.1:
	s_clause 0x1
	s_load_dwordx4 s[24:27], s[4:5], 0x40
	s_load_dwordx8 s[12:19], s[4:5], 0x20
	v_lshl_add_u32 v2, v1, 4, v0
	v_and_b32_e32 v6, 7, v0
	v_mov_b32_e32 v3, s11
	s_lshl_b64 s[30:31], s[0:1], 6
	v_mov_b32_e32 v7, 0
	v_and_b32_e32 v10, 31, v2
	v_lshrrev_b32_e32 v14, 3, v2
	v_lshrrev_b32_e32 v13, 5, v2
	v_lshlrev_b32_e32 v15, 2, v6
	v_lshlrev_b32_e32 v11, 2, v0
	v_or_b32_e32 v2, s10, v10
	v_lshlrev_b32_e32 v16, 2, v10
	v_add_co_u32 v8, s0, v14, s2
	v_add_co_ci_u32_e64 v9, null, 0, s3, s0
	v_lshl_or_b32 v15, v14, 5, v15
	v_lshlrev_b32_e32 v18, 1, v14
	s_waitcnt lgkmcnt(0)
	v_mad_u64_u32 v[4:5], null, s24, v6, 0
	v_cmp_gt_i64_e64 s0, s[20:21], v[2:3]
	v_lshl_or_b32 v14, v13, 7, v16
	v_mad_u64_u32 v[16:17], null, s14, v13, 0
	s_mul_i32 s9, s27, s8
	s_mul_hi_u32 s27, s26, s8
	v_mov_b32_e32 v2, v5
	s_mul_i32 s26, s26, s8
	s_add_i32 s27, s27, s9
	s_mul_i32 s17, s17, s8
	s_lshl_b64 s[26:27], s[26:27], 1
	v_mad_u64_u32 v[2:3], null, s25, v6, v[2:3]
	v_mov_b32_e32 v3, v17
	s_mul_hi_u32 s33, s16, s8
	s_add_u32 s9, s30, s26
	s_mul_i32 s16, s16, s8
	s_addc_u32 s26, s31, s27
	s_add_i32 s17, s33, s17
	v_mov_b32_e32 v5, v2
	v_mad_u64_u32 v[2:3], null, s15, v13, v[3:4]
	s_lshl_b64 s[16:17], s[16:17], 1
	v_cmp_gt_i64_e64 s1, s[22:23], v[8:9]
	v_lshlrev_b64 v[3:4], 1, v[4:5]
	v_lshlrev_b32_e32 v8, 1, v10
	v_lshl_add_u32 v12, v1, 5, 0x400
	v_add_nc_u32_e32 v15, 0x400, v15
	v_mov_b32_e32 v17, v2
	v_mov_b32_e32 v10, 0
	v_add_co_u32 v5, vcc_lo, s9, v3
	v_add_co_ci_u32_e64 v4, null, s26, v4, vcc_lo
	v_lshlrev_b64 v[2:3], 1, v[16:17]
	s_lshl_b64 s[26:27], s[6:7], 6
	s_lshl_b64 s[6:7], s[24:25], 4
	s_add_u32 s9, s26, s16
	s_addc_u32 s16, s27, s17
	v_add_co_u32 v2, vcc_lo, s9, v2
	v_add_co_ci_u32_e64 v3, null, s16, v3, vcc_lo
	v_add_co_u32 v5, vcc_lo, v5, v18
	v_add_co_ci_u32_e64 v4, null, 0, v4, vcc_lo
	;; [unrolled: 2-line block ×5, first 2 shown]
	v_mov_b32_e32 v8, 0
	v_mov_b32_e32 v9, 0
	s_lshl_b64 s[12:13], s[14:15], 4
	s_mov_b64 s[14:15], 0
	s_branch .LBB410_3
.LBB410_2:                              ;   in Loop: Header=BB410_3 Depth=1
	s_or_b32 exec_lo, exec_lo, s9
	ds_write_b32 v15, v17
	s_waitcnt lgkmcnt(0)
	s_barrier
	buffer_gl0_inv
	ds_read_b128 v[16:19], v12
	ds_read2_b32 v[32:33], v11 offset1:16
	ds_read_b128 v[20:23], v12 offset:512
	ds_read2_b32 v[34:35], v11 offset0:32 offset1:48
	ds_read2_b32 v[36:37], v11 offset0:64 offset1:80
	;; [unrolled: 1-line block ×3, first 2 shown]
	ds_read_b128 v[24:27], v12 offset:16
	ds_read2_b32 v[40:41], v11 offset0:128 offset1:144
	ds_read_b128 v[28:31], v12 offset:528
	ds_read2_b32 v[42:43], v11 offset0:160 offset1:176
	s_add_u32 s14, s14, 8
	s_addc_u32 s15, s15, 0
	v_add_co_u32 v2, vcc_lo, v2, s6
	v_cmp_lt_i64_e64 s9, s[14:15], s[28:29]
	v_add_co_ci_u32_e64 v3, null, s7, v3, vcc_lo
	v_add_co_u32 v4, vcc_lo, v4, s12
	v_add_co_ci_u32_e64 v5, null, s13, v5, vcc_lo
	s_waitcnt lgkmcnt(8)
	v_fmac_f32_e32 v10, v32, v16
	v_fmac_f32_e32 v9, v33, v16
	s_waitcnt lgkmcnt(7)
	v_fmac_f32_e32 v8, v32, v20
	v_fmac_f32_e32 v7, v33, v20
	ds_read2_b32 v[32:33], v11 offset0:192 offset1:208
	s_waitcnt lgkmcnt(7)
	v_fmac_f32_e32 v10, v34, v17
	v_fmac_f32_e32 v9, v35, v17
	;; [unrolled: 1-line block ×4, first 2 shown]
	ds_read2_b32 v[16:17], v11 offset0:224 offset1:240
	s_waitcnt lgkmcnt(7)
	v_fmac_f32_e32 v10, v36, v18
	v_fmac_f32_e32 v9, v37, v18
	;; [unrolled: 1-line block ×4, first 2 shown]
	s_and_b32 vcc_lo, exec_lo, s9
	s_waitcnt lgkmcnt(6)
	v_fmac_f32_e32 v10, v38, v19
	v_fmac_f32_e32 v9, v39, v19
	;; [unrolled: 1-line block ×4, first 2 shown]
	s_waitcnt lgkmcnt(0)
	v_fmac_f32_e32 v10, v40, v24
	v_fmac_f32_e32 v9, v41, v24
	;; [unrolled: 1-line block ×4, first 2 shown]
	s_barrier
	v_fmac_f32_e32 v10, v42, v25
	v_fmac_f32_e32 v9, v43, v25
	;; [unrolled: 1-line block ×4, first 2 shown]
	buffer_gl0_inv
	v_fmac_f32_e32 v10, v32, v26
	v_fmac_f32_e32 v9, v33, v26
	v_fmac_f32_e32 v8, v32, v30
	v_fmac_f32_e32 v7, v33, v30
	v_fmac_f32_e32 v10, v16, v27
	v_fmac_f32_e32 v9, v17, v27
	v_fmac_f32_e32 v8, v16, v31
	v_fmac_f32_e32 v7, v17, v31
	s_cbranch_vccz .LBB410_7
.LBB410_3:                              ; =>This Inner Loop Header: Depth=1
	v_add_co_u32 v16, s9, v13, s14
	v_add_co_ci_u32_e64 v17, null, 0, s15, s9
	v_cmp_gt_i64_e32 vcc_lo, s[28:29], v[16:17]
	v_mov_b32_e32 v16, 0
	s_and_b32 s16, s0, vcc_lo
	s_and_saveexec_b32 s9, s16
	s_cbranch_execz .LBB410_5
; %bb.4:                                ;   in Loop: Header=BB410_3 Depth=1
	global_load_ushort v16, v[4:5], off
	s_waitcnt vmcnt(0)
	v_cvt_f32_f16_e32 v16, v16
.LBB410_5:                              ;   in Loop: Header=BB410_3 Depth=1
	s_or_b32 exec_lo, exec_lo, s9
	v_add_co_u32 v17, s9, v6, s14
	v_add_co_ci_u32_e64 v18, null, 0, s15, s9
	ds_write_b32 v14, v16
	v_cmp_gt_i64_e32 vcc_lo, s[28:29], v[17:18]
	v_mov_b32_e32 v17, 0
	s_and_b32 s16, vcc_lo, s1
	s_and_saveexec_b32 s9, s16
	s_cbranch_execz .LBB410_2
; %bb.6:                                ;   in Loop: Header=BB410_3 Depth=1
	global_load_ushort v16, v[2:3], off
	s_waitcnt vmcnt(0)
	v_cvt_f32_f16_e32 v17, v16
	s_branch .LBB410_2
.LBB410_7:
	s_clause 0x3
	s_load_dwordx4 s[24:27], s[4:5], 0x78
	s_load_dword s6, s[4:5], 0x50
	s_load_dwordx8 s[12:19], s[4:5], 0x58
	s_load_dword s4, s[4:5], 0x18
	v_add_co_u32 v1, s0, s2, v1
	v_add_co_ci_u32_e64 v2, null, s3, 0, s0
	s_waitcnt lgkmcnt(0)
	s_mul_i32 s1, s27, s8
	s_mul_hi_u32 s2, s26, s8
	s_mul_i32 s0, s26, s8
	s_add_i32 s1, s2, s1
	v_cmp_neq_f32_e64 s2, s6, 0
	s_lshl_b64 s[26:27], s[0:1], 2
	v_cmp_gt_i64_e64 s0, s[22:23], v[1:2]
	s_add_u32 s3, s18, s26
	s_addc_u32 s5, s19, s27
	s_and_b32 vcc_lo, exec_lo, s2
	s_cbranch_vccnz .LBB410_20
; %bb.8:
	s_and_saveexec_b32 s7, s0
	s_cbranch_execz .LBB410_18
; %bb.9:
	v_mul_lo_u32 v5, v2, s24
	v_mul_lo_u32 v6, v1, s25
	v_mad_u64_u32 v[3:4], null, v1, s24, 0
	v_add3_u32 v4, v4, v6, v5
	v_add_co_u32 v5, s1, s10, v0
	v_add_co_ci_u32_e64 v6, null, s11, 0, s1
	v_lshlrev_b64 v[11:12], 2, v[3:4]
	v_cmp_gt_i64_e32 vcc_lo, s[20:21], v[5:6]
	v_lshlrev_b64 v[3:4], 2, v[5:6]
	v_add_co_u32 v11, s1, s3, v11
	v_add_co_ci_u32_e64 v12, null, s5, v12, s1
	s_and_saveexec_b32 s2, vcc_lo
	s_cbranch_execz .LBB410_11
; %bb.10:
	v_add_co_u32 v13, s1, v11, v3
	v_add_co_ci_u32_e64 v14, null, v12, v4, s1
	v_mul_f32_e32 v15, s4, v10
	global_store_dword v[13:14], v15, off
.LBB410_11:
	s_or_b32 exec_lo, exec_lo, s2
	v_add_co_u32 v5, s1, v5, 16
	v_add_co_ci_u32_e64 v6, null, 0, v6, s1
	v_cmp_gt_i64_e64 s1, s[20:21], v[5:6]
	s_and_saveexec_b32 s9, s1
	s_cbranch_execz .LBB410_13
; %bb.12:
	v_add_co_u32 v5, s2, v11, v3
	v_add_co_ci_u32_e64 v6, null, v12, v4, s2
	v_mul_f32_e32 v13, s4, v9
	global_store_dword v[5:6], v13, off offset:64
.LBB410_13:
	s_or_b32 exec_lo, exec_lo, s9
	v_add_co_u32 v5, s2, v1, 16
	v_add_co_ci_u32_e64 v6, null, 0, v2, s2
	v_cmp_gt_i64_e64 s2, s[22:23], v[5:6]
	s_and_b32 exec_lo, exec_lo, s2
	s_cbranch_execz .LBB410_18
; %bb.14:
	s_lshl_b64 s[18:19], s[24:25], 6
	v_add_co_u32 v5, s2, v11, s18
	v_add_co_ci_u32_e64 v6, null, s19, v12, s2
	v_add_co_u32 v3, s2, v5, v3
	v_add_co_ci_u32_e64 v4, null, v6, v4, s2
	s_and_saveexec_b32 s2, vcc_lo
	s_cbranch_execz .LBB410_16
; %bb.15:
	v_mul_f32_e32 v5, s4, v8
	global_store_dword v[3:4], v5, off
.LBB410_16:
	s_or_b32 exec_lo, exec_lo, s2
	s_and_b32 exec_lo, exec_lo, s1
	s_cbranch_execz .LBB410_18
; %bb.17:
	v_mul_f32_e32 v5, s4, v7
	global_store_dword v[3:4], v5, off offset:64
.LBB410_18:
	s_or_b32 exec_lo, exec_lo, s7
	s_cbranch_execz .LBB410_21
.LBB410_19:
	s_endpgm
.LBB410_20:
.LBB410_21:
	s_and_saveexec_b32 s1, s0
	s_cbranch_execz .LBB410_19
; %bb.22:
	v_mul_lo_u32 v5, v2, s14
	v_mul_lo_u32 v6, v1, s15
	v_mad_u64_u32 v[3:4], null, v1, s14, 0
	v_mul_lo_u32 v13, v2, s24
	v_mul_lo_u32 v14, v1, s25
	v_mad_u64_u32 v[11:12], null, v1, s24, 0
	s_mul_i32 s0, s17, s8
	s_mul_hi_u32 s1, s16, s8
	v_add3_u32 v4, v4, v6, v5
	s_add_i32 s1, s1, s0
	s_mul_i32 s0, s16, s8
	v_add_co_u32 v5, s2, s10, v0
	v_add3_u32 v12, v12, v14, v13
	v_lshlrev_b64 v[3:4], 2, v[3:4]
	s_lshl_b64 s[0:1], s[0:1], 2
	v_add_co_ci_u32_e64 v6, null, s11, 0, s2
	v_lshlrev_b64 v[12:13], 2, v[11:12]
	s_add_u32 s0, s12, s0
	s_addc_u32 s1, s13, s1
	v_add_co_u32 v0, s0, s0, v3
	v_add_co_ci_u32_e64 v11, null, s1, v4, s0
	v_add_co_u32 v12, s0, s3, v12
	v_cmp_gt_i64_e32 vcc_lo, s[20:21], v[5:6]
	v_lshlrev_b64 v[3:4], 2, v[5:6]
	v_add_co_ci_u32_e64 v13, null, s5, v13, s0
	s_and_saveexec_b32 s1, vcc_lo
	s_cbranch_execz .LBB410_24
; %bb.23:
	v_add_co_u32 v14, s0, v0, v3
	v_add_co_ci_u32_e64 v15, null, v11, v4, s0
	global_load_dword v14, v[14:15], off
	s_waitcnt vmcnt(0)
	v_mul_f32_e32 v16, s6, v14
	v_add_co_u32 v14, s0, v12, v3
	v_add_co_ci_u32_e64 v15, null, v13, v4, s0
	v_fmac_f32_e32 v16, s4, v10
	global_store_dword v[14:15], v16, off
.LBB410_24:
	s_or_b32 exec_lo, exec_lo, s1
	v_add_co_u32 v5, s0, v5, 16
	v_add_co_ci_u32_e64 v6, null, 0, v6, s0
	v_cmp_gt_i64_e64 s0, s[20:21], v[5:6]
	s_and_saveexec_b32 s2, s0
	s_cbranch_execz .LBB410_26
; %bb.25:
	v_add_co_u32 v5, s1, v0, v3
	v_add_co_ci_u32_e64 v6, null, v11, v4, s1
	global_load_dword v5, v[5:6], off offset:64
	s_waitcnt vmcnt(0)
	v_mul_f32_e32 v10, s6, v5
	v_add_co_u32 v5, s1, v12, v3
	v_add_co_ci_u32_e64 v6, null, v13, v4, s1
	v_fmac_f32_e32 v10, s4, v9
	global_store_dword v[5:6], v10, off offset:64
.LBB410_26:
	s_or_b32 exec_lo, exec_lo, s2
	v_add_co_u32 v1, s1, v1, 16
	v_add_co_ci_u32_e64 v2, null, 0, v2, s1
	v_cmp_gt_i64_e64 s1, s[22:23], v[1:2]
	s_and_b32 exec_lo, exec_lo, s1
	s_cbranch_execz .LBB410_19
; %bb.27:
	s_lshl_b64 s[2:3], s[14:15], 6
	v_add_co_u32 v0, s1, v0, s2
	v_add_co_ci_u32_e64 v1, null, s3, v11, s1
	s_lshl_b64 s[2:3], s[24:25], 6
	v_add_co_u32 v2, s1, v12, s2
	v_add_co_ci_u32_e64 v5, null, s3, v13, s1
	v_add_co_u32 v0, s1, v0, v3
	v_add_co_ci_u32_e64 v1, null, v1, v4, s1
	;; [unrolled: 2-line block ×3, first 2 shown]
	s_and_saveexec_b32 s1, vcc_lo
	s_cbranch_execz .LBB410_29
; %bb.28:
	global_load_dword v4, v[0:1], off
	s_waitcnt vmcnt(0)
	v_mul_f32_e32 v4, s6, v4
	v_fmac_f32_e32 v4, s4, v8
	global_store_dword v[2:3], v4, off
.LBB410_29:
	s_or_b32 exec_lo, exec_lo, s1
	s_and_b32 exec_lo, exec_lo, s0
	s_cbranch_execz .LBB410_19
; %bb.30:
	global_load_dword v0, v[0:1], off offset:64
	s_waitcnt vmcnt(0)
	v_mul_f32_e32 v0, s6, v0
	v_fmac_f32_e32 v0, s4, v7
	global_store_dword v[2:3], v0, off offset:64
	s_endpgm
	.section	.rodata,"a",@progbits
	.p2align	6, 0x0
	.amdhsa_kernel _ZN12_GLOBAL__N_135rocblas_gemm_batched_general_kernelIfLi16ELi16ELi32ELi32ELi8ELi32ELi8ELi8ELi32ELc78ELc84EKDF16_KffEEvlllT_PT11_llS5_llS3_PT12_llPT13_lli
		.amdhsa_group_segment_fixed_size 2048
		.amdhsa_private_segment_fixed_size 0
		.amdhsa_kernarg_size 140
		.amdhsa_user_sgpr_count 6
		.amdhsa_user_sgpr_private_segment_buffer 1
		.amdhsa_user_sgpr_dispatch_ptr 0
		.amdhsa_user_sgpr_queue_ptr 0
		.amdhsa_user_sgpr_kernarg_segment_ptr 1
		.amdhsa_user_sgpr_dispatch_id 0
		.amdhsa_user_sgpr_flat_scratch_init 0
		.amdhsa_user_sgpr_private_segment_size 0
		.amdhsa_wavefront_size32 1
		.amdhsa_uses_dynamic_stack 0
		.amdhsa_system_sgpr_private_segment_wavefront_offset 0
		.amdhsa_system_sgpr_workgroup_id_x 1
		.amdhsa_system_sgpr_workgroup_id_y 1
		.amdhsa_system_sgpr_workgroup_id_z 1
		.amdhsa_system_sgpr_workgroup_info 0
		.amdhsa_system_vgpr_workitem_id 1
		.amdhsa_next_free_vgpr 44
		.amdhsa_next_free_sgpr 34
		.amdhsa_reserve_vcc 1
		.amdhsa_reserve_flat_scratch 0
		.amdhsa_float_round_mode_32 0
		.amdhsa_float_round_mode_16_64 0
		.amdhsa_float_denorm_mode_32 3
		.amdhsa_float_denorm_mode_16_64 3
		.amdhsa_dx10_clamp 1
		.amdhsa_ieee_mode 1
		.amdhsa_fp16_overflow 0
		.amdhsa_workgroup_processor_mode 1
		.amdhsa_memory_ordered 1
		.amdhsa_forward_progress 1
		.amdhsa_shared_vgpr_count 0
		.amdhsa_exception_fp_ieee_invalid_op 0
		.amdhsa_exception_fp_denorm_src 0
		.amdhsa_exception_fp_ieee_div_zero 0
		.amdhsa_exception_fp_ieee_overflow 0
		.amdhsa_exception_fp_ieee_underflow 0
		.amdhsa_exception_fp_ieee_inexact 0
		.amdhsa_exception_int_div_zero 0
	.end_amdhsa_kernel
	.section	.text._ZN12_GLOBAL__N_135rocblas_gemm_batched_general_kernelIfLi16ELi16ELi32ELi32ELi8ELi32ELi8ELi8ELi32ELc78ELc84EKDF16_KffEEvlllT_PT11_llS5_llS3_PT12_llPT13_lli,"axG",@progbits,_ZN12_GLOBAL__N_135rocblas_gemm_batched_general_kernelIfLi16ELi16ELi32ELi32ELi8ELi32ELi8ELi8ELi32ELc78ELc84EKDF16_KffEEvlllT_PT11_llS5_llS3_PT12_llPT13_lli,comdat
.Lfunc_end410:
	.size	_ZN12_GLOBAL__N_135rocblas_gemm_batched_general_kernelIfLi16ELi16ELi32ELi32ELi8ELi32ELi8ELi8ELi32ELc78ELc84EKDF16_KffEEvlllT_PT11_llS5_llS3_PT12_llPT13_lli, .Lfunc_end410-_ZN12_GLOBAL__N_135rocblas_gemm_batched_general_kernelIfLi16ELi16ELi32ELi32ELi8ELi32ELi8ELi8ELi32ELc78ELc84EKDF16_KffEEvlllT_PT11_llS5_llS3_PT12_llPT13_lli
                                        ; -- End function
	.set _ZN12_GLOBAL__N_135rocblas_gemm_batched_general_kernelIfLi16ELi16ELi32ELi32ELi8ELi32ELi8ELi8ELi32ELc78ELc84EKDF16_KffEEvlllT_PT11_llS5_llS3_PT12_llPT13_lli.num_vgpr, 44
	.set _ZN12_GLOBAL__N_135rocblas_gemm_batched_general_kernelIfLi16ELi16ELi32ELi32ELi8ELi32ELi8ELi8ELi32ELc78ELc84EKDF16_KffEEvlllT_PT11_llS5_llS3_PT12_llPT13_lli.num_agpr, 0
	.set _ZN12_GLOBAL__N_135rocblas_gemm_batched_general_kernelIfLi16ELi16ELi32ELi32ELi8ELi32ELi8ELi8ELi32ELc78ELc84EKDF16_KffEEvlllT_PT11_llS5_llS3_PT12_llPT13_lli.numbered_sgpr, 34
	.set _ZN12_GLOBAL__N_135rocblas_gemm_batched_general_kernelIfLi16ELi16ELi32ELi32ELi8ELi32ELi8ELi8ELi32ELc78ELc84EKDF16_KffEEvlllT_PT11_llS5_llS3_PT12_llPT13_lli.num_named_barrier, 0
	.set _ZN12_GLOBAL__N_135rocblas_gemm_batched_general_kernelIfLi16ELi16ELi32ELi32ELi8ELi32ELi8ELi8ELi32ELc78ELc84EKDF16_KffEEvlllT_PT11_llS5_llS3_PT12_llPT13_lli.private_seg_size, 0
	.set _ZN12_GLOBAL__N_135rocblas_gemm_batched_general_kernelIfLi16ELi16ELi32ELi32ELi8ELi32ELi8ELi8ELi32ELc78ELc84EKDF16_KffEEvlllT_PT11_llS5_llS3_PT12_llPT13_lli.uses_vcc, 1
	.set _ZN12_GLOBAL__N_135rocblas_gemm_batched_general_kernelIfLi16ELi16ELi32ELi32ELi8ELi32ELi8ELi8ELi32ELc78ELc84EKDF16_KffEEvlllT_PT11_llS5_llS3_PT12_llPT13_lli.uses_flat_scratch, 0
	.set _ZN12_GLOBAL__N_135rocblas_gemm_batched_general_kernelIfLi16ELi16ELi32ELi32ELi8ELi32ELi8ELi8ELi32ELc78ELc84EKDF16_KffEEvlllT_PT11_llS5_llS3_PT12_llPT13_lli.has_dyn_sized_stack, 0
	.set _ZN12_GLOBAL__N_135rocblas_gemm_batched_general_kernelIfLi16ELi16ELi32ELi32ELi8ELi32ELi8ELi8ELi32ELc78ELc84EKDF16_KffEEvlllT_PT11_llS5_llS3_PT12_llPT13_lli.has_recursion, 0
	.set _ZN12_GLOBAL__N_135rocblas_gemm_batched_general_kernelIfLi16ELi16ELi32ELi32ELi8ELi32ELi8ELi8ELi32ELc78ELc84EKDF16_KffEEvlllT_PT11_llS5_llS3_PT12_llPT13_lli.has_indirect_call, 0
	.section	.AMDGPU.csdata,"",@progbits
; Kernel info:
; codeLenInByte = 1896
; TotalNumSgprs: 36
; NumVgprs: 44
; ScratchSize: 0
; MemoryBound: 0
; FloatMode: 240
; IeeeMode: 1
; LDSByteSize: 2048 bytes/workgroup (compile time only)
; SGPRBlocks: 0
; VGPRBlocks: 5
; NumSGPRsForWavesPerEU: 36
; NumVGPRsForWavesPerEU: 44
; Occupancy: 16
; WaveLimiterHint : 0
; COMPUTE_PGM_RSRC2:SCRATCH_EN: 0
; COMPUTE_PGM_RSRC2:USER_SGPR: 6
; COMPUTE_PGM_RSRC2:TRAP_HANDLER: 0
; COMPUTE_PGM_RSRC2:TGID_X_EN: 1
; COMPUTE_PGM_RSRC2:TGID_Y_EN: 1
; COMPUTE_PGM_RSRC2:TGID_Z_EN: 1
; COMPUTE_PGM_RSRC2:TIDIG_COMP_CNT: 1
	.section	.text._ZN12_GLOBAL__N_135rocblas_gemm_batched_general_kernelIfLi16ELi16ELi32ELi32ELi8ELi32ELi8ELi8ELi32ELc84ELc84EKDF16_KffEEvlllT_PT11_llS5_llS3_PT12_llPT13_lli,"axG",@progbits,_ZN12_GLOBAL__N_135rocblas_gemm_batched_general_kernelIfLi16ELi16ELi32ELi32ELi8ELi32ELi8ELi8ELi32ELc84ELc84EKDF16_KffEEvlllT_PT11_llS5_llS3_PT12_llPT13_lli,comdat
	.globl	_ZN12_GLOBAL__N_135rocblas_gemm_batched_general_kernelIfLi16ELi16ELi32ELi32ELi8ELi32ELi8ELi8ELi32ELc84ELc84EKDF16_KffEEvlllT_PT11_llS5_llS3_PT12_llPT13_lli ; -- Begin function _ZN12_GLOBAL__N_135rocblas_gemm_batched_general_kernelIfLi16ELi16ELi32ELi32ELi8ELi32ELi8ELi8ELi32ELc84ELc84EKDF16_KffEEvlllT_PT11_llS5_llS3_PT12_llPT13_lli
	.p2align	8
	.type	_ZN12_GLOBAL__N_135rocblas_gemm_batched_general_kernelIfLi16ELi16ELi32ELi32ELi8ELi32ELi8ELi8ELi32ELc84ELc84EKDF16_KffEEvlllT_PT11_llS5_llS3_PT12_llPT13_lli,@function
_ZN12_GLOBAL__N_135rocblas_gemm_batched_general_kernelIfLi16ELi16ELi32ELi32ELi8ELi32ELi8ELi8ELi32ELc84ELc84EKDF16_KffEEvlllT_PT11_llS5_llS3_PT12_llPT13_lli: ; @_ZN12_GLOBAL__N_135rocblas_gemm_batched_general_kernelIfLi16ELi16ELi32ELi32ELi8ELi32ELi8ELi8ELi32ELc84ELc84EKDF16_KffEEvlllT_PT11_llS5_llS3_PT12_llPT13_lli
; %bb.0:
	s_clause 0x1
	s_load_dwordx2 s[10:11], s[4:5], 0x10
	s_load_dwordx4 s[20:23], s[4:5], 0x0
	s_mov_b32 s0, s7
	v_mov_b32_e32 v10, 0
	v_mov_b32_e32 v9, 0
	v_mov_b32_e32 v8, 0
	v_mov_b32_e32 v7, 0
	s_ashr_i32 s7, s6, 31
	s_ashr_i32 s1, s0, 31
	s_lshl_b64 s[6:7], s[6:7], 5
	s_waitcnt lgkmcnt(0)
	v_cmp_lt_i64_e64 s2, s[10:11], 1
	s_and_b32 vcc_lo, exec_lo, s2
	s_lshl_b64 s[2:3], s[0:1], 5
	s_cbranch_vccnz .LBB411_7
; %bb.1:
	s_clause 0x1
	s_load_dwordx4 s[24:27], s[4:5], 0x40
	s_load_dwordx8 s[12:19], s[4:5], 0x20
	v_lshl_add_u32 v2, v1, 4, v0
	v_and_b32_e32 v6, 7, v0
	v_mov_b32_e32 v3, s7
	s_lshl_b64 s[28:29], s[0:1], 6
	v_mov_b32_e32 v7, 0
	v_and_b32_e32 v14, 31, v2
	v_lshrrev_b32_e32 v10, 3, v2
	v_lshrrev_b32_e32 v13, 5, v2
	v_lshlrev_b32_e32 v15, 2, v6
	v_lshlrev_b32_e32 v11, 2, v0
	v_or_b32_e32 v2, s6, v14
	v_add_co_u32 v8, s0, v10, s2
	v_add_co_ci_u32_e64 v9, null, 0, s3, s0
	v_add_co_u32 v17, s0, s6, v14
	v_add_co_ci_u32_e64 v18, null, s7, 0, s0
	s_waitcnt lgkmcnt(0)
	v_mad_u64_u32 v[4:5], null, s24, v6, 0
	v_cmp_gt_i64_e64 s0, s[20:21], v[2:3]
	v_cmp_gt_i64_e64 s1, s[22:23], v[8:9]
	v_mul_lo_u32 v8, s15, v17
	v_mul_lo_u32 v9, s14, v18
	s_mul_i32 s9, s27, s8
	s_mul_hi_u32 s27, s26, s8
	v_mad_u64_u32 v[2:3], null, s25, v6, v[5:6]
	s_mul_i32 s26, s26, s8
	s_add_i32 s27, s27, s9
	s_mul_i32 s9, s17, s8
	s_mul_hi_u32 s17, s16, s8
	v_lshlrev_b32_e32 v16, 2, v14
	v_lshl_or_b32 v15, v10, 5, v15
	v_mov_b32_e32 v5, v2
	v_mad_u64_u32 v[2:3], null, s14, v17, 0
	s_lshl_b64 s[14:15], s[26:27], 1
	v_lshl_add_u32 v12, v1, 5, 0x400
	v_lshlrev_b64 v[4:5], 1, v[4:5]
	s_add_u32 s14, s28, s14
	s_addc_u32 s15, s29, s15
	v_lshl_or_b32 v14, v13, 7, v16
	v_add3_u32 v3, v3, v9, v8
	v_lshlrev_b32_e32 v8, 1, v10
	v_add_co_u32 v4, vcc_lo, s14, v4
	v_add_co_ci_u32_e64 v5, null, s15, v5, vcc_lo
	v_lshlrev_b64 v[2:3], 1, v[2:3]
	s_add_i32 s15, s17, s9
	s_mul_i32 s14, s16, s8
	v_lshlrev_b32_e32 v9, 1, v13
	s_lshl_b64 s[14:15], s[14:15], 1
	v_add_nc_u32_e32 v15, 0x400, v15
	v_add_co_u32 v2, vcc_lo, v2, s14
	v_add_co_ci_u32_e64 v3, null, s15, v3, vcc_lo
	v_add_co_u32 v4, vcc_lo, v4, v8
	v_add_co_ci_u32_e64 v5, null, 0, v5, vcc_lo
	;; [unrolled: 2-line block ×5, first 2 shown]
	v_mov_b32_e32 v8, 0
	v_mov_b32_e32 v9, 0
	;; [unrolled: 1-line block ×3, first 2 shown]
	s_lshl_b64 s[12:13], s[24:25], 4
	s_mov_b64 s[14:15], 0
	s_branch .LBB411_3
.LBB411_2:                              ;   in Loop: Header=BB411_3 Depth=1
	s_or_b32 exec_lo, exec_lo, s9
	ds_write_b32 v15, v17
	s_waitcnt lgkmcnt(0)
	s_barrier
	buffer_gl0_inv
	ds_read_b128 v[16:19], v12
	ds_read2_b32 v[32:33], v11 offset1:16
	ds_read_b128 v[20:23], v12 offset:512
	ds_read2_b32 v[34:35], v11 offset0:32 offset1:48
	ds_read2_b32 v[36:37], v11 offset0:64 offset1:80
	;; [unrolled: 1-line block ×3, first 2 shown]
	ds_read_b128 v[24:27], v12 offset:16
	ds_read2_b32 v[40:41], v11 offset0:128 offset1:144
	ds_read_b128 v[28:31], v12 offset:528
	ds_read2_b32 v[42:43], v11 offset0:160 offset1:176
	s_add_u32 s14, s14, 8
	s_addc_u32 s15, s15, 0
	v_add_co_u32 v2, vcc_lo, v2, s12
	v_cmp_lt_i64_e64 s9, s[14:15], s[10:11]
	v_add_co_ci_u32_e64 v3, null, s13, v3, vcc_lo
	v_add_co_u32 v4, vcc_lo, v4, 16
	v_add_co_ci_u32_e64 v5, null, 0, v5, vcc_lo
	s_waitcnt lgkmcnt(8)
	v_fmac_f32_e32 v10, v32, v16
	v_fmac_f32_e32 v9, v33, v16
	s_waitcnt lgkmcnt(7)
	v_fmac_f32_e32 v8, v32, v20
	v_fmac_f32_e32 v7, v33, v20
	ds_read2_b32 v[32:33], v11 offset0:192 offset1:208
	s_waitcnt lgkmcnt(7)
	v_fmac_f32_e32 v10, v34, v17
	v_fmac_f32_e32 v9, v35, v17
	;; [unrolled: 1-line block ×4, first 2 shown]
	ds_read2_b32 v[16:17], v11 offset0:224 offset1:240
	s_waitcnt lgkmcnt(7)
	v_fmac_f32_e32 v10, v36, v18
	v_fmac_f32_e32 v9, v37, v18
	;; [unrolled: 1-line block ×4, first 2 shown]
	s_and_b32 vcc_lo, exec_lo, s9
	s_waitcnt lgkmcnt(6)
	v_fmac_f32_e32 v10, v38, v19
	v_fmac_f32_e32 v9, v39, v19
	;; [unrolled: 1-line block ×4, first 2 shown]
	s_waitcnt lgkmcnt(0)
	v_fmac_f32_e32 v10, v40, v24
	v_fmac_f32_e32 v9, v41, v24
	;; [unrolled: 1-line block ×4, first 2 shown]
	s_barrier
	v_fmac_f32_e32 v10, v42, v25
	v_fmac_f32_e32 v9, v43, v25
	;; [unrolled: 1-line block ×4, first 2 shown]
	buffer_gl0_inv
	v_fmac_f32_e32 v10, v32, v26
	v_fmac_f32_e32 v9, v33, v26
	;; [unrolled: 1-line block ×8, first 2 shown]
	s_cbranch_vccz .LBB411_7
.LBB411_3:                              ; =>This Inner Loop Header: Depth=1
	v_add_co_u32 v16, s9, v13, s14
	v_add_co_ci_u32_e64 v17, null, 0, s15, s9
	v_cmp_gt_i64_e32 vcc_lo, s[10:11], v[16:17]
	v_mov_b32_e32 v16, 0
	s_and_b32 s16, s0, vcc_lo
	s_and_saveexec_b32 s9, s16
	s_cbranch_execz .LBB411_5
; %bb.4:                                ;   in Loop: Header=BB411_3 Depth=1
	global_load_ushort v16, v[4:5], off
	s_waitcnt vmcnt(0)
	v_cvt_f32_f16_e32 v16, v16
.LBB411_5:                              ;   in Loop: Header=BB411_3 Depth=1
	s_or_b32 exec_lo, exec_lo, s9
	v_add_co_u32 v17, s9, v6, s14
	v_add_co_ci_u32_e64 v18, null, 0, s15, s9
	ds_write_b32 v14, v16
	v_cmp_gt_i64_e32 vcc_lo, s[10:11], v[17:18]
	v_mov_b32_e32 v17, 0
	s_and_b32 s16, vcc_lo, s1
	s_and_saveexec_b32 s9, s16
	s_cbranch_execz .LBB411_2
; %bb.6:                                ;   in Loop: Header=BB411_3 Depth=1
	global_load_ushort v16, v[2:3], off
	s_waitcnt vmcnt(0)
	v_cvt_f32_f16_e32 v17, v16
	s_branch .LBB411_2
.LBB411_7:
	s_clause 0x3
	s_load_dwordx4 s[24:27], s[4:5], 0x78
	s_load_dword s9, s[4:5], 0x50
	s_load_dwordx8 s[12:19], s[4:5], 0x58
	s_load_dword s4, s[4:5], 0x18
	v_add_co_u32 v1, s0, s2, v1
	v_add_co_ci_u32_e64 v2, null, s3, 0, s0
	s_waitcnt lgkmcnt(0)
	s_mul_i32 s1, s27, s8
	s_mul_hi_u32 s2, s26, s8
	s_mul_i32 s0, s26, s8
	s_add_i32 s1, s2, s1
	v_cmp_neq_f32_e64 s2, s9, 0
	s_lshl_b64 s[10:11], s[0:1], 2
	v_cmp_gt_i64_e64 s0, s[22:23], v[1:2]
	s_add_u32 s3, s18, s10
	s_addc_u32 s5, s19, s11
	s_and_b32 vcc_lo, exec_lo, s2
	s_cbranch_vccnz .LBB411_20
; %bb.8:
	s_and_saveexec_b32 s10, s0
	s_cbranch_execz .LBB411_18
; %bb.9:
	v_mul_lo_u32 v5, v2, s24
	v_mul_lo_u32 v6, v1, s25
	v_mad_u64_u32 v[3:4], null, v1, s24, 0
	v_add3_u32 v4, v4, v6, v5
	v_add_co_u32 v5, s1, s6, v0
	v_add_co_ci_u32_e64 v6, null, s7, 0, s1
	v_lshlrev_b64 v[11:12], 2, v[3:4]
	v_cmp_gt_i64_e32 vcc_lo, s[20:21], v[5:6]
	v_lshlrev_b64 v[3:4], 2, v[5:6]
	v_add_co_u32 v11, s1, s3, v11
	v_add_co_ci_u32_e64 v12, null, s5, v12, s1
	s_and_saveexec_b32 s2, vcc_lo
	s_cbranch_execz .LBB411_11
; %bb.10:
	v_add_co_u32 v13, s1, v11, v3
	v_add_co_ci_u32_e64 v14, null, v12, v4, s1
	v_mul_f32_e32 v15, s4, v10
	global_store_dword v[13:14], v15, off
.LBB411_11:
	s_or_b32 exec_lo, exec_lo, s2
	v_add_co_u32 v5, s1, v5, 16
	v_add_co_ci_u32_e64 v6, null, 0, v6, s1
	v_cmp_gt_i64_e64 s1, s[20:21], v[5:6]
	s_and_saveexec_b32 s11, s1
	s_cbranch_execz .LBB411_13
; %bb.12:
	v_add_co_u32 v5, s2, v11, v3
	v_add_co_ci_u32_e64 v6, null, v12, v4, s2
	v_mul_f32_e32 v13, s4, v9
	global_store_dword v[5:6], v13, off offset:64
.LBB411_13:
	s_or_b32 exec_lo, exec_lo, s11
	v_add_co_u32 v5, s2, v1, 16
	v_add_co_ci_u32_e64 v6, null, 0, v2, s2
	v_cmp_gt_i64_e64 s2, s[22:23], v[5:6]
	s_and_b32 exec_lo, exec_lo, s2
	s_cbranch_execz .LBB411_18
; %bb.14:
	s_lshl_b64 s[18:19], s[24:25], 6
	v_add_co_u32 v5, s2, v11, s18
	v_add_co_ci_u32_e64 v6, null, s19, v12, s2
	v_add_co_u32 v3, s2, v5, v3
	v_add_co_ci_u32_e64 v4, null, v6, v4, s2
	s_and_saveexec_b32 s2, vcc_lo
	s_cbranch_execz .LBB411_16
; %bb.15:
	v_mul_f32_e32 v5, s4, v8
	global_store_dword v[3:4], v5, off
.LBB411_16:
	s_or_b32 exec_lo, exec_lo, s2
	s_and_b32 exec_lo, exec_lo, s1
	s_cbranch_execz .LBB411_18
; %bb.17:
	v_mul_f32_e32 v5, s4, v7
	global_store_dword v[3:4], v5, off offset:64
.LBB411_18:
	s_or_b32 exec_lo, exec_lo, s10
	s_cbranch_execz .LBB411_21
.LBB411_19:
	s_endpgm
.LBB411_20:
.LBB411_21:
	s_and_saveexec_b32 s1, s0
	s_cbranch_execz .LBB411_19
; %bb.22:
	v_mul_lo_u32 v5, v2, s14
	v_mul_lo_u32 v6, v1, s15
	v_mad_u64_u32 v[3:4], null, v1, s14, 0
	v_mul_lo_u32 v13, v2, s24
	v_mul_lo_u32 v14, v1, s25
	v_mad_u64_u32 v[11:12], null, v1, s24, 0
	s_mul_i32 s0, s17, s8
	s_mul_hi_u32 s1, s16, s8
	v_add3_u32 v4, v4, v6, v5
	s_add_i32 s1, s1, s0
	s_mul_i32 s0, s16, s8
	v_add_co_u32 v5, s2, s6, v0
	v_add3_u32 v12, v12, v14, v13
	v_lshlrev_b64 v[3:4], 2, v[3:4]
	s_lshl_b64 s[0:1], s[0:1], 2
	v_add_co_ci_u32_e64 v6, null, s7, 0, s2
	v_lshlrev_b64 v[12:13], 2, v[11:12]
	s_add_u32 s0, s12, s0
	s_addc_u32 s1, s13, s1
	v_add_co_u32 v0, s0, s0, v3
	v_add_co_ci_u32_e64 v11, null, s1, v4, s0
	v_add_co_u32 v12, s0, s3, v12
	v_cmp_gt_i64_e32 vcc_lo, s[20:21], v[5:6]
	v_lshlrev_b64 v[3:4], 2, v[5:6]
	v_add_co_ci_u32_e64 v13, null, s5, v13, s0
	s_and_saveexec_b32 s1, vcc_lo
	s_cbranch_execz .LBB411_24
; %bb.23:
	v_add_co_u32 v14, s0, v0, v3
	v_add_co_ci_u32_e64 v15, null, v11, v4, s0
	global_load_dword v14, v[14:15], off
	s_waitcnt vmcnt(0)
	v_mul_f32_e32 v16, s9, v14
	v_add_co_u32 v14, s0, v12, v3
	v_add_co_ci_u32_e64 v15, null, v13, v4, s0
	v_fmac_f32_e32 v16, s4, v10
	global_store_dword v[14:15], v16, off
.LBB411_24:
	s_or_b32 exec_lo, exec_lo, s1
	v_add_co_u32 v5, s0, v5, 16
	v_add_co_ci_u32_e64 v6, null, 0, v6, s0
	v_cmp_gt_i64_e64 s0, s[20:21], v[5:6]
	s_and_saveexec_b32 s2, s0
	s_cbranch_execz .LBB411_26
; %bb.25:
	v_add_co_u32 v5, s1, v0, v3
	v_add_co_ci_u32_e64 v6, null, v11, v4, s1
	global_load_dword v5, v[5:6], off offset:64
	s_waitcnt vmcnt(0)
	v_mul_f32_e32 v10, s9, v5
	v_add_co_u32 v5, s1, v12, v3
	v_add_co_ci_u32_e64 v6, null, v13, v4, s1
	v_fmac_f32_e32 v10, s4, v9
	global_store_dword v[5:6], v10, off offset:64
.LBB411_26:
	s_or_b32 exec_lo, exec_lo, s2
	v_add_co_u32 v1, s1, v1, 16
	v_add_co_ci_u32_e64 v2, null, 0, v2, s1
	v_cmp_gt_i64_e64 s1, s[22:23], v[1:2]
	s_and_b32 exec_lo, exec_lo, s1
	s_cbranch_execz .LBB411_19
; %bb.27:
	s_lshl_b64 s[2:3], s[14:15], 6
	v_add_co_u32 v0, s1, v0, s2
	v_add_co_ci_u32_e64 v1, null, s3, v11, s1
	s_lshl_b64 s[2:3], s[24:25], 6
	v_add_co_u32 v2, s1, v12, s2
	v_add_co_ci_u32_e64 v5, null, s3, v13, s1
	v_add_co_u32 v0, s1, v0, v3
	v_add_co_ci_u32_e64 v1, null, v1, v4, s1
	;; [unrolled: 2-line block ×3, first 2 shown]
	s_and_saveexec_b32 s1, vcc_lo
	s_cbranch_execz .LBB411_29
; %bb.28:
	global_load_dword v4, v[0:1], off
	s_waitcnt vmcnt(0)
	v_mul_f32_e32 v4, s9, v4
	v_fmac_f32_e32 v4, s4, v8
	global_store_dword v[2:3], v4, off
.LBB411_29:
	s_or_b32 exec_lo, exec_lo, s1
	s_and_b32 exec_lo, exec_lo, s0
	s_cbranch_execz .LBB411_19
; %bb.30:
	global_load_dword v0, v[0:1], off offset:64
	s_waitcnt vmcnt(0)
	v_mul_f32_e32 v0, s9, v0
	v_fmac_f32_e32 v0, s4, v7
	global_store_dword v[2:3], v0, off offset:64
	s_endpgm
	.section	.rodata,"a",@progbits
	.p2align	6, 0x0
	.amdhsa_kernel _ZN12_GLOBAL__N_135rocblas_gemm_batched_general_kernelIfLi16ELi16ELi32ELi32ELi8ELi32ELi8ELi8ELi32ELc84ELc84EKDF16_KffEEvlllT_PT11_llS5_llS3_PT12_llPT13_lli
		.amdhsa_group_segment_fixed_size 2048
		.amdhsa_private_segment_fixed_size 0
		.amdhsa_kernarg_size 140
		.amdhsa_user_sgpr_count 6
		.amdhsa_user_sgpr_private_segment_buffer 1
		.amdhsa_user_sgpr_dispatch_ptr 0
		.amdhsa_user_sgpr_queue_ptr 0
		.amdhsa_user_sgpr_kernarg_segment_ptr 1
		.amdhsa_user_sgpr_dispatch_id 0
		.amdhsa_user_sgpr_flat_scratch_init 0
		.amdhsa_user_sgpr_private_segment_size 0
		.amdhsa_wavefront_size32 1
		.amdhsa_uses_dynamic_stack 0
		.amdhsa_system_sgpr_private_segment_wavefront_offset 0
		.amdhsa_system_sgpr_workgroup_id_x 1
		.amdhsa_system_sgpr_workgroup_id_y 1
		.amdhsa_system_sgpr_workgroup_id_z 1
		.amdhsa_system_sgpr_workgroup_info 0
		.amdhsa_system_vgpr_workitem_id 1
		.amdhsa_next_free_vgpr 44
		.amdhsa_next_free_sgpr 30
		.amdhsa_reserve_vcc 1
		.amdhsa_reserve_flat_scratch 0
		.amdhsa_float_round_mode_32 0
		.amdhsa_float_round_mode_16_64 0
		.amdhsa_float_denorm_mode_32 3
		.amdhsa_float_denorm_mode_16_64 3
		.amdhsa_dx10_clamp 1
		.amdhsa_ieee_mode 1
		.amdhsa_fp16_overflow 0
		.amdhsa_workgroup_processor_mode 1
		.amdhsa_memory_ordered 1
		.amdhsa_forward_progress 1
		.amdhsa_shared_vgpr_count 0
		.amdhsa_exception_fp_ieee_invalid_op 0
		.amdhsa_exception_fp_denorm_src 0
		.amdhsa_exception_fp_ieee_div_zero 0
		.amdhsa_exception_fp_ieee_overflow 0
		.amdhsa_exception_fp_ieee_underflow 0
		.amdhsa_exception_fp_ieee_inexact 0
		.amdhsa_exception_int_div_zero 0
	.end_amdhsa_kernel
	.section	.text._ZN12_GLOBAL__N_135rocblas_gemm_batched_general_kernelIfLi16ELi16ELi32ELi32ELi8ELi32ELi8ELi8ELi32ELc84ELc84EKDF16_KffEEvlllT_PT11_llS5_llS3_PT12_llPT13_lli,"axG",@progbits,_ZN12_GLOBAL__N_135rocblas_gemm_batched_general_kernelIfLi16ELi16ELi32ELi32ELi8ELi32ELi8ELi8ELi32ELc84ELc84EKDF16_KffEEvlllT_PT11_llS5_llS3_PT12_llPT13_lli,comdat
.Lfunc_end411:
	.size	_ZN12_GLOBAL__N_135rocblas_gemm_batched_general_kernelIfLi16ELi16ELi32ELi32ELi8ELi32ELi8ELi8ELi32ELc84ELc84EKDF16_KffEEvlllT_PT11_llS5_llS3_PT12_llPT13_lli, .Lfunc_end411-_ZN12_GLOBAL__N_135rocblas_gemm_batched_general_kernelIfLi16ELi16ELi32ELi32ELi8ELi32ELi8ELi8ELi32ELc84ELc84EKDF16_KffEEvlllT_PT11_llS5_llS3_PT12_llPT13_lli
                                        ; -- End function
	.set _ZN12_GLOBAL__N_135rocblas_gemm_batched_general_kernelIfLi16ELi16ELi32ELi32ELi8ELi32ELi8ELi8ELi32ELc84ELc84EKDF16_KffEEvlllT_PT11_llS5_llS3_PT12_llPT13_lli.num_vgpr, 44
	.set _ZN12_GLOBAL__N_135rocblas_gemm_batched_general_kernelIfLi16ELi16ELi32ELi32ELi8ELi32ELi8ELi8ELi32ELc84ELc84EKDF16_KffEEvlllT_PT11_llS5_llS3_PT12_llPT13_lli.num_agpr, 0
	.set _ZN12_GLOBAL__N_135rocblas_gemm_batched_general_kernelIfLi16ELi16ELi32ELi32ELi8ELi32ELi8ELi8ELi32ELc84ELc84EKDF16_KffEEvlllT_PT11_llS5_llS3_PT12_llPT13_lli.numbered_sgpr, 30
	.set _ZN12_GLOBAL__N_135rocblas_gemm_batched_general_kernelIfLi16ELi16ELi32ELi32ELi8ELi32ELi8ELi8ELi32ELc84ELc84EKDF16_KffEEvlllT_PT11_llS5_llS3_PT12_llPT13_lli.num_named_barrier, 0
	.set _ZN12_GLOBAL__N_135rocblas_gemm_batched_general_kernelIfLi16ELi16ELi32ELi32ELi8ELi32ELi8ELi8ELi32ELc84ELc84EKDF16_KffEEvlllT_PT11_llS5_llS3_PT12_llPT13_lli.private_seg_size, 0
	.set _ZN12_GLOBAL__N_135rocblas_gemm_batched_general_kernelIfLi16ELi16ELi32ELi32ELi8ELi32ELi8ELi8ELi32ELc84ELc84EKDF16_KffEEvlllT_PT11_llS5_llS3_PT12_llPT13_lli.uses_vcc, 1
	.set _ZN12_GLOBAL__N_135rocblas_gemm_batched_general_kernelIfLi16ELi16ELi32ELi32ELi8ELi32ELi8ELi8ELi32ELc84ELc84EKDF16_KffEEvlllT_PT11_llS5_llS3_PT12_llPT13_lli.uses_flat_scratch, 0
	.set _ZN12_GLOBAL__N_135rocblas_gemm_batched_general_kernelIfLi16ELi16ELi32ELi32ELi8ELi32ELi8ELi8ELi32ELc84ELc84EKDF16_KffEEvlllT_PT11_llS5_llS3_PT12_llPT13_lli.has_dyn_sized_stack, 0
	.set _ZN12_GLOBAL__N_135rocblas_gemm_batched_general_kernelIfLi16ELi16ELi32ELi32ELi8ELi32ELi8ELi8ELi32ELc84ELc84EKDF16_KffEEvlllT_PT11_llS5_llS3_PT12_llPT13_lli.has_recursion, 0
	.set _ZN12_GLOBAL__N_135rocblas_gemm_batched_general_kernelIfLi16ELi16ELi32ELi32ELi8ELi32ELi8ELi8ELi32ELc84ELc84EKDF16_KffEEvlllT_PT11_llS5_llS3_PT12_llPT13_lli.has_indirect_call, 0
	.section	.AMDGPU.csdata,"",@progbits
; Kernel info:
; codeLenInByte = 1900
; TotalNumSgprs: 32
; NumVgprs: 44
; ScratchSize: 0
; MemoryBound: 0
; FloatMode: 240
; IeeeMode: 1
; LDSByteSize: 2048 bytes/workgroup (compile time only)
; SGPRBlocks: 0
; VGPRBlocks: 5
; NumSGPRsForWavesPerEU: 32
; NumVGPRsForWavesPerEU: 44
; Occupancy: 16
; WaveLimiterHint : 0
; COMPUTE_PGM_RSRC2:SCRATCH_EN: 0
; COMPUTE_PGM_RSRC2:USER_SGPR: 6
; COMPUTE_PGM_RSRC2:TRAP_HANDLER: 0
; COMPUTE_PGM_RSRC2:TGID_X_EN: 1
; COMPUTE_PGM_RSRC2:TGID_Y_EN: 1
; COMPUTE_PGM_RSRC2:TGID_Z_EN: 1
; COMPUTE_PGM_RSRC2:TIDIG_COMP_CNT: 1
	.section	.text._ZN12_GLOBAL__N_135rocblas_gemm_batched_general_kernelIfLi16ELi16ELi32ELi32ELi8ELi32ELi8ELi8ELi32ELc67ELc67EKDF16_KffEEvlllT_PT11_llS5_llS3_PT12_llPT13_lli,"axG",@progbits,_ZN12_GLOBAL__N_135rocblas_gemm_batched_general_kernelIfLi16ELi16ELi32ELi32ELi8ELi32ELi8ELi8ELi32ELc67ELc67EKDF16_KffEEvlllT_PT11_llS5_llS3_PT12_llPT13_lli,comdat
	.globl	_ZN12_GLOBAL__N_135rocblas_gemm_batched_general_kernelIfLi16ELi16ELi32ELi32ELi8ELi32ELi8ELi8ELi32ELc67ELc67EKDF16_KffEEvlllT_PT11_llS5_llS3_PT12_llPT13_lli ; -- Begin function _ZN12_GLOBAL__N_135rocblas_gemm_batched_general_kernelIfLi16ELi16ELi32ELi32ELi8ELi32ELi8ELi8ELi32ELc67ELc67EKDF16_KffEEvlllT_PT11_llS5_llS3_PT12_llPT13_lli
	.p2align	8
	.type	_ZN12_GLOBAL__N_135rocblas_gemm_batched_general_kernelIfLi16ELi16ELi32ELi32ELi8ELi32ELi8ELi8ELi32ELc67ELc67EKDF16_KffEEvlllT_PT11_llS5_llS3_PT12_llPT13_lli,@function
_ZN12_GLOBAL__N_135rocblas_gemm_batched_general_kernelIfLi16ELi16ELi32ELi32ELi8ELi32ELi8ELi8ELi32ELc67ELc67EKDF16_KffEEvlllT_PT11_llS5_llS3_PT12_llPT13_lli: ; @_ZN12_GLOBAL__N_135rocblas_gemm_batched_general_kernelIfLi16ELi16ELi32ELi32ELi8ELi32ELi8ELi8ELi32ELc67ELc67EKDF16_KffEEvlllT_PT11_llS5_llS3_PT12_llPT13_lli
; %bb.0:
	s_clause 0x1
	s_load_dwordx2 s[10:11], s[4:5], 0x10
	s_load_dwordx4 s[20:23], s[4:5], 0x0
	s_mov_b32 s0, s7
	v_mov_b32_e32 v10, 0
	v_mov_b32_e32 v9, 0
	;; [unrolled: 1-line block ×4, first 2 shown]
	s_ashr_i32 s7, s6, 31
	s_ashr_i32 s1, s0, 31
	s_lshl_b64 s[6:7], s[6:7], 5
	s_waitcnt lgkmcnt(0)
	v_cmp_lt_i64_e64 s2, s[10:11], 1
	s_and_b32 vcc_lo, exec_lo, s2
	s_lshl_b64 s[2:3], s[0:1], 5
	s_cbranch_vccnz .LBB412_7
; %bb.1:
	s_clause 0x1
	s_load_dwordx4 s[24:27], s[4:5], 0x40
	s_load_dwordx8 s[12:19], s[4:5], 0x20
	v_lshl_add_u32 v2, v1, 4, v0
	v_and_b32_e32 v6, 7, v0
	v_mov_b32_e32 v3, s7
	s_lshl_b64 s[28:29], s[0:1], 6
	v_mov_b32_e32 v7, 0
	v_and_b32_e32 v14, 31, v2
	v_lshrrev_b32_e32 v10, 3, v2
	v_lshrrev_b32_e32 v13, 5, v2
	v_lshlrev_b32_e32 v15, 2, v6
	v_lshlrev_b32_e32 v11, 2, v0
	v_or_b32_e32 v2, s6, v14
	v_add_co_u32 v8, s0, v10, s2
	v_add_co_ci_u32_e64 v9, null, 0, s3, s0
	v_add_co_u32 v17, s0, s6, v14
	v_add_co_ci_u32_e64 v18, null, s7, 0, s0
	s_waitcnt lgkmcnt(0)
	v_mad_u64_u32 v[4:5], null, s24, v6, 0
	v_cmp_gt_i64_e64 s0, s[20:21], v[2:3]
	v_cmp_gt_i64_e64 s1, s[22:23], v[8:9]
	v_mul_lo_u32 v8, s15, v17
	v_mul_lo_u32 v9, s14, v18
	s_mul_i32 s9, s27, s8
	s_mul_hi_u32 s27, s26, s8
	v_mad_u64_u32 v[2:3], null, s25, v6, v[5:6]
	s_mul_i32 s26, s26, s8
	s_add_i32 s27, s27, s9
	s_mul_i32 s9, s17, s8
	s_mul_hi_u32 s17, s16, s8
	v_lshlrev_b32_e32 v16, 2, v14
	v_lshl_or_b32 v15, v10, 5, v15
	v_mov_b32_e32 v5, v2
	v_mad_u64_u32 v[2:3], null, s14, v17, 0
	s_lshl_b64 s[14:15], s[26:27], 1
	v_lshl_add_u32 v12, v1, 5, 0x400
	v_lshlrev_b64 v[4:5], 1, v[4:5]
	s_add_u32 s14, s28, s14
	s_addc_u32 s15, s29, s15
	v_lshl_or_b32 v14, v13, 7, v16
	v_add3_u32 v3, v3, v9, v8
	v_lshlrev_b32_e32 v8, 1, v10
	v_add_co_u32 v4, vcc_lo, s14, v4
	v_add_co_ci_u32_e64 v5, null, s15, v5, vcc_lo
	v_lshlrev_b64 v[2:3], 1, v[2:3]
	s_add_i32 s15, s17, s9
	s_mul_i32 s14, s16, s8
	v_lshlrev_b32_e32 v9, 1, v13
	s_lshl_b64 s[14:15], s[14:15], 1
	v_add_nc_u32_e32 v15, 0x400, v15
	v_add_co_u32 v2, vcc_lo, v2, s14
	v_add_co_ci_u32_e64 v3, null, s15, v3, vcc_lo
	v_add_co_u32 v4, vcc_lo, v4, v8
	v_add_co_ci_u32_e64 v5, null, 0, v5, vcc_lo
	;; [unrolled: 2-line block ×5, first 2 shown]
	v_mov_b32_e32 v8, 0
	v_mov_b32_e32 v9, 0
	;; [unrolled: 1-line block ×3, first 2 shown]
	s_lshl_b64 s[12:13], s[24:25], 4
	s_mov_b64 s[14:15], 0
	s_branch .LBB412_3
.LBB412_2:                              ;   in Loop: Header=BB412_3 Depth=1
	s_or_b32 exec_lo, exec_lo, s9
	ds_write_b32 v15, v17
	s_waitcnt lgkmcnt(0)
	s_barrier
	buffer_gl0_inv
	ds_read_b128 v[16:19], v12
	ds_read2_b32 v[32:33], v11 offset1:16
	ds_read_b128 v[20:23], v12 offset:512
	ds_read2_b32 v[34:35], v11 offset0:32 offset1:48
	ds_read2_b32 v[36:37], v11 offset0:64 offset1:80
	;; [unrolled: 1-line block ×3, first 2 shown]
	ds_read_b128 v[24:27], v12 offset:16
	ds_read2_b32 v[40:41], v11 offset0:128 offset1:144
	ds_read_b128 v[28:31], v12 offset:528
	ds_read2_b32 v[42:43], v11 offset0:160 offset1:176
	s_add_u32 s14, s14, 8
	s_addc_u32 s15, s15, 0
	v_add_co_u32 v2, vcc_lo, v2, s12
	v_cmp_lt_i64_e64 s9, s[14:15], s[10:11]
	v_add_co_ci_u32_e64 v3, null, s13, v3, vcc_lo
	v_add_co_u32 v4, vcc_lo, v4, 16
	v_add_co_ci_u32_e64 v5, null, 0, v5, vcc_lo
	s_waitcnt lgkmcnt(8)
	v_fmac_f32_e32 v10, v32, v16
	v_fmac_f32_e32 v9, v33, v16
	s_waitcnt lgkmcnt(7)
	v_fmac_f32_e32 v8, v32, v20
	v_fmac_f32_e32 v7, v33, v20
	ds_read2_b32 v[32:33], v11 offset0:192 offset1:208
	s_waitcnt lgkmcnt(7)
	v_fmac_f32_e32 v10, v34, v17
	v_fmac_f32_e32 v9, v35, v17
	;; [unrolled: 1-line block ×4, first 2 shown]
	ds_read2_b32 v[16:17], v11 offset0:224 offset1:240
	s_waitcnt lgkmcnt(7)
	v_fmac_f32_e32 v10, v36, v18
	v_fmac_f32_e32 v9, v37, v18
	;; [unrolled: 1-line block ×4, first 2 shown]
	s_and_b32 vcc_lo, exec_lo, s9
	s_waitcnt lgkmcnt(6)
	v_fmac_f32_e32 v10, v38, v19
	v_fmac_f32_e32 v9, v39, v19
	;; [unrolled: 1-line block ×4, first 2 shown]
	s_waitcnt lgkmcnt(0)
	v_fmac_f32_e32 v10, v40, v24
	v_fmac_f32_e32 v9, v41, v24
	;; [unrolled: 1-line block ×4, first 2 shown]
	s_barrier
	v_fmac_f32_e32 v10, v42, v25
	v_fmac_f32_e32 v9, v43, v25
	;; [unrolled: 1-line block ×4, first 2 shown]
	buffer_gl0_inv
	v_fmac_f32_e32 v10, v32, v26
	v_fmac_f32_e32 v9, v33, v26
	;; [unrolled: 1-line block ×8, first 2 shown]
	s_cbranch_vccz .LBB412_7
.LBB412_3:                              ; =>This Inner Loop Header: Depth=1
	v_add_co_u32 v16, s9, v13, s14
	v_add_co_ci_u32_e64 v17, null, 0, s15, s9
	v_cmp_gt_i64_e32 vcc_lo, s[10:11], v[16:17]
	v_mov_b32_e32 v16, 0
	s_and_b32 s16, s0, vcc_lo
	s_and_saveexec_b32 s9, s16
	s_cbranch_execz .LBB412_5
; %bb.4:                                ;   in Loop: Header=BB412_3 Depth=1
	global_load_ushort v16, v[4:5], off
	s_waitcnt vmcnt(0)
	v_cvt_f32_f16_e32 v16, v16
.LBB412_5:                              ;   in Loop: Header=BB412_3 Depth=1
	s_or_b32 exec_lo, exec_lo, s9
	v_add_co_u32 v17, s9, v6, s14
	v_add_co_ci_u32_e64 v18, null, 0, s15, s9
	ds_write_b32 v14, v16
	v_cmp_gt_i64_e32 vcc_lo, s[10:11], v[17:18]
	v_mov_b32_e32 v17, 0
	s_and_b32 s16, vcc_lo, s1
	s_and_saveexec_b32 s9, s16
	s_cbranch_execz .LBB412_2
; %bb.6:                                ;   in Loop: Header=BB412_3 Depth=1
	global_load_ushort v16, v[2:3], off
	s_waitcnt vmcnt(0)
	v_cvt_f32_f16_e32 v17, v16
	s_branch .LBB412_2
.LBB412_7:
	s_clause 0x3
	s_load_dwordx4 s[24:27], s[4:5], 0x78
	s_load_dword s9, s[4:5], 0x50
	s_load_dwordx8 s[12:19], s[4:5], 0x58
	s_load_dword s4, s[4:5], 0x18
	v_add_co_u32 v1, s0, s2, v1
	v_add_co_ci_u32_e64 v2, null, s3, 0, s0
	s_waitcnt lgkmcnt(0)
	s_mul_i32 s1, s27, s8
	s_mul_hi_u32 s2, s26, s8
	s_mul_i32 s0, s26, s8
	s_add_i32 s1, s2, s1
	v_cmp_neq_f32_e64 s2, s9, 0
	s_lshl_b64 s[10:11], s[0:1], 2
	v_cmp_gt_i64_e64 s0, s[22:23], v[1:2]
	s_add_u32 s3, s18, s10
	s_addc_u32 s5, s19, s11
	s_and_b32 vcc_lo, exec_lo, s2
	s_cbranch_vccnz .LBB412_20
; %bb.8:
	s_and_saveexec_b32 s10, s0
	s_cbranch_execz .LBB412_18
; %bb.9:
	v_mul_lo_u32 v5, v2, s24
	v_mul_lo_u32 v6, v1, s25
	v_mad_u64_u32 v[3:4], null, v1, s24, 0
	v_add3_u32 v4, v4, v6, v5
	v_add_co_u32 v5, s1, s6, v0
	v_add_co_ci_u32_e64 v6, null, s7, 0, s1
	v_lshlrev_b64 v[11:12], 2, v[3:4]
	v_cmp_gt_i64_e32 vcc_lo, s[20:21], v[5:6]
	v_lshlrev_b64 v[3:4], 2, v[5:6]
	v_add_co_u32 v11, s1, s3, v11
	v_add_co_ci_u32_e64 v12, null, s5, v12, s1
	s_and_saveexec_b32 s2, vcc_lo
	s_cbranch_execz .LBB412_11
; %bb.10:
	v_add_co_u32 v13, s1, v11, v3
	v_add_co_ci_u32_e64 v14, null, v12, v4, s1
	v_mul_f32_e32 v15, s4, v10
	global_store_dword v[13:14], v15, off
.LBB412_11:
	s_or_b32 exec_lo, exec_lo, s2
	v_add_co_u32 v5, s1, v5, 16
	v_add_co_ci_u32_e64 v6, null, 0, v6, s1
	v_cmp_gt_i64_e64 s1, s[20:21], v[5:6]
	s_and_saveexec_b32 s11, s1
	s_cbranch_execz .LBB412_13
; %bb.12:
	v_add_co_u32 v5, s2, v11, v3
	v_add_co_ci_u32_e64 v6, null, v12, v4, s2
	v_mul_f32_e32 v13, s4, v9
	global_store_dword v[5:6], v13, off offset:64
.LBB412_13:
	s_or_b32 exec_lo, exec_lo, s11
	v_add_co_u32 v5, s2, v1, 16
	v_add_co_ci_u32_e64 v6, null, 0, v2, s2
	v_cmp_gt_i64_e64 s2, s[22:23], v[5:6]
	s_and_b32 exec_lo, exec_lo, s2
	s_cbranch_execz .LBB412_18
; %bb.14:
	s_lshl_b64 s[18:19], s[24:25], 6
	v_add_co_u32 v5, s2, v11, s18
	v_add_co_ci_u32_e64 v6, null, s19, v12, s2
	v_add_co_u32 v3, s2, v5, v3
	v_add_co_ci_u32_e64 v4, null, v6, v4, s2
	s_and_saveexec_b32 s2, vcc_lo
	s_cbranch_execz .LBB412_16
; %bb.15:
	v_mul_f32_e32 v5, s4, v8
	global_store_dword v[3:4], v5, off
.LBB412_16:
	s_or_b32 exec_lo, exec_lo, s2
	s_and_b32 exec_lo, exec_lo, s1
	s_cbranch_execz .LBB412_18
; %bb.17:
	v_mul_f32_e32 v5, s4, v7
	global_store_dword v[3:4], v5, off offset:64
.LBB412_18:
	s_or_b32 exec_lo, exec_lo, s10
	s_cbranch_execz .LBB412_21
.LBB412_19:
	s_endpgm
.LBB412_20:
.LBB412_21:
	s_and_saveexec_b32 s1, s0
	s_cbranch_execz .LBB412_19
; %bb.22:
	v_mul_lo_u32 v5, v2, s14
	v_mul_lo_u32 v6, v1, s15
	v_mad_u64_u32 v[3:4], null, v1, s14, 0
	v_mul_lo_u32 v13, v2, s24
	v_mul_lo_u32 v14, v1, s25
	v_mad_u64_u32 v[11:12], null, v1, s24, 0
	s_mul_i32 s0, s17, s8
	s_mul_hi_u32 s1, s16, s8
	v_add3_u32 v4, v4, v6, v5
	s_add_i32 s1, s1, s0
	s_mul_i32 s0, s16, s8
	v_add_co_u32 v5, s2, s6, v0
	v_add3_u32 v12, v12, v14, v13
	v_lshlrev_b64 v[3:4], 2, v[3:4]
	s_lshl_b64 s[0:1], s[0:1], 2
	v_add_co_ci_u32_e64 v6, null, s7, 0, s2
	v_lshlrev_b64 v[12:13], 2, v[11:12]
	s_add_u32 s0, s12, s0
	s_addc_u32 s1, s13, s1
	v_add_co_u32 v0, s0, s0, v3
	v_add_co_ci_u32_e64 v11, null, s1, v4, s0
	v_add_co_u32 v12, s0, s3, v12
	v_cmp_gt_i64_e32 vcc_lo, s[20:21], v[5:6]
	v_lshlrev_b64 v[3:4], 2, v[5:6]
	v_add_co_ci_u32_e64 v13, null, s5, v13, s0
	s_and_saveexec_b32 s1, vcc_lo
	s_cbranch_execz .LBB412_24
; %bb.23:
	v_add_co_u32 v14, s0, v0, v3
	v_add_co_ci_u32_e64 v15, null, v11, v4, s0
	global_load_dword v14, v[14:15], off
	s_waitcnt vmcnt(0)
	v_mul_f32_e32 v16, s9, v14
	v_add_co_u32 v14, s0, v12, v3
	v_add_co_ci_u32_e64 v15, null, v13, v4, s0
	v_fmac_f32_e32 v16, s4, v10
	global_store_dword v[14:15], v16, off
.LBB412_24:
	s_or_b32 exec_lo, exec_lo, s1
	v_add_co_u32 v5, s0, v5, 16
	v_add_co_ci_u32_e64 v6, null, 0, v6, s0
	v_cmp_gt_i64_e64 s0, s[20:21], v[5:6]
	s_and_saveexec_b32 s2, s0
	s_cbranch_execz .LBB412_26
; %bb.25:
	v_add_co_u32 v5, s1, v0, v3
	v_add_co_ci_u32_e64 v6, null, v11, v4, s1
	global_load_dword v5, v[5:6], off offset:64
	s_waitcnt vmcnt(0)
	v_mul_f32_e32 v10, s9, v5
	v_add_co_u32 v5, s1, v12, v3
	v_add_co_ci_u32_e64 v6, null, v13, v4, s1
	v_fmac_f32_e32 v10, s4, v9
	global_store_dword v[5:6], v10, off offset:64
.LBB412_26:
	s_or_b32 exec_lo, exec_lo, s2
	v_add_co_u32 v1, s1, v1, 16
	v_add_co_ci_u32_e64 v2, null, 0, v2, s1
	v_cmp_gt_i64_e64 s1, s[22:23], v[1:2]
	s_and_b32 exec_lo, exec_lo, s1
	s_cbranch_execz .LBB412_19
; %bb.27:
	s_lshl_b64 s[2:3], s[14:15], 6
	v_add_co_u32 v0, s1, v0, s2
	v_add_co_ci_u32_e64 v1, null, s3, v11, s1
	s_lshl_b64 s[2:3], s[24:25], 6
	v_add_co_u32 v2, s1, v12, s2
	v_add_co_ci_u32_e64 v5, null, s3, v13, s1
	v_add_co_u32 v0, s1, v0, v3
	v_add_co_ci_u32_e64 v1, null, v1, v4, s1
	;; [unrolled: 2-line block ×3, first 2 shown]
	s_and_saveexec_b32 s1, vcc_lo
	s_cbranch_execz .LBB412_29
; %bb.28:
	global_load_dword v4, v[0:1], off
	s_waitcnt vmcnt(0)
	v_mul_f32_e32 v4, s9, v4
	v_fmac_f32_e32 v4, s4, v8
	global_store_dword v[2:3], v4, off
.LBB412_29:
	s_or_b32 exec_lo, exec_lo, s1
	s_and_b32 exec_lo, exec_lo, s0
	s_cbranch_execz .LBB412_19
; %bb.30:
	global_load_dword v0, v[0:1], off offset:64
	s_waitcnt vmcnt(0)
	v_mul_f32_e32 v0, s9, v0
	v_fmac_f32_e32 v0, s4, v7
	global_store_dword v[2:3], v0, off offset:64
	s_endpgm
	.section	.rodata,"a",@progbits
	.p2align	6, 0x0
	.amdhsa_kernel _ZN12_GLOBAL__N_135rocblas_gemm_batched_general_kernelIfLi16ELi16ELi32ELi32ELi8ELi32ELi8ELi8ELi32ELc67ELc67EKDF16_KffEEvlllT_PT11_llS5_llS3_PT12_llPT13_lli
		.amdhsa_group_segment_fixed_size 2048
		.amdhsa_private_segment_fixed_size 0
		.amdhsa_kernarg_size 140
		.amdhsa_user_sgpr_count 6
		.amdhsa_user_sgpr_private_segment_buffer 1
		.amdhsa_user_sgpr_dispatch_ptr 0
		.amdhsa_user_sgpr_queue_ptr 0
		.amdhsa_user_sgpr_kernarg_segment_ptr 1
		.amdhsa_user_sgpr_dispatch_id 0
		.amdhsa_user_sgpr_flat_scratch_init 0
		.amdhsa_user_sgpr_private_segment_size 0
		.amdhsa_wavefront_size32 1
		.amdhsa_uses_dynamic_stack 0
		.amdhsa_system_sgpr_private_segment_wavefront_offset 0
		.amdhsa_system_sgpr_workgroup_id_x 1
		.amdhsa_system_sgpr_workgroup_id_y 1
		.amdhsa_system_sgpr_workgroup_id_z 1
		.amdhsa_system_sgpr_workgroup_info 0
		.amdhsa_system_vgpr_workitem_id 1
		.amdhsa_next_free_vgpr 44
		.amdhsa_next_free_sgpr 30
		.amdhsa_reserve_vcc 1
		.amdhsa_reserve_flat_scratch 0
		.amdhsa_float_round_mode_32 0
		.amdhsa_float_round_mode_16_64 0
		.amdhsa_float_denorm_mode_32 3
		.amdhsa_float_denorm_mode_16_64 3
		.amdhsa_dx10_clamp 1
		.amdhsa_ieee_mode 1
		.amdhsa_fp16_overflow 0
		.amdhsa_workgroup_processor_mode 1
		.amdhsa_memory_ordered 1
		.amdhsa_forward_progress 1
		.amdhsa_shared_vgpr_count 0
		.amdhsa_exception_fp_ieee_invalid_op 0
		.amdhsa_exception_fp_denorm_src 0
		.amdhsa_exception_fp_ieee_div_zero 0
		.amdhsa_exception_fp_ieee_overflow 0
		.amdhsa_exception_fp_ieee_underflow 0
		.amdhsa_exception_fp_ieee_inexact 0
		.amdhsa_exception_int_div_zero 0
	.end_amdhsa_kernel
	.section	.text._ZN12_GLOBAL__N_135rocblas_gemm_batched_general_kernelIfLi16ELi16ELi32ELi32ELi8ELi32ELi8ELi8ELi32ELc67ELc67EKDF16_KffEEvlllT_PT11_llS5_llS3_PT12_llPT13_lli,"axG",@progbits,_ZN12_GLOBAL__N_135rocblas_gemm_batched_general_kernelIfLi16ELi16ELi32ELi32ELi8ELi32ELi8ELi8ELi32ELc67ELc67EKDF16_KffEEvlllT_PT11_llS5_llS3_PT12_llPT13_lli,comdat
.Lfunc_end412:
	.size	_ZN12_GLOBAL__N_135rocblas_gemm_batched_general_kernelIfLi16ELi16ELi32ELi32ELi8ELi32ELi8ELi8ELi32ELc67ELc67EKDF16_KffEEvlllT_PT11_llS5_llS3_PT12_llPT13_lli, .Lfunc_end412-_ZN12_GLOBAL__N_135rocblas_gemm_batched_general_kernelIfLi16ELi16ELi32ELi32ELi8ELi32ELi8ELi8ELi32ELc67ELc67EKDF16_KffEEvlllT_PT11_llS5_llS3_PT12_llPT13_lli
                                        ; -- End function
	.set _ZN12_GLOBAL__N_135rocblas_gemm_batched_general_kernelIfLi16ELi16ELi32ELi32ELi8ELi32ELi8ELi8ELi32ELc67ELc67EKDF16_KffEEvlllT_PT11_llS5_llS3_PT12_llPT13_lli.num_vgpr, 44
	.set _ZN12_GLOBAL__N_135rocblas_gemm_batched_general_kernelIfLi16ELi16ELi32ELi32ELi8ELi32ELi8ELi8ELi32ELc67ELc67EKDF16_KffEEvlllT_PT11_llS5_llS3_PT12_llPT13_lli.num_agpr, 0
	.set _ZN12_GLOBAL__N_135rocblas_gemm_batched_general_kernelIfLi16ELi16ELi32ELi32ELi8ELi32ELi8ELi8ELi32ELc67ELc67EKDF16_KffEEvlllT_PT11_llS5_llS3_PT12_llPT13_lli.numbered_sgpr, 30
	.set _ZN12_GLOBAL__N_135rocblas_gemm_batched_general_kernelIfLi16ELi16ELi32ELi32ELi8ELi32ELi8ELi8ELi32ELc67ELc67EKDF16_KffEEvlllT_PT11_llS5_llS3_PT12_llPT13_lli.num_named_barrier, 0
	.set _ZN12_GLOBAL__N_135rocblas_gemm_batched_general_kernelIfLi16ELi16ELi32ELi32ELi8ELi32ELi8ELi8ELi32ELc67ELc67EKDF16_KffEEvlllT_PT11_llS5_llS3_PT12_llPT13_lli.private_seg_size, 0
	.set _ZN12_GLOBAL__N_135rocblas_gemm_batched_general_kernelIfLi16ELi16ELi32ELi32ELi8ELi32ELi8ELi8ELi32ELc67ELc67EKDF16_KffEEvlllT_PT11_llS5_llS3_PT12_llPT13_lli.uses_vcc, 1
	.set _ZN12_GLOBAL__N_135rocblas_gemm_batched_general_kernelIfLi16ELi16ELi32ELi32ELi8ELi32ELi8ELi8ELi32ELc67ELc67EKDF16_KffEEvlllT_PT11_llS5_llS3_PT12_llPT13_lli.uses_flat_scratch, 0
	.set _ZN12_GLOBAL__N_135rocblas_gemm_batched_general_kernelIfLi16ELi16ELi32ELi32ELi8ELi32ELi8ELi8ELi32ELc67ELc67EKDF16_KffEEvlllT_PT11_llS5_llS3_PT12_llPT13_lli.has_dyn_sized_stack, 0
	.set _ZN12_GLOBAL__N_135rocblas_gemm_batched_general_kernelIfLi16ELi16ELi32ELi32ELi8ELi32ELi8ELi8ELi32ELc67ELc67EKDF16_KffEEvlllT_PT11_llS5_llS3_PT12_llPT13_lli.has_recursion, 0
	.set _ZN12_GLOBAL__N_135rocblas_gemm_batched_general_kernelIfLi16ELi16ELi32ELi32ELi8ELi32ELi8ELi8ELi32ELc67ELc67EKDF16_KffEEvlllT_PT11_llS5_llS3_PT12_llPT13_lli.has_indirect_call, 0
	.section	.AMDGPU.csdata,"",@progbits
; Kernel info:
; codeLenInByte = 1900
; TotalNumSgprs: 32
; NumVgprs: 44
; ScratchSize: 0
; MemoryBound: 0
; FloatMode: 240
; IeeeMode: 1
; LDSByteSize: 2048 bytes/workgroup (compile time only)
; SGPRBlocks: 0
; VGPRBlocks: 5
; NumSGPRsForWavesPerEU: 32
; NumVGPRsForWavesPerEU: 44
; Occupancy: 16
; WaveLimiterHint : 0
; COMPUTE_PGM_RSRC2:SCRATCH_EN: 0
; COMPUTE_PGM_RSRC2:USER_SGPR: 6
; COMPUTE_PGM_RSRC2:TRAP_HANDLER: 0
; COMPUTE_PGM_RSRC2:TGID_X_EN: 1
; COMPUTE_PGM_RSRC2:TGID_Y_EN: 1
; COMPUTE_PGM_RSRC2:TGID_Z_EN: 1
; COMPUTE_PGM_RSRC2:TIDIG_COMP_CNT: 1
	.section	.text._ZN12_GLOBAL__N_135rocblas_gemm_batched_general_kernelIfLi16ELi16ELi32ELi32ELi8ELi32ELi8ELi8ELi32ELc67ELc78EKDF16_KffEEvlllT_PT11_llS5_llS3_PT12_llPT13_lli,"axG",@progbits,_ZN12_GLOBAL__N_135rocblas_gemm_batched_general_kernelIfLi16ELi16ELi32ELi32ELi8ELi32ELi8ELi8ELi32ELc67ELc78EKDF16_KffEEvlllT_PT11_llS5_llS3_PT12_llPT13_lli,comdat
	.globl	_ZN12_GLOBAL__N_135rocblas_gemm_batched_general_kernelIfLi16ELi16ELi32ELi32ELi8ELi32ELi8ELi8ELi32ELc67ELc78EKDF16_KffEEvlllT_PT11_llS5_llS3_PT12_llPT13_lli ; -- Begin function _ZN12_GLOBAL__N_135rocblas_gemm_batched_general_kernelIfLi16ELi16ELi32ELi32ELi8ELi32ELi8ELi8ELi32ELc67ELc78EKDF16_KffEEvlllT_PT11_llS5_llS3_PT12_llPT13_lli
	.p2align	8
	.type	_ZN12_GLOBAL__N_135rocblas_gemm_batched_general_kernelIfLi16ELi16ELi32ELi32ELi8ELi32ELi8ELi8ELi32ELc67ELc78EKDF16_KffEEvlllT_PT11_llS5_llS3_PT12_llPT13_lli,@function
_ZN12_GLOBAL__N_135rocblas_gemm_batched_general_kernelIfLi16ELi16ELi32ELi32ELi8ELi32ELi8ELi8ELi32ELc67ELc78EKDF16_KffEEvlllT_PT11_llS5_llS3_PT12_llPT13_lli: ; @_ZN12_GLOBAL__N_135rocblas_gemm_batched_general_kernelIfLi16ELi16ELi32ELi32ELi8ELi32ELi8ELi8ELi32ELc67ELc78EKDF16_KffEEvlllT_PT11_llS5_llS3_PT12_llPT13_lli
; %bb.0:
	s_clause 0x1
	s_load_dwordx2 s[10:11], s[4:5], 0x10
	s_load_dwordx4 s[20:23], s[4:5], 0x0
	s_mov_b32 s0, s7
	v_mov_b32_e32 v10, 0
	v_mov_b32_e32 v9, 0
	v_mov_b32_e32 v8, 0
	v_mov_b32_e32 v7, 0
	s_ashr_i32 s7, s6, 31
	s_ashr_i32 s1, s0, 31
	s_lshl_b64 s[6:7], s[6:7], 5
	s_waitcnt lgkmcnt(0)
	v_cmp_lt_i64_e64 s2, s[10:11], 1
	s_and_b32 vcc_lo, exec_lo, s2
	s_lshl_b64 s[2:3], s[0:1], 5
	s_cbranch_vccnz .LBB413_7
; %bb.1:
	s_clause 0x1
	s_load_dwordx4 s[24:27], s[4:5], 0x40
	s_load_dwordx8 s[12:19], s[4:5], 0x20
	v_lshl_add_u32 v2, v1, 4, v0
	v_and_b32_e32 v6, 7, v0
	v_mov_b32_e32 v3, s7
	v_mov_b32_e32 v7, 0
	v_lshlrev_b32_e32 v14, 2, v0
	v_lshrrev_b32_e32 v9, 3, v2
	v_and_b32_e32 v8, 31, v2
	v_lshrrev_b32_e32 v11, 5, v2
	v_lshlrev_b32_e32 v13, 2, v6
	v_lshl_add_u32 v15, v1, 5, 0x400
	v_add_co_u32 v4, s0, v9, s2
	v_or_b32_e32 v2, s6, v8
	v_lshlrev_b32_e32 v10, 2, v8
	v_add_co_ci_u32_e64 v5, null, 0, s3, s0
	v_add_co_u32 v8, s9, s6, v8
	v_cmp_gt_i64_e64 s0, s[20:21], v[2:3]
	v_lshl_or_b32 v12, v11, 7, v10
	v_cmp_gt_i64_e64 s1, s[22:23], v[4:5]
	s_waitcnt lgkmcnt(0)
	v_mul_lo_u32 v10, s25, v4
	v_mul_lo_u32 v5, s24, v5
	v_mad_u64_u32 v[2:3], null, s24, v4, 0
	v_lshl_or_b32 v4, v9, 5, v13
	v_add_co_ci_u32_e64 v9, null, s7, 0, s9
	s_mul_i32 s9, s27, s8
	v_add_nc_u32_e32 v13, 0x400, v4
	v_add3_u32 v3, v3, v5, v10
	v_mul_lo_u32 v10, s15, v8
	v_mul_lo_u32 v9, s14, v9
	v_mad_u64_u32 v[4:5], null, s14, v8, 0
	s_mul_hi_u32 s14, s26, s8
	v_lshlrev_b64 v[2:3], 1, v[2:3]
	s_add_i32 s15, s14, s9
	s_mul_i32 s14, s26, s8
	s_mul_i32 s9, s17, s8
	s_lshl_b64 s[14:15], s[14:15], 1
	v_add3_u32 v5, v5, v9, v10
	v_add_co_u32 v8, vcc_lo, v2, s14
	v_add_co_ci_u32_e64 v9, null, s15, v3, vcc_lo
	s_mul_hi_u32 s14, s16, s8
	v_lshlrev_b64 v[2:3], 1, v[4:5]
	s_add_i32 s15, s14, s9
	s_mul_i32 s14, s16, s8
	v_lshlrev_b32_e32 v4, 1, v6
	s_lshl_b64 s[14:15], s[14:15], 1
	v_lshlrev_b32_e32 v5, 1, v11
	v_add_co_u32 v2, vcc_lo, v2, s14
	v_add_co_ci_u32_e64 v3, null, s15, v3, vcc_lo
	v_add_co_u32 v4, vcc_lo, v8, v4
	v_add_co_ci_u32_e64 v8, null, 0, v9, vcc_lo
	;; [unrolled: 2-line block ×5, first 2 shown]
	v_mov_b32_e32 v8, 0
	v_mov_b32_e32 v9, 0
	;; [unrolled: 1-line block ×3, first 2 shown]
	s_mov_b64 s[12:13], 0
	s_branch .LBB413_3
.LBB413_2:                              ;   in Loop: Header=BB413_3 Depth=1
	s_or_b32 exec_lo, exec_lo, s9
	ds_write_b32 v13, v17
	s_waitcnt lgkmcnt(0)
	s_barrier
	buffer_gl0_inv
	ds_read_b128 v[16:19], v15
	ds_read2_b32 v[32:33], v14 offset1:16
	ds_read_b128 v[20:23], v15 offset:512
	ds_read2_b32 v[34:35], v14 offset0:32 offset1:48
	ds_read2_b32 v[36:37], v14 offset0:64 offset1:80
	;; [unrolled: 1-line block ×3, first 2 shown]
	ds_read_b128 v[24:27], v15 offset:16
	ds_read2_b32 v[40:41], v14 offset0:128 offset1:144
	ds_read_b128 v[28:31], v15 offset:528
	ds_read2_b32 v[42:43], v14 offset0:160 offset1:176
	s_add_u32 s12, s12, 8
	s_addc_u32 s13, s13, 0
	v_add_co_u32 v2, vcc_lo, v2, 16
	v_cmp_lt_i64_e64 s9, s[12:13], s[10:11]
	v_add_co_ci_u32_e64 v3, null, 0, v3, vcc_lo
	v_add_co_u32 v4, vcc_lo, v4, 16
	v_add_co_ci_u32_e64 v5, null, 0, v5, vcc_lo
	s_waitcnt lgkmcnt(8)
	v_fmac_f32_e32 v10, v32, v16
	v_fmac_f32_e32 v9, v33, v16
	s_waitcnt lgkmcnt(7)
	v_fmac_f32_e32 v8, v32, v20
	v_fmac_f32_e32 v7, v33, v20
	ds_read2_b32 v[32:33], v14 offset0:192 offset1:208
	s_waitcnt lgkmcnt(7)
	v_fmac_f32_e32 v10, v34, v17
	v_fmac_f32_e32 v9, v35, v17
	;; [unrolled: 1-line block ×4, first 2 shown]
	ds_read2_b32 v[16:17], v14 offset0:224 offset1:240
	s_waitcnt lgkmcnt(7)
	v_fmac_f32_e32 v10, v36, v18
	v_fmac_f32_e32 v9, v37, v18
	;; [unrolled: 1-line block ×4, first 2 shown]
	s_and_b32 vcc_lo, exec_lo, s9
	s_waitcnt lgkmcnt(6)
	v_fmac_f32_e32 v10, v38, v19
	v_fmac_f32_e32 v9, v39, v19
	;; [unrolled: 1-line block ×4, first 2 shown]
	s_waitcnt lgkmcnt(0)
	v_fmac_f32_e32 v10, v40, v24
	v_fmac_f32_e32 v9, v41, v24
	;; [unrolled: 1-line block ×4, first 2 shown]
	s_barrier
	v_fmac_f32_e32 v10, v42, v25
	v_fmac_f32_e32 v9, v43, v25
	;; [unrolled: 1-line block ×4, first 2 shown]
	buffer_gl0_inv
	v_fmac_f32_e32 v10, v32, v26
	v_fmac_f32_e32 v9, v33, v26
	;; [unrolled: 1-line block ×8, first 2 shown]
	s_cbranch_vccz .LBB413_7
.LBB413_3:                              ; =>This Inner Loop Header: Depth=1
	v_add_co_u32 v16, s9, v11, s12
	v_add_co_ci_u32_e64 v17, null, 0, s13, s9
	v_cmp_gt_i64_e32 vcc_lo, s[10:11], v[16:17]
	v_mov_b32_e32 v16, 0
	s_and_b32 s14, s0, vcc_lo
	s_and_saveexec_b32 s9, s14
	s_cbranch_execz .LBB413_5
; %bb.4:                                ;   in Loop: Header=BB413_3 Depth=1
	global_load_ushort v16, v[4:5], off
	s_waitcnt vmcnt(0)
	v_cvt_f32_f16_e32 v16, v16
.LBB413_5:                              ;   in Loop: Header=BB413_3 Depth=1
	s_or_b32 exec_lo, exec_lo, s9
	v_add_co_u32 v17, s9, v6, s12
	v_add_co_ci_u32_e64 v18, null, 0, s13, s9
	ds_write_b32 v12, v16
	v_cmp_gt_i64_e32 vcc_lo, s[10:11], v[17:18]
	v_mov_b32_e32 v17, 0
	s_and_b32 s14, vcc_lo, s1
	s_and_saveexec_b32 s9, s14
	s_cbranch_execz .LBB413_2
; %bb.6:                                ;   in Loop: Header=BB413_3 Depth=1
	global_load_ushort v16, v[2:3], off
	s_waitcnt vmcnt(0)
	v_cvt_f32_f16_e32 v17, v16
	s_branch .LBB413_2
.LBB413_7:
	s_clause 0x3
	s_load_dwordx4 s[24:27], s[4:5], 0x78
	s_load_dword s9, s[4:5], 0x50
	s_load_dwordx8 s[12:19], s[4:5], 0x58
	s_load_dword s4, s[4:5], 0x18
	v_add_co_u32 v1, s0, s2, v1
	v_add_co_ci_u32_e64 v2, null, s3, 0, s0
	s_waitcnt lgkmcnt(0)
	s_mul_i32 s1, s27, s8
	s_mul_hi_u32 s2, s26, s8
	s_mul_i32 s0, s26, s8
	s_add_i32 s1, s2, s1
	v_cmp_neq_f32_e64 s2, s9, 0
	s_lshl_b64 s[10:11], s[0:1], 2
	v_cmp_gt_i64_e64 s0, s[22:23], v[1:2]
	s_add_u32 s3, s18, s10
	s_addc_u32 s5, s19, s11
	s_and_b32 vcc_lo, exec_lo, s2
	s_cbranch_vccnz .LBB413_20
; %bb.8:
	s_and_saveexec_b32 s10, s0
	s_cbranch_execz .LBB413_18
; %bb.9:
	v_mul_lo_u32 v5, v2, s24
	v_mul_lo_u32 v6, v1, s25
	v_mad_u64_u32 v[3:4], null, v1, s24, 0
	v_add3_u32 v4, v4, v6, v5
	v_add_co_u32 v5, s1, s6, v0
	v_add_co_ci_u32_e64 v6, null, s7, 0, s1
	v_lshlrev_b64 v[11:12], 2, v[3:4]
	v_cmp_gt_i64_e32 vcc_lo, s[20:21], v[5:6]
	v_lshlrev_b64 v[3:4], 2, v[5:6]
	v_add_co_u32 v11, s1, s3, v11
	v_add_co_ci_u32_e64 v12, null, s5, v12, s1
	s_and_saveexec_b32 s2, vcc_lo
	s_cbranch_execz .LBB413_11
; %bb.10:
	v_add_co_u32 v13, s1, v11, v3
	v_add_co_ci_u32_e64 v14, null, v12, v4, s1
	v_mul_f32_e32 v15, s4, v10
	global_store_dword v[13:14], v15, off
.LBB413_11:
	s_or_b32 exec_lo, exec_lo, s2
	v_add_co_u32 v5, s1, v5, 16
	v_add_co_ci_u32_e64 v6, null, 0, v6, s1
	v_cmp_gt_i64_e64 s1, s[20:21], v[5:6]
	s_and_saveexec_b32 s11, s1
	s_cbranch_execz .LBB413_13
; %bb.12:
	v_add_co_u32 v5, s2, v11, v3
	v_add_co_ci_u32_e64 v6, null, v12, v4, s2
	v_mul_f32_e32 v13, s4, v9
	global_store_dword v[5:6], v13, off offset:64
.LBB413_13:
	s_or_b32 exec_lo, exec_lo, s11
	v_add_co_u32 v5, s2, v1, 16
	v_add_co_ci_u32_e64 v6, null, 0, v2, s2
	v_cmp_gt_i64_e64 s2, s[22:23], v[5:6]
	s_and_b32 exec_lo, exec_lo, s2
	s_cbranch_execz .LBB413_18
; %bb.14:
	s_lshl_b64 s[18:19], s[24:25], 6
	v_add_co_u32 v5, s2, v11, s18
	v_add_co_ci_u32_e64 v6, null, s19, v12, s2
	v_add_co_u32 v3, s2, v5, v3
	v_add_co_ci_u32_e64 v4, null, v6, v4, s2
	s_and_saveexec_b32 s2, vcc_lo
	s_cbranch_execz .LBB413_16
; %bb.15:
	v_mul_f32_e32 v5, s4, v8
	global_store_dword v[3:4], v5, off
.LBB413_16:
	s_or_b32 exec_lo, exec_lo, s2
	s_and_b32 exec_lo, exec_lo, s1
	s_cbranch_execz .LBB413_18
; %bb.17:
	v_mul_f32_e32 v5, s4, v7
	global_store_dword v[3:4], v5, off offset:64
.LBB413_18:
	s_or_b32 exec_lo, exec_lo, s10
	s_cbranch_execz .LBB413_21
.LBB413_19:
	s_endpgm
.LBB413_20:
.LBB413_21:
	s_and_saveexec_b32 s1, s0
	s_cbranch_execz .LBB413_19
; %bb.22:
	v_mul_lo_u32 v5, v2, s14
	v_mul_lo_u32 v6, v1, s15
	v_mad_u64_u32 v[3:4], null, v1, s14, 0
	v_mul_lo_u32 v13, v2, s24
	v_mul_lo_u32 v14, v1, s25
	v_mad_u64_u32 v[11:12], null, v1, s24, 0
	s_mul_i32 s0, s17, s8
	s_mul_hi_u32 s1, s16, s8
	v_add3_u32 v4, v4, v6, v5
	s_add_i32 s1, s1, s0
	s_mul_i32 s0, s16, s8
	v_add_co_u32 v5, s2, s6, v0
	v_add3_u32 v12, v12, v14, v13
	v_lshlrev_b64 v[3:4], 2, v[3:4]
	s_lshl_b64 s[0:1], s[0:1], 2
	v_add_co_ci_u32_e64 v6, null, s7, 0, s2
	v_lshlrev_b64 v[12:13], 2, v[11:12]
	s_add_u32 s0, s12, s0
	s_addc_u32 s1, s13, s1
	v_add_co_u32 v0, s0, s0, v3
	v_add_co_ci_u32_e64 v11, null, s1, v4, s0
	v_add_co_u32 v12, s0, s3, v12
	v_cmp_gt_i64_e32 vcc_lo, s[20:21], v[5:6]
	v_lshlrev_b64 v[3:4], 2, v[5:6]
	v_add_co_ci_u32_e64 v13, null, s5, v13, s0
	s_and_saveexec_b32 s1, vcc_lo
	s_cbranch_execz .LBB413_24
; %bb.23:
	v_add_co_u32 v14, s0, v0, v3
	v_add_co_ci_u32_e64 v15, null, v11, v4, s0
	global_load_dword v14, v[14:15], off
	s_waitcnt vmcnt(0)
	v_mul_f32_e32 v16, s9, v14
	v_add_co_u32 v14, s0, v12, v3
	v_add_co_ci_u32_e64 v15, null, v13, v4, s0
	v_fmac_f32_e32 v16, s4, v10
	global_store_dword v[14:15], v16, off
.LBB413_24:
	s_or_b32 exec_lo, exec_lo, s1
	v_add_co_u32 v5, s0, v5, 16
	v_add_co_ci_u32_e64 v6, null, 0, v6, s0
	v_cmp_gt_i64_e64 s0, s[20:21], v[5:6]
	s_and_saveexec_b32 s2, s0
	s_cbranch_execz .LBB413_26
; %bb.25:
	v_add_co_u32 v5, s1, v0, v3
	v_add_co_ci_u32_e64 v6, null, v11, v4, s1
	global_load_dword v5, v[5:6], off offset:64
	s_waitcnt vmcnt(0)
	v_mul_f32_e32 v10, s9, v5
	v_add_co_u32 v5, s1, v12, v3
	v_add_co_ci_u32_e64 v6, null, v13, v4, s1
	v_fmac_f32_e32 v10, s4, v9
	global_store_dword v[5:6], v10, off offset:64
.LBB413_26:
	s_or_b32 exec_lo, exec_lo, s2
	v_add_co_u32 v1, s1, v1, 16
	v_add_co_ci_u32_e64 v2, null, 0, v2, s1
	v_cmp_gt_i64_e64 s1, s[22:23], v[1:2]
	s_and_b32 exec_lo, exec_lo, s1
	s_cbranch_execz .LBB413_19
; %bb.27:
	s_lshl_b64 s[2:3], s[14:15], 6
	v_add_co_u32 v0, s1, v0, s2
	v_add_co_ci_u32_e64 v1, null, s3, v11, s1
	s_lshl_b64 s[2:3], s[24:25], 6
	v_add_co_u32 v2, s1, v12, s2
	v_add_co_ci_u32_e64 v5, null, s3, v13, s1
	v_add_co_u32 v0, s1, v0, v3
	v_add_co_ci_u32_e64 v1, null, v1, v4, s1
	;; [unrolled: 2-line block ×3, first 2 shown]
	s_and_saveexec_b32 s1, vcc_lo
	s_cbranch_execz .LBB413_29
; %bb.28:
	global_load_dword v4, v[0:1], off
	s_waitcnt vmcnt(0)
	v_mul_f32_e32 v4, s9, v4
	v_fmac_f32_e32 v4, s4, v8
	global_store_dword v[2:3], v4, off
.LBB413_29:
	s_or_b32 exec_lo, exec_lo, s1
	s_and_b32 exec_lo, exec_lo, s0
	s_cbranch_execz .LBB413_19
; %bb.30:
	global_load_dword v0, v[0:1], off offset:64
	s_waitcnt vmcnt(0)
	v_mul_f32_e32 v0, s9, v0
	v_fmac_f32_e32 v0, s4, v7
	global_store_dword v[2:3], v0, off offset:64
	s_endpgm
	.section	.rodata,"a",@progbits
	.p2align	6, 0x0
	.amdhsa_kernel _ZN12_GLOBAL__N_135rocblas_gemm_batched_general_kernelIfLi16ELi16ELi32ELi32ELi8ELi32ELi8ELi8ELi32ELc67ELc78EKDF16_KffEEvlllT_PT11_llS5_llS3_PT12_llPT13_lli
		.amdhsa_group_segment_fixed_size 2048
		.amdhsa_private_segment_fixed_size 0
		.amdhsa_kernarg_size 140
		.amdhsa_user_sgpr_count 6
		.amdhsa_user_sgpr_private_segment_buffer 1
		.amdhsa_user_sgpr_dispatch_ptr 0
		.amdhsa_user_sgpr_queue_ptr 0
		.amdhsa_user_sgpr_kernarg_segment_ptr 1
		.amdhsa_user_sgpr_dispatch_id 0
		.amdhsa_user_sgpr_flat_scratch_init 0
		.amdhsa_user_sgpr_private_segment_size 0
		.amdhsa_wavefront_size32 1
		.amdhsa_uses_dynamic_stack 0
		.amdhsa_system_sgpr_private_segment_wavefront_offset 0
		.amdhsa_system_sgpr_workgroup_id_x 1
		.amdhsa_system_sgpr_workgroup_id_y 1
		.amdhsa_system_sgpr_workgroup_id_z 1
		.amdhsa_system_sgpr_workgroup_info 0
		.amdhsa_system_vgpr_workitem_id 1
		.amdhsa_next_free_vgpr 44
		.amdhsa_next_free_sgpr 28
		.amdhsa_reserve_vcc 1
		.amdhsa_reserve_flat_scratch 0
		.amdhsa_float_round_mode_32 0
		.amdhsa_float_round_mode_16_64 0
		.amdhsa_float_denorm_mode_32 3
		.amdhsa_float_denorm_mode_16_64 3
		.amdhsa_dx10_clamp 1
		.amdhsa_ieee_mode 1
		.amdhsa_fp16_overflow 0
		.amdhsa_workgroup_processor_mode 1
		.amdhsa_memory_ordered 1
		.amdhsa_forward_progress 1
		.amdhsa_shared_vgpr_count 0
		.amdhsa_exception_fp_ieee_invalid_op 0
		.amdhsa_exception_fp_denorm_src 0
		.amdhsa_exception_fp_ieee_div_zero 0
		.amdhsa_exception_fp_ieee_overflow 0
		.amdhsa_exception_fp_ieee_underflow 0
		.amdhsa_exception_fp_ieee_inexact 0
		.amdhsa_exception_int_div_zero 0
	.end_amdhsa_kernel
	.section	.text._ZN12_GLOBAL__N_135rocblas_gemm_batched_general_kernelIfLi16ELi16ELi32ELi32ELi8ELi32ELi8ELi8ELi32ELc67ELc78EKDF16_KffEEvlllT_PT11_llS5_llS3_PT12_llPT13_lli,"axG",@progbits,_ZN12_GLOBAL__N_135rocblas_gemm_batched_general_kernelIfLi16ELi16ELi32ELi32ELi8ELi32ELi8ELi8ELi32ELc67ELc78EKDF16_KffEEvlllT_PT11_llS5_llS3_PT12_llPT13_lli,comdat
.Lfunc_end413:
	.size	_ZN12_GLOBAL__N_135rocblas_gemm_batched_general_kernelIfLi16ELi16ELi32ELi32ELi8ELi32ELi8ELi8ELi32ELc67ELc78EKDF16_KffEEvlllT_PT11_llS5_llS3_PT12_llPT13_lli, .Lfunc_end413-_ZN12_GLOBAL__N_135rocblas_gemm_batched_general_kernelIfLi16ELi16ELi32ELi32ELi8ELi32ELi8ELi8ELi32ELc67ELc78EKDF16_KffEEvlllT_PT11_llS5_llS3_PT12_llPT13_lli
                                        ; -- End function
	.set _ZN12_GLOBAL__N_135rocblas_gemm_batched_general_kernelIfLi16ELi16ELi32ELi32ELi8ELi32ELi8ELi8ELi32ELc67ELc78EKDF16_KffEEvlllT_PT11_llS5_llS3_PT12_llPT13_lli.num_vgpr, 44
	.set _ZN12_GLOBAL__N_135rocblas_gemm_batched_general_kernelIfLi16ELi16ELi32ELi32ELi8ELi32ELi8ELi8ELi32ELc67ELc78EKDF16_KffEEvlllT_PT11_llS5_llS3_PT12_llPT13_lli.num_agpr, 0
	.set _ZN12_GLOBAL__N_135rocblas_gemm_batched_general_kernelIfLi16ELi16ELi32ELi32ELi8ELi32ELi8ELi8ELi32ELc67ELc78EKDF16_KffEEvlllT_PT11_llS5_llS3_PT12_llPT13_lli.numbered_sgpr, 28
	.set _ZN12_GLOBAL__N_135rocblas_gemm_batched_general_kernelIfLi16ELi16ELi32ELi32ELi8ELi32ELi8ELi8ELi32ELc67ELc78EKDF16_KffEEvlllT_PT11_llS5_llS3_PT12_llPT13_lli.num_named_barrier, 0
	.set _ZN12_GLOBAL__N_135rocblas_gemm_batched_general_kernelIfLi16ELi16ELi32ELi32ELi8ELi32ELi8ELi8ELi32ELc67ELc78EKDF16_KffEEvlllT_PT11_llS5_llS3_PT12_llPT13_lli.private_seg_size, 0
	.set _ZN12_GLOBAL__N_135rocblas_gemm_batched_general_kernelIfLi16ELi16ELi32ELi32ELi8ELi32ELi8ELi8ELi32ELc67ELc78EKDF16_KffEEvlllT_PT11_llS5_llS3_PT12_llPT13_lli.uses_vcc, 1
	.set _ZN12_GLOBAL__N_135rocblas_gemm_batched_general_kernelIfLi16ELi16ELi32ELi32ELi8ELi32ELi8ELi8ELi32ELc67ELc78EKDF16_KffEEvlllT_PT11_llS5_llS3_PT12_llPT13_lli.uses_flat_scratch, 0
	.set _ZN12_GLOBAL__N_135rocblas_gemm_batched_general_kernelIfLi16ELi16ELi32ELi32ELi8ELi32ELi8ELi8ELi32ELc67ELc78EKDF16_KffEEvlllT_PT11_llS5_llS3_PT12_llPT13_lli.has_dyn_sized_stack, 0
	.set _ZN12_GLOBAL__N_135rocblas_gemm_batched_general_kernelIfLi16ELi16ELi32ELi32ELi8ELi32ELi8ELi8ELi32ELc67ELc78EKDF16_KffEEvlllT_PT11_llS5_llS3_PT12_llPT13_lli.has_recursion, 0
	.set _ZN12_GLOBAL__N_135rocblas_gemm_batched_general_kernelIfLi16ELi16ELi32ELi32ELi8ELi32ELi8ELi8ELi32ELc67ELc78EKDF16_KffEEvlllT_PT11_llS5_llS3_PT12_llPT13_lli.has_indirect_call, 0
	.section	.AMDGPU.csdata,"",@progbits
; Kernel info:
; codeLenInByte = 1896
; TotalNumSgprs: 30
; NumVgprs: 44
; ScratchSize: 0
; MemoryBound: 0
; FloatMode: 240
; IeeeMode: 1
; LDSByteSize: 2048 bytes/workgroup (compile time only)
; SGPRBlocks: 0
; VGPRBlocks: 5
; NumSGPRsForWavesPerEU: 30
; NumVGPRsForWavesPerEU: 44
; Occupancy: 16
; WaveLimiterHint : 0
; COMPUTE_PGM_RSRC2:SCRATCH_EN: 0
; COMPUTE_PGM_RSRC2:USER_SGPR: 6
; COMPUTE_PGM_RSRC2:TRAP_HANDLER: 0
; COMPUTE_PGM_RSRC2:TGID_X_EN: 1
; COMPUTE_PGM_RSRC2:TGID_Y_EN: 1
; COMPUTE_PGM_RSRC2:TGID_Z_EN: 1
; COMPUTE_PGM_RSRC2:TIDIG_COMP_CNT: 1
	.section	.text._ZN12_GLOBAL__N_135rocblas_gemm_batched_general_kernelIfLi16ELi16ELi32ELi32ELi8ELi32ELi8ELi8ELi32ELc67ELc84EKDF16_KffEEvlllT_PT11_llS5_llS3_PT12_llPT13_lli,"axG",@progbits,_ZN12_GLOBAL__N_135rocblas_gemm_batched_general_kernelIfLi16ELi16ELi32ELi32ELi8ELi32ELi8ELi8ELi32ELc67ELc84EKDF16_KffEEvlllT_PT11_llS5_llS3_PT12_llPT13_lli,comdat
	.globl	_ZN12_GLOBAL__N_135rocblas_gemm_batched_general_kernelIfLi16ELi16ELi32ELi32ELi8ELi32ELi8ELi8ELi32ELc67ELc84EKDF16_KffEEvlllT_PT11_llS5_llS3_PT12_llPT13_lli ; -- Begin function _ZN12_GLOBAL__N_135rocblas_gemm_batched_general_kernelIfLi16ELi16ELi32ELi32ELi8ELi32ELi8ELi8ELi32ELc67ELc84EKDF16_KffEEvlllT_PT11_llS5_llS3_PT12_llPT13_lli
	.p2align	8
	.type	_ZN12_GLOBAL__N_135rocblas_gemm_batched_general_kernelIfLi16ELi16ELi32ELi32ELi8ELi32ELi8ELi8ELi32ELc67ELc84EKDF16_KffEEvlllT_PT11_llS5_llS3_PT12_llPT13_lli,@function
_ZN12_GLOBAL__N_135rocblas_gemm_batched_general_kernelIfLi16ELi16ELi32ELi32ELi8ELi32ELi8ELi8ELi32ELc67ELc84EKDF16_KffEEvlllT_PT11_llS5_llS3_PT12_llPT13_lli: ; @_ZN12_GLOBAL__N_135rocblas_gemm_batched_general_kernelIfLi16ELi16ELi32ELi32ELi8ELi32ELi8ELi8ELi32ELc67ELc84EKDF16_KffEEvlllT_PT11_llS5_llS3_PT12_llPT13_lli
; %bb.0:
	s_clause 0x1
	s_load_dwordx2 s[10:11], s[4:5], 0x10
	s_load_dwordx4 s[20:23], s[4:5], 0x0
	s_mov_b32 s0, s7
	v_mov_b32_e32 v10, 0
	v_mov_b32_e32 v9, 0
	;; [unrolled: 1-line block ×4, first 2 shown]
	s_ashr_i32 s7, s6, 31
	s_ashr_i32 s1, s0, 31
	s_lshl_b64 s[6:7], s[6:7], 5
	s_waitcnt lgkmcnt(0)
	v_cmp_lt_i64_e64 s2, s[10:11], 1
	s_and_b32 vcc_lo, exec_lo, s2
	s_lshl_b64 s[2:3], s[0:1], 5
	s_cbranch_vccnz .LBB414_7
; %bb.1:
	s_clause 0x1
	s_load_dwordx4 s[24:27], s[4:5], 0x40
	s_load_dwordx8 s[12:19], s[4:5], 0x20
	v_lshl_add_u32 v2, v1, 4, v0
	v_and_b32_e32 v6, 7, v0
	v_mov_b32_e32 v3, s7
	s_lshl_b64 s[28:29], s[0:1], 6
	v_mov_b32_e32 v7, 0
	v_and_b32_e32 v14, 31, v2
	v_lshrrev_b32_e32 v10, 3, v2
	v_lshrrev_b32_e32 v13, 5, v2
	v_lshlrev_b32_e32 v15, 2, v6
	v_lshlrev_b32_e32 v11, 2, v0
	v_or_b32_e32 v2, s6, v14
	v_add_co_u32 v8, s0, v10, s2
	v_add_co_ci_u32_e64 v9, null, 0, s3, s0
	v_add_co_u32 v17, s0, s6, v14
	v_add_co_ci_u32_e64 v18, null, s7, 0, s0
	s_waitcnt lgkmcnt(0)
	v_mad_u64_u32 v[4:5], null, s24, v6, 0
	v_cmp_gt_i64_e64 s0, s[20:21], v[2:3]
	v_cmp_gt_i64_e64 s1, s[22:23], v[8:9]
	v_mul_lo_u32 v8, s15, v17
	v_mul_lo_u32 v9, s14, v18
	s_mul_i32 s9, s27, s8
	s_mul_hi_u32 s27, s26, s8
	v_mad_u64_u32 v[2:3], null, s25, v6, v[5:6]
	s_mul_i32 s26, s26, s8
	s_add_i32 s27, s27, s9
	s_mul_i32 s9, s17, s8
	s_mul_hi_u32 s17, s16, s8
	v_lshlrev_b32_e32 v16, 2, v14
	v_lshl_or_b32 v15, v10, 5, v15
	v_mov_b32_e32 v5, v2
	v_mad_u64_u32 v[2:3], null, s14, v17, 0
	s_lshl_b64 s[14:15], s[26:27], 1
	v_lshl_add_u32 v12, v1, 5, 0x400
	v_lshlrev_b64 v[4:5], 1, v[4:5]
	s_add_u32 s14, s28, s14
	s_addc_u32 s15, s29, s15
	v_lshl_or_b32 v14, v13, 7, v16
	v_add3_u32 v3, v3, v9, v8
	v_lshlrev_b32_e32 v8, 1, v10
	v_add_co_u32 v4, vcc_lo, s14, v4
	v_add_co_ci_u32_e64 v5, null, s15, v5, vcc_lo
	v_lshlrev_b64 v[2:3], 1, v[2:3]
	s_add_i32 s15, s17, s9
	s_mul_i32 s14, s16, s8
	v_lshlrev_b32_e32 v9, 1, v13
	s_lshl_b64 s[14:15], s[14:15], 1
	v_add_nc_u32_e32 v15, 0x400, v15
	v_add_co_u32 v2, vcc_lo, v2, s14
	v_add_co_ci_u32_e64 v3, null, s15, v3, vcc_lo
	v_add_co_u32 v4, vcc_lo, v4, v8
	v_add_co_ci_u32_e64 v5, null, 0, v5, vcc_lo
	;; [unrolled: 2-line block ×5, first 2 shown]
	v_mov_b32_e32 v8, 0
	v_mov_b32_e32 v9, 0
	;; [unrolled: 1-line block ×3, first 2 shown]
	s_lshl_b64 s[12:13], s[24:25], 4
	s_mov_b64 s[14:15], 0
	s_branch .LBB414_3
.LBB414_2:                              ;   in Loop: Header=BB414_3 Depth=1
	s_or_b32 exec_lo, exec_lo, s9
	ds_write_b32 v15, v17
	s_waitcnt lgkmcnt(0)
	s_barrier
	buffer_gl0_inv
	ds_read_b128 v[16:19], v12
	ds_read2_b32 v[32:33], v11 offset1:16
	ds_read_b128 v[20:23], v12 offset:512
	ds_read2_b32 v[34:35], v11 offset0:32 offset1:48
	ds_read2_b32 v[36:37], v11 offset0:64 offset1:80
	;; [unrolled: 1-line block ×3, first 2 shown]
	ds_read_b128 v[24:27], v12 offset:16
	ds_read2_b32 v[40:41], v11 offset0:128 offset1:144
	ds_read_b128 v[28:31], v12 offset:528
	ds_read2_b32 v[42:43], v11 offset0:160 offset1:176
	s_add_u32 s14, s14, 8
	s_addc_u32 s15, s15, 0
	v_add_co_u32 v2, vcc_lo, v2, s12
	v_cmp_lt_i64_e64 s9, s[14:15], s[10:11]
	v_add_co_ci_u32_e64 v3, null, s13, v3, vcc_lo
	v_add_co_u32 v4, vcc_lo, v4, 16
	v_add_co_ci_u32_e64 v5, null, 0, v5, vcc_lo
	s_waitcnt lgkmcnt(8)
	v_fmac_f32_e32 v10, v32, v16
	v_fmac_f32_e32 v9, v33, v16
	s_waitcnt lgkmcnt(7)
	v_fmac_f32_e32 v8, v32, v20
	v_fmac_f32_e32 v7, v33, v20
	ds_read2_b32 v[32:33], v11 offset0:192 offset1:208
	s_waitcnt lgkmcnt(7)
	v_fmac_f32_e32 v10, v34, v17
	v_fmac_f32_e32 v9, v35, v17
	;; [unrolled: 1-line block ×4, first 2 shown]
	ds_read2_b32 v[16:17], v11 offset0:224 offset1:240
	s_waitcnt lgkmcnt(7)
	v_fmac_f32_e32 v10, v36, v18
	v_fmac_f32_e32 v9, v37, v18
	;; [unrolled: 1-line block ×4, first 2 shown]
	s_and_b32 vcc_lo, exec_lo, s9
	s_waitcnt lgkmcnt(6)
	v_fmac_f32_e32 v10, v38, v19
	v_fmac_f32_e32 v9, v39, v19
	v_fmac_f32_e32 v8, v38, v23
	v_fmac_f32_e32 v7, v39, v23
	s_waitcnt lgkmcnt(0)
	v_fmac_f32_e32 v10, v40, v24
	v_fmac_f32_e32 v9, v41, v24
	;; [unrolled: 1-line block ×4, first 2 shown]
	s_barrier
	v_fmac_f32_e32 v10, v42, v25
	v_fmac_f32_e32 v9, v43, v25
	;; [unrolled: 1-line block ×4, first 2 shown]
	buffer_gl0_inv
	v_fmac_f32_e32 v10, v32, v26
	v_fmac_f32_e32 v9, v33, v26
	v_fmac_f32_e32 v8, v32, v30
	v_fmac_f32_e32 v7, v33, v30
	v_fmac_f32_e32 v10, v16, v27
	v_fmac_f32_e32 v9, v17, v27
	v_fmac_f32_e32 v8, v16, v31
	v_fmac_f32_e32 v7, v17, v31
	s_cbranch_vccz .LBB414_7
.LBB414_3:                              ; =>This Inner Loop Header: Depth=1
	v_add_co_u32 v16, s9, v13, s14
	v_add_co_ci_u32_e64 v17, null, 0, s15, s9
	v_cmp_gt_i64_e32 vcc_lo, s[10:11], v[16:17]
	v_mov_b32_e32 v16, 0
	s_and_b32 s16, s0, vcc_lo
	s_and_saveexec_b32 s9, s16
	s_cbranch_execz .LBB414_5
; %bb.4:                                ;   in Loop: Header=BB414_3 Depth=1
	global_load_ushort v16, v[4:5], off
	s_waitcnt vmcnt(0)
	v_cvt_f32_f16_e32 v16, v16
.LBB414_5:                              ;   in Loop: Header=BB414_3 Depth=1
	s_or_b32 exec_lo, exec_lo, s9
	v_add_co_u32 v17, s9, v6, s14
	v_add_co_ci_u32_e64 v18, null, 0, s15, s9
	ds_write_b32 v14, v16
	v_cmp_gt_i64_e32 vcc_lo, s[10:11], v[17:18]
	v_mov_b32_e32 v17, 0
	s_and_b32 s16, vcc_lo, s1
	s_and_saveexec_b32 s9, s16
	s_cbranch_execz .LBB414_2
; %bb.6:                                ;   in Loop: Header=BB414_3 Depth=1
	global_load_ushort v16, v[2:3], off
	s_waitcnt vmcnt(0)
	v_cvt_f32_f16_e32 v17, v16
	s_branch .LBB414_2
.LBB414_7:
	s_clause 0x3
	s_load_dwordx4 s[24:27], s[4:5], 0x78
	s_load_dword s9, s[4:5], 0x50
	s_load_dwordx8 s[12:19], s[4:5], 0x58
	s_load_dword s4, s[4:5], 0x18
	v_add_co_u32 v1, s0, s2, v1
	v_add_co_ci_u32_e64 v2, null, s3, 0, s0
	s_waitcnt lgkmcnt(0)
	s_mul_i32 s1, s27, s8
	s_mul_hi_u32 s2, s26, s8
	s_mul_i32 s0, s26, s8
	s_add_i32 s1, s2, s1
	v_cmp_neq_f32_e64 s2, s9, 0
	s_lshl_b64 s[10:11], s[0:1], 2
	v_cmp_gt_i64_e64 s0, s[22:23], v[1:2]
	s_add_u32 s3, s18, s10
	s_addc_u32 s5, s19, s11
	s_and_b32 vcc_lo, exec_lo, s2
	s_cbranch_vccnz .LBB414_20
; %bb.8:
	s_and_saveexec_b32 s10, s0
	s_cbranch_execz .LBB414_18
; %bb.9:
	v_mul_lo_u32 v5, v2, s24
	v_mul_lo_u32 v6, v1, s25
	v_mad_u64_u32 v[3:4], null, v1, s24, 0
	v_add3_u32 v4, v4, v6, v5
	v_add_co_u32 v5, s1, s6, v0
	v_add_co_ci_u32_e64 v6, null, s7, 0, s1
	v_lshlrev_b64 v[11:12], 2, v[3:4]
	v_cmp_gt_i64_e32 vcc_lo, s[20:21], v[5:6]
	v_lshlrev_b64 v[3:4], 2, v[5:6]
	v_add_co_u32 v11, s1, s3, v11
	v_add_co_ci_u32_e64 v12, null, s5, v12, s1
	s_and_saveexec_b32 s2, vcc_lo
	s_cbranch_execz .LBB414_11
; %bb.10:
	v_add_co_u32 v13, s1, v11, v3
	v_add_co_ci_u32_e64 v14, null, v12, v4, s1
	v_mul_f32_e32 v15, s4, v10
	global_store_dword v[13:14], v15, off
.LBB414_11:
	s_or_b32 exec_lo, exec_lo, s2
	v_add_co_u32 v5, s1, v5, 16
	v_add_co_ci_u32_e64 v6, null, 0, v6, s1
	v_cmp_gt_i64_e64 s1, s[20:21], v[5:6]
	s_and_saveexec_b32 s11, s1
	s_cbranch_execz .LBB414_13
; %bb.12:
	v_add_co_u32 v5, s2, v11, v3
	v_add_co_ci_u32_e64 v6, null, v12, v4, s2
	v_mul_f32_e32 v13, s4, v9
	global_store_dword v[5:6], v13, off offset:64
.LBB414_13:
	s_or_b32 exec_lo, exec_lo, s11
	v_add_co_u32 v5, s2, v1, 16
	v_add_co_ci_u32_e64 v6, null, 0, v2, s2
	v_cmp_gt_i64_e64 s2, s[22:23], v[5:6]
	s_and_b32 exec_lo, exec_lo, s2
	s_cbranch_execz .LBB414_18
; %bb.14:
	s_lshl_b64 s[18:19], s[24:25], 6
	v_add_co_u32 v5, s2, v11, s18
	v_add_co_ci_u32_e64 v6, null, s19, v12, s2
	v_add_co_u32 v3, s2, v5, v3
	v_add_co_ci_u32_e64 v4, null, v6, v4, s2
	s_and_saveexec_b32 s2, vcc_lo
	s_cbranch_execz .LBB414_16
; %bb.15:
	v_mul_f32_e32 v5, s4, v8
	global_store_dword v[3:4], v5, off
.LBB414_16:
	s_or_b32 exec_lo, exec_lo, s2
	s_and_b32 exec_lo, exec_lo, s1
	s_cbranch_execz .LBB414_18
; %bb.17:
	v_mul_f32_e32 v5, s4, v7
	global_store_dword v[3:4], v5, off offset:64
.LBB414_18:
	s_or_b32 exec_lo, exec_lo, s10
	s_cbranch_execz .LBB414_21
.LBB414_19:
	s_endpgm
.LBB414_20:
.LBB414_21:
	s_and_saveexec_b32 s1, s0
	s_cbranch_execz .LBB414_19
; %bb.22:
	v_mul_lo_u32 v5, v2, s14
	v_mul_lo_u32 v6, v1, s15
	v_mad_u64_u32 v[3:4], null, v1, s14, 0
	v_mul_lo_u32 v13, v2, s24
	v_mul_lo_u32 v14, v1, s25
	v_mad_u64_u32 v[11:12], null, v1, s24, 0
	s_mul_i32 s0, s17, s8
	s_mul_hi_u32 s1, s16, s8
	v_add3_u32 v4, v4, v6, v5
	s_add_i32 s1, s1, s0
	s_mul_i32 s0, s16, s8
	v_add_co_u32 v5, s2, s6, v0
	v_add3_u32 v12, v12, v14, v13
	v_lshlrev_b64 v[3:4], 2, v[3:4]
	s_lshl_b64 s[0:1], s[0:1], 2
	v_add_co_ci_u32_e64 v6, null, s7, 0, s2
	v_lshlrev_b64 v[12:13], 2, v[11:12]
	s_add_u32 s0, s12, s0
	s_addc_u32 s1, s13, s1
	v_add_co_u32 v0, s0, s0, v3
	v_add_co_ci_u32_e64 v11, null, s1, v4, s0
	v_add_co_u32 v12, s0, s3, v12
	v_cmp_gt_i64_e32 vcc_lo, s[20:21], v[5:6]
	v_lshlrev_b64 v[3:4], 2, v[5:6]
	v_add_co_ci_u32_e64 v13, null, s5, v13, s0
	s_and_saveexec_b32 s1, vcc_lo
	s_cbranch_execz .LBB414_24
; %bb.23:
	v_add_co_u32 v14, s0, v0, v3
	v_add_co_ci_u32_e64 v15, null, v11, v4, s0
	global_load_dword v14, v[14:15], off
	s_waitcnt vmcnt(0)
	v_mul_f32_e32 v16, s9, v14
	v_add_co_u32 v14, s0, v12, v3
	v_add_co_ci_u32_e64 v15, null, v13, v4, s0
	v_fmac_f32_e32 v16, s4, v10
	global_store_dword v[14:15], v16, off
.LBB414_24:
	s_or_b32 exec_lo, exec_lo, s1
	v_add_co_u32 v5, s0, v5, 16
	v_add_co_ci_u32_e64 v6, null, 0, v6, s0
	v_cmp_gt_i64_e64 s0, s[20:21], v[5:6]
	s_and_saveexec_b32 s2, s0
	s_cbranch_execz .LBB414_26
; %bb.25:
	v_add_co_u32 v5, s1, v0, v3
	v_add_co_ci_u32_e64 v6, null, v11, v4, s1
	global_load_dword v5, v[5:6], off offset:64
	s_waitcnt vmcnt(0)
	v_mul_f32_e32 v10, s9, v5
	v_add_co_u32 v5, s1, v12, v3
	v_add_co_ci_u32_e64 v6, null, v13, v4, s1
	v_fmac_f32_e32 v10, s4, v9
	global_store_dword v[5:6], v10, off offset:64
.LBB414_26:
	s_or_b32 exec_lo, exec_lo, s2
	v_add_co_u32 v1, s1, v1, 16
	v_add_co_ci_u32_e64 v2, null, 0, v2, s1
	v_cmp_gt_i64_e64 s1, s[22:23], v[1:2]
	s_and_b32 exec_lo, exec_lo, s1
	s_cbranch_execz .LBB414_19
; %bb.27:
	s_lshl_b64 s[2:3], s[14:15], 6
	v_add_co_u32 v0, s1, v0, s2
	v_add_co_ci_u32_e64 v1, null, s3, v11, s1
	s_lshl_b64 s[2:3], s[24:25], 6
	v_add_co_u32 v2, s1, v12, s2
	v_add_co_ci_u32_e64 v5, null, s3, v13, s1
	v_add_co_u32 v0, s1, v0, v3
	v_add_co_ci_u32_e64 v1, null, v1, v4, s1
	;; [unrolled: 2-line block ×3, first 2 shown]
	s_and_saveexec_b32 s1, vcc_lo
	s_cbranch_execz .LBB414_29
; %bb.28:
	global_load_dword v4, v[0:1], off
	s_waitcnt vmcnt(0)
	v_mul_f32_e32 v4, s9, v4
	v_fmac_f32_e32 v4, s4, v8
	global_store_dword v[2:3], v4, off
.LBB414_29:
	s_or_b32 exec_lo, exec_lo, s1
	s_and_b32 exec_lo, exec_lo, s0
	s_cbranch_execz .LBB414_19
; %bb.30:
	global_load_dword v0, v[0:1], off offset:64
	s_waitcnt vmcnt(0)
	v_mul_f32_e32 v0, s9, v0
	v_fmac_f32_e32 v0, s4, v7
	global_store_dword v[2:3], v0, off offset:64
	s_endpgm
	.section	.rodata,"a",@progbits
	.p2align	6, 0x0
	.amdhsa_kernel _ZN12_GLOBAL__N_135rocblas_gemm_batched_general_kernelIfLi16ELi16ELi32ELi32ELi8ELi32ELi8ELi8ELi32ELc67ELc84EKDF16_KffEEvlllT_PT11_llS5_llS3_PT12_llPT13_lli
		.amdhsa_group_segment_fixed_size 2048
		.amdhsa_private_segment_fixed_size 0
		.amdhsa_kernarg_size 140
		.amdhsa_user_sgpr_count 6
		.amdhsa_user_sgpr_private_segment_buffer 1
		.amdhsa_user_sgpr_dispatch_ptr 0
		.amdhsa_user_sgpr_queue_ptr 0
		.amdhsa_user_sgpr_kernarg_segment_ptr 1
		.amdhsa_user_sgpr_dispatch_id 0
		.amdhsa_user_sgpr_flat_scratch_init 0
		.amdhsa_user_sgpr_private_segment_size 0
		.amdhsa_wavefront_size32 1
		.amdhsa_uses_dynamic_stack 0
		.amdhsa_system_sgpr_private_segment_wavefront_offset 0
		.amdhsa_system_sgpr_workgroup_id_x 1
		.amdhsa_system_sgpr_workgroup_id_y 1
		.amdhsa_system_sgpr_workgroup_id_z 1
		.amdhsa_system_sgpr_workgroup_info 0
		.amdhsa_system_vgpr_workitem_id 1
		.amdhsa_next_free_vgpr 44
		.amdhsa_next_free_sgpr 30
		.amdhsa_reserve_vcc 1
		.amdhsa_reserve_flat_scratch 0
		.amdhsa_float_round_mode_32 0
		.amdhsa_float_round_mode_16_64 0
		.amdhsa_float_denorm_mode_32 3
		.amdhsa_float_denorm_mode_16_64 3
		.amdhsa_dx10_clamp 1
		.amdhsa_ieee_mode 1
		.amdhsa_fp16_overflow 0
		.amdhsa_workgroup_processor_mode 1
		.amdhsa_memory_ordered 1
		.amdhsa_forward_progress 1
		.amdhsa_shared_vgpr_count 0
		.amdhsa_exception_fp_ieee_invalid_op 0
		.amdhsa_exception_fp_denorm_src 0
		.amdhsa_exception_fp_ieee_div_zero 0
		.amdhsa_exception_fp_ieee_overflow 0
		.amdhsa_exception_fp_ieee_underflow 0
		.amdhsa_exception_fp_ieee_inexact 0
		.amdhsa_exception_int_div_zero 0
	.end_amdhsa_kernel
	.section	.text._ZN12_GLOBAL__N_135rocblas_gemm_batched_general_kernelIfLi16ELi16ELi32ELi32ELi8ELi32ELi8ELi8ELi32ELc67ELc84EKDF16_KffEEvlllT_PT11_llS5_llS3_PT12_llPT13_lli,"axG",@progbits,_ZN12_GLOBAL__N_135rocblas_gemm_batched_general_kernelIfLi16ELi16ELi32ELi32ELi8ELi32ELi8ELi8ELi32ELc67ELc84EKDF16_KffEEvlllT_PT11_llS5_llS3_PT12_llPT13_lli,comdat
.Lfunc_end414:
	.size	_ZN12_GLOBAL__N_135rocblas_gemm_batched_general_kernelIfLi16ELi16ELi32ELi32ELi8ELi32ELi8ELi8ELi32ELc67ELc84EKDF16_KffEEvlllT_PT11_llS5_llS3_PT12_llPT13_lli, .Lfunc_end414-_ZN12_GLOBAL__N_135rocblas_gemm_batched_general_kernelIfLi16ELi16ELi32ELi32ELi8ELi32ELi8ELi8ELi32ELc67ELc84EKDF16_KffEEvlllT_PT11_llS5_llS3_PT12_llPT13_lli
                                        ; -- End function
	.set _ZN12_GLOBAL__N_135rocblas_gemm_batched_general_kernelIfLi16ELi16ELi32ELi32ELi8ELi32ELi8ELi8ELi32ELc67ELc84EKDF16_KffEEvlllT_PT11_llS5_llS3_PT12_llPT13_lli.num_vgpr, 44
	.set _ZN12_GLOBAL__N_135rocblas_gemm_batched_general_kernelIfLi16ELi16ELi32ELi32ELi8ELi32ELi8ELi8ELi32ELc67ELc84EKDF16_KffEEvlllT_PT11_llS5_llS3_PT12_llPT13_lli.num_agpr, 0
	.set _ZN12_GLOBAL__N_135rocblas_gemm_batched_general_kernelIfLi16ELi16ELi32ELi32ELi8ELi32ELi8ELi8ELi32ELc67ELc84EKDF16_KffEEvlllT_PT11_llS5_llS3_PT12_llPT13_lli.numbered_sgpr, 30
	.set _ZN12_GLOBAL__N_135rocblas_gemm_batched_general_kernelIfLi16ELi16ELi32ELi32ELi8ELi32ELi8ELi8ELi32ELc67ELc84EKDF16_KffEEvlllT_PT11_llS5_llS3_PT12_llPT13_lli.num_named_barrier, 0
	.set _ZN12_GLOBAL__N_135rocblas_gemm_batched_general_kernelIfLi16ELi16ELi32ELi32ELi8ELi32ELi8ELi8ELi32ELc67ELc84EKDF16_KffEEvlllT_PT11_llS5_llS3_PT12_llPT13_lli.private_seg_size, 0
	.set _ZN12_GLOBAL__N_135rocblas_gemm_batched_general_kernelIfLi16ELi16ELi32ELi32ELi8ELi32ELi8ELi8ELi32ELc67ELc84EKDF16_KffEEvlllT_PT11_llS5_llS3_PT12_llPT13_lli.uses_vcc, 1
	.set _ZN12_GLOBAL__N_135rocblas_gemm_batched_general_kernelIfLi16ELi16ELi32ELi32ELi8ELi32ELi8ELi8ELi32ELc67ELc84EKDF16_KffEEvlllT_PT11_llS5_llS3_PT12_llPT13_lli.uses_flat_scratch, 0
	.set _ZN12_GLOBAL__N_135rocblas_gemm_batched_general_kernelIfLi16ELi16ELi32ELi32ELi8ELi32ELi8ELi8ELi32ELc67ELc84EKDF16_KffEEvlllT_PT11_llS5_llS3_PT12_llPT13_lli.has_dyn_sized_stack, 0
	.set _ZN12_GLOBAL__N_135rocblas_gemm_batched_general_kernelIfLi16ELi16ELi32ELi32ELi8ELi32ELi8ELi8ELi32ELc67ELc84EKDF16_KffEEvlllT_PT11_llS5_llS3_PT12_llPT13_lli.has_recursion, 0
	.set _ZN12_GLOBAL__N_135rocblas_gemm_batched_general_kernelIfLi16ELi16ELi32ELi32ELi8ELi32ELi8ELi8ELi32ELc67ELc84EKDF16_KffEEvlllT_PT11_llS5_llS3_PT12_llPT13_lli.has_indirect_call, 0
	.section	.AMDGPU.csdata,"",@progbits
; Kernel info:
; codeLenInByte = 1900
; TotalNumSgprs: 32
; NumVgprs: 44
; ScratchSize: 0
; MemoryBound: 0
; FloatMode: 240
; IeeeMode: 1
; LDSByteSize: 2048 bytes/workgroup (compile time only)
; SGPRBlocks: 0
; VGPRBlocks: 5
; NumSGPRsForWavesPerEU: 32
; NumVGPRsForWavesPerEU: 44
; Occupancy: 16
; WaveLimiterHint : 0
; COMPUTE_PGM_RSRC2:SCRATCH_EN: 0
; COMPUTE_PGM_RSRC2:USER_SGPR: 6
; COMPUTE_PGM_RSRC2:TRAP_HANDLER: 0
; COMPUTE_PGM_RSRC2:TGID_X_EN: 1
; COMPUTE_PGM_RSRC2:TGID_Y_EN: 1
; COMPUTE_PGM_RSRC2:TGID_Z_EN: 1
; COMPUTE_PGM_RSRC2:TIDIG_COMP_CNT: 1
	.section	.text._ZN12_GLOBAL__N_135rocblas_gemm_batched_general_kernelIfLi16ELi16ELi32ELi32ELi8ELi32ELi8ELi8ELi32ELc78ELc67EKDF16_KffEEvlllT_PT11_llS5_llS3_PT12_llPT13_lli,"axG",@progbits,_ZN12_GLOBAL__N_135rocblas_gemm_batched_general_kernelIfLi16ELi16ELi32ELi32ELi8ELi32ELi8ELi8ELi32ELc78ELc67EKDF16_KffEEvlllT_PT11_llS5_llS3_PT12_llPT13_lli,comdat
	.globl	_ZN12_GLOBAL__N_135rocblas_gemm_batched_general_kernelIfLi16ELi16ELi32ELi32ELi8ELi32ELi8ELi8ELi32ELc78ELc67EKDF16_KffEEvlllT_PT11_llS5_llS3_PT12_llPT13_lli ; -- Begin function _ZN12_GLOBAL__N_135rocblas_gemm_batched_general_kernelIfLi16ELi16ELi32ELi32ELi8ELi32ELi8ELi8ELi32ELc78ELc67EKDF16_KffEEvlllT_PT11_llS5_llS3_PT12_llPT13_lli
	.p2align	8
	.type	_ZN12_GLOBAL__N_135rocblas_gemm_batched_general_kernelIfLi16ELi16ELi32ELi32ELi8ELi32ELi8ELi8ELi32ELc78ELc67EKDF16_KffEEvlllT_PT11_llS5_llS3_PT12_llPT13_lli,@function
_ZN12_GLOBAL__N_135rocblas_gemm_batched_general_kernelIfLi16ELi16ELi32ELi32ELi8ELi32ELi8ELi8ELi32ELc78ELc67EKDF16_KffEEvlllT_PT11_llS5_llS3_PT12_llPT13_lli: ; @_ZN12_GLOBAL__N_135rocblas_gemm_batched_general_kernelIfLi16ELi16ELi32ELi32ELi8ELi32ELi8ELi8ELi32ELc78ELc67EKDF16_KffEEvlllT_PT11_llS5_llS3_PT12_llPT13_lli
; %bb.0:
	s_clause 0x1
	s_load_dwordx2 s[28:29], s[4:5], 0x10
	s_load_dwordx4 s[20:23], s[4:5], 0x0
	s_mov_b32 s0, s7
	v_mov_b32_e32 v10, 0
	v_mov_b32_e32 v9, 0
	;; [unrolled: 1-line block ×4, first 2 shown]
	s_ashr_i32 s7, s6, 31
	s_ashr_i32 s1, s0, 31
	s_lshl_b64 s[10:11], s[6:7], 5
	s_waitcnt lgkmcnt(0)
	v_cmp_lt_i64_e64 s2, s[28:29], 1
	s_and_b32 vcc_lo, exec_lo, s2
	s_lshl_b64 s[2:3], s[0:1], 5
	s_cbranch_vccnz .LBB415_7
; %bb.1:
	s_clause 0x1
	s_load_dwordx4 s[24:27], s[4:5], 0x40
	s_load_dwordx8 s[12:19], s[4:5], 0x20
	v_lshl_add_u32 v2, v1, 4, v0
	v_and_b32_e32 v6, 7, v0
	v_mov_b32_e32 v3, s11
	s_lshl_b64 s[30:31], s[0:1], 6
	v_mov_b32_e32 v7, 0
	v_and_b32_e32 v10, 31, v2
	v_lshrrev_b32_e32 v14, 3, v2
	v_lshrrev_b32_e32 v13, 5, v2
	v_lshlrev_b32_e32 v15, 2, v6
	v_lshlrev_b32_e32 v11, 2, v0
	v_or_b32_e32 v2, s10, v10
	v_lshlrev_b32_e32 v16, 2, v10
	v_add_co_u32 v8, s0, v14, s2
	v_add_co_ci_u32_e64 v9, null, 0, s3, s0
	v_lshl_or_b32 v15, v14, 5, v15
	v_lshlrev_b32_e32 v18, 1, v14
	s_waitcnt lgkmcnt(0)
	v_mad_u64_u32 v[4:5], null, s24, v6, 0
	v_cmp_gt_i64_e64 s0, s[20:21], v[2:3]
	v_lshl_or_b32 v14, v13, 7, v16
	v_mad_u64_u32 v[16:17], null, s14, v13, 0
	s_mul_i32 s9, s27, s8
	s_mul_hi_u32 s27, s26, s8
	v_mov_b32_e32 v2, v5
	s_mul_i32 s26, s26, s8
	s_add_i32 s27, s27, s9
	s_mul_i32 s17, s17, s8
	s_lshl_b64 s[26:27], s[26:27], 1
	v_mad_u64_u32 v[2:3], null, s25, v6, v[2:3]
	v_mov_b32_e32 v3, v17
	s_mul_hi_u32 s33, s16, s8
	s_add_u32 s9, s30, s26
	s_mul_i32 s16, s16, s8
	s_addc_u32 s26, s31, s27
	s_add_i32 s17, s33, s17
	v_mov_b32_e32 v5, v2
	v_mad_u64_u32 v[2:3], null, s15, v13, v[3:4]
	s_lshl_b64 s[16:17], s[16:17], 1
	v_cmp_gt_i64_e64 s1, s[22:23], v[8:9]
	v_lshlrev_b64 v[3:4], 1, v[4:5]
	v_lshlrev_b32_e32 v8, 1, v10
	v_lshl_add_u32 v12, v1, 5, 0x400
	v_add_nc_u32_e32 v15, 0x400, v15
	v_mov_b32_e32 v17, v2
	v_mov_b32_e32 v10, 0
	v_add_co_u32 v5, vcc_lo, s9, v3
	v_add_co_ci_u32_e64 v4, null, s26, v4, vcc_lo
	v_lshlrev_b64 v[2:3], 1, v[16:17]
	s_lshl_b64 s[26:27], s[6:7], 6
	s_lshl_b64 s[6:7], s[24:25], 4
	s_add_u32 s9, s26, s16
	s_addc_u32 s16, s27, s17
	v_add_co_u32 v2, vcc_lo, s9, v2
	v_add_co_ci_u32_e64 v3, null, s16, v3, vcc_lo
	v_add_co_u32 v5, vcc_lo, v5, v18
	v_add_co_ci_u32_e64 v4, null, 0, v4, vcc_lo
	v_add_co_u32 v8, vcc_lo, v2, v8
	v_add_co_ci_u32_e64 v9, null, 0, v3, vcc_lo
	v_add_co_u32 v2, vcc_lo, s18, v5
	v_add_co_ci_u32_e64 v3, null, s19, v4, vcc_lo
	v_add_co_u32 v4, vcc_lo, s12, v8
	v_add_co_ci_u32_e64 v5, null, s13, v9, vcc_lo
	v_mov_b32_e32 v8, 0
	v_mov_b32_e32 v9, 0
	s_lshl_b64 s[12:13], s[14:15], 4
	s_mov_b64 s[14:15], 0
	s_branch .LBB415_3
.LBB415_2:                              ;   in Loop: Header=BB415_3 Depth=1
	s_or_b32 exec_lo, exec_lo, s9
	ds_write_b32 v15, v17
	s_waitcnt lgkmcnt(0)
	s_barrier
	buffer_gl0_inv
	ds_read_b128 v[16:19], v12
	ds_read2_b32 v[32:33], v11 offset1:16
	ds_read_b128 v[20:23], v12 offset:512
	ds_read2_b32 v[34:35], v11 offset0:32 offset1:48
	ds_read2_b32 v[36:37], v11 offset0:64 offset1:80
	;; [unrolled: 1-line block ×3, first 2 shown]
	ds_read_b128 v[24:27], v12 offset:16
	ds_read2_b32 v[40:41], v11 offset0:128 offset1:144
	ds_read_b128 v[28:31], v12 offset:528
	ds_read2_b32 v[42:43], v11 offset0:160 offset1:176
	s_add_u32 s14, s14, 8
	s_addc_u32 s15, s15, 0
	v_add_co_u32 v2, vcc_lo, v2, s6
	v_cmp_lt_i64_e64 s9, s[14:15], s[28:29]
	v_add_co_ci_u32_e64 v3, null, s7, v3, vcc_lo
	v_add_co_u32 v4, vcc_lo, v4, s12
	v_add_co_ci_u32_e64 v5, null, s13, v5, vcc_lo
	s_waitcnt lgkmcnt(8)
	v_fmac_f32_e32 v10, v32, v16
	v_fmac_f32_e32 v9, v33, v16
	s_waitcnt lgkmcnt(7)
	v_fmac_f32_e32 v8, v32, v20
	v_fmac_f32_e32 v7, v33, v20
	ds_read2_b32 v[32:33], v11 offset0:192 offset1:208
	s_waitcnt lgkmcnt(7)
	v_fmac_f32_e32 v10, v34, v17
	v_fmac_f32_e32 v9, v35, v17
	;; [unrolled: 1-line block ×4, first 2 shown]
	ds_read2_b32 v[16:17], v11 offset0:224 offset1:240
	s_waitcnt lgkmcnt(7)
	v_fmac_f32_e32 v10, v36, v18
	v_fmac_f32_e32 v9, v37, v18
	;; [unrolled: 1-line block ×4, first 2 shown]
	s_and_b32 vcc_lo, exec_lo, s9
	s_waitcnt lgkmcnt(6)
	v_fmac_f32_e32 v10, v38, v19
	v_fmac_f32_e32 v9, v39, v19
	;; [unrolled: 1-line block ×4, first 2 shown]
	s_waitcnt lgkmcnt(0)
	v_fmac_f32_e32 v10, v40, v24
	v_fmac_f32_e32 v9, v41, v24
	v_fmac_f32_e32 v8, v40, v28
	v_fmac_f32_e32 v7, v41, v28
	s_barrier
	v_fmac_f32_e32 v10, v42, v25
	v_fmac_f32_e32 v9, v43, v25
	;; [unrolled: 1-line block ×4, first 2 shown]
	buffer_gl0_inv
	v_fmac_f32_e32 v10, v32, v26
	v_fmac_f32_e32 v9, v33, v26
	;; [unrolled: 1-line block ×8, first 2 shown]
	s_cbranch_vccz .LBB415_7
.LBB415_3:                              ; =>This Inner Loop Header: Depth=1
	v_add_co_u32 v16, s9, v13, s14
	v_add_co_ci_u32_e64 v17, null, 0, s15, s9
	v_cmp_gt_i64_e32 vcc_lo, s[28:29], v[16:17]
	v_mov_b32_e32 v16, 0
	s_and_b32 s16, s0, vcc_lo
	s_and_saveexec_b32 s9, s16
	s_cbranch_execz .LBB415_5
; %bb.4:                                ;   in Loop: Header=BB415_3 Depth=1
	global_load_ushort v16, v[4:5], off
	s_waitcnt vmcnt(0)
	v_cvt_f32_f16_e32 v16, v16
.LBB415_5:                              ;   in Loop: Header=BB415_3 Depth=1
	s_or_b32 exec_lo, exec_lo, s9
	v_add_co_u32 v17, s9, v6, s14
	v_add_co_ci_u32_e64 v18, null, 0, s15, s9
	ds_write_b32 v14, v16
	v_cmp_gt_i64_e32 vcc_lo, s[28:29], v[17:18]
	v_mov_b32_e32 v17, 0
	s_and_b32 s16, vcc_lo, s1
	s_and_saveexec_b32 s9, s16
	s_cbranch_execz .LBB415_2
; %bb.6:                                ;   in Loop: Header=BB415_3 Depth=1
	global_load_ushort v16, v[2:3], off
	s_waitcnt vmcnt(0)
	v_cvt_f32_f16_e32 v17, v16
	s_branch .LBB415_2
.LBB415_7:
	s_clause 0x3
	s_load_dwordx4 s[24:27], s[4:5], 0x78
	s_load_dword s6, s[4:5], 0x50
	s_load_dwordx8 s[12:19], s[4:5], 0x58
	s_load_dword s4, s[4:5], 0x18
	v_add_co_u32 v1, s0, s2, v1
	v_add_co_ci_u32_e64 v2, null, s3, 0, s0
	s_waitcnt lgkmcnt(0)
	s_mul_i32 s1, s27, s8
	s_mul_hi_u32 s2, s26, s8
	s_mul_i32 s0, s26, s8
	s_add_i32 s1, s2, s1
	v_cmp_neq_f32_e64 s2, s6, 0
	s_lshl_b64 s[26:27], s[0:1], 2
	v_cmp_gt_i64_e64 s0, s[22:23], v[1:2]
	s_add_u32 s3, s18, s26
	s_addc_u32 s5, s19, s27
	s_and_b32 vcc_lo, exec_lo, s2
	s_cbranch_vccnz .LBB415_20
; %bb.8:
	s_and_saveexec_b32 s7, s0
	s_cbranch_execz .LBB415_18
; %bb.9:
	v_mul_lo_u32 v5, v2, s24
	v_mul_lo_u32 v6, v1, s25
	v_mad_u64_u32 v[3:4], null, v1, s24, 0
	v_add3_u32 v4, v4, v6, v5
	v_add_co_u32 v5, s1, s10, v0
	v_add_co_ci_u32_e64 v6, null, s11, 0, s1
	v_lshlrev_b64 v[11:12], 2, v[3:4]
	v_cmp_gt_i64_e32 vcc_lo, s[20:21], v[5:6]
	v_lshlrev_b64 v[3:4], 2, v[5:6]
	v_add_co_u32 v11, s1, s3, v11
	v_add_co_ci_u32_e64 v12, null, s5, v12, s1
	s_and_saveexec_b32 s2, vcc_lo
	s_cbranch_execz .LBB415_11
; %bb.10:
	v_add_co_u32 v13, s1, v11, v3
	v_add_co_ci_u32_e64 v14, null, v12, v4, s1
	v_mul_f32_e32 v15, s4, v10
	global_store_dword v[13:14], v15, off
.LBB415_11:
	s_or_b32 exec_lo, exec_lo, s2
	v_add_co_u32 v5, s1, v5, 16
	v_add_co_ci_u32_e64 v6, null, 0, v6, s1
	v_cmp_gt_i64_e64 s1, s[20:21], v[5:6]
	s_and_saveexec_b32 s9, s1
	s_cbranch_execz .LBB415_13
; %bb.12:
	v_add_co_u32 v5, s2, v11, v3
	v_add_co_ci_u32_e64 v6, null, v12, v4, s2
	v_mul_f32_e32 v13, s4, v9
	global_store_dword v[5:6], v13, off offset:64
.LBB415_13:
	s_or_b32 exec_lo, exec_lo, s9
	v_add_co_u32 v5, s2, v1, 16
	v_add_co_ci_u32_e64 v6, null, 0, v2, s2
	v_cmp_gt_i64_e64 s2, s[22:23], v[5:6]
	s_and_b32 exec_lo, exec_lo, s2
	s_cbranch_execz .LBB415_18
; %bb.14:
	s_lshl_b64 s[18:19], s[24:25], 6
	v_add_co_u32 v5, s2, v11, s18
	v_add_co_ci_u32_e64 v6, null, s19, v12, s2
	v_add_co_u32 v3, s2, v5, v3
	v_add_co_ci_u32_e64 v4, null, v6, v4, s2
	s_and_saveexec_b32 s2, vcc_lo
	s_cbranch_execz .LBB415_16
; %bb.15:
	v_mul_f32_e32 v5, s4, v8
	global_store_dword v[3:4], v5, off
.LBB415_16:
	s_or_b32 exec_lo, exec_lo, s2
	s_and_b32 exec_lo, exec_lo, s1
	s_cbranch_execz .LBB415_18
; %bb.17:
	v_mul_f32_e32 v5, s4, v7
	global_store_dword v[3:4], v5, off offset:64
.LBB415_18:
	s_or_b32 exec_lo, exec_lo, s7
	s_cbranch_execz .LBB415_21
.LBB415_19:
	s_endpgm
.LBB415_20:
.LBB415_21:
	s_and_saveexec_b32 s1, s0
	s_cbranch_execz .LBB415_19
; %bb.22:
	v_mul_lo_u32 v5, v2, s14
	v_mul_lo_u32 v6, v1, s15
	v_mad_u64_u32 v[3:4], null, v1, s14, 0
	v_mul_lo_u32 v13, v2, s24
	v_mul_lo_u32 v14, v1, s25
	v_mad_u64_u32 v[11:12], null, v1, s24, 0
	s_mul_i32 s0, s17, s8
	s_mul_hi_u32 s1, s16, s8
	v_add3_u32 v4, v4, v6, v5
	s_add_i32 s1, s1, s0
	s_mul_i32 s0, s16, s8
	v_add_co_u32 v5, s2, s10, v0
	v_add3_u32 v12, v12, v14, v13
	v_lshlrev_b64 v[3:4], 2, v[3:4]
	s_lshl_b64 s[0:1], s[0:1], 2
	v_add_co_ci_u32_e64 v6, null, s11, 0, s2
	v_lshlrev_b64 v[12:13], 2, v[11:12]
	s_add_u32 s0, s12, s0
	s_addc_u32 s1, s13, s1
	v_add_co_u32 v0, s0, s0, v3
	v_add_co_ci_u32_e64 v11, null, s1, v4, s0
	v_add_co_u32 v12, s0, s3, v12
	v_cmp_gt_i64_e32 vcc_lo, s[20:21], v[5:6]
	v_lshlrev_b64 v[3:4], 2, v[5:6]
	v_add_co_ci_u32_e64 v13, null, s5, v13, s0
	s_and_saveexec_b32 s1, vcc_lo
	s_cbranch_execz .LBB415_24
; %bb.23:
	v_add_co_u32 v14, s0, v0, v3
	v_add_co_ci_u32_e64 v15, null, v11, v4, s0
	global_load_dword v14, v[14:15], off
	s_waitcnt vmcnt(0)
	v_mul_f32_e32 v16, s6, v14
	v_add_co_u32 v14, s0, v12, v3
	v_add_co_ci_u32_e64 v15, null, v13, v4, s0
	v_fmac_f32_e32 v16, s4, v10
	global_store_dword v[14:15], v16, off
.LBB415_24:
	s_or_b32 exec_lo, exec_lo, s1
	v_add_co_u32 v5, s0, v5, 16
	v_add_co_ci_u32_e64 v6, null, 0, v6, s0
	v_cmp_gt_i64_e64 s0, s[20:21], v[5:6]
	s_and_saveexec_b32 s2, s0
	s_cbranch_execz .LBB415_26
; %bb.25:
	v_add_co_u32 v5, s1, v0, v3
	v_add_co_ci_u32_e64 v6, null, v11, v4, s1
	global_load_dword v5, v[5:6], off offset:64
	s_waitcnt vmcnt(0)
	v_mul_f32_e32 v10, s6, v5
	v_add_co_u32 v5, s1, v12, v3
	v_add_co_ci_u32_e64 v6, null, v13, v4, s1
	v_fmac_f32_e32 v10, s4, v9
	global_store_dword v[5:6], v10, off offset:64
.LBB415_26:
	s_or_b32 exec_lo, exec_lo, s2
	v_add_co_u32 v1, s1, v1, 16
	v_add_co_ci_u32_e64 v2, null, 0, v2, s1
	v_cmp_gt_i64_e64 s1, s[22:23], v[1:2]
	s_and_b32 exec_lo, exec_lo, s1
	s_cbranch_execz .LBB415_19
; %bb.27:
	s_lshl_b64 s[2:3], s[14:15], 6
	v_add_co_u32 v0, s1, v0, s2
	v_add_co_ci_u32_e64 v1, null, s3, v11, s1
	s_lshl_b64 s[2:3], s[24:25], 6
	v_add_co_u32 v2, s1, v12, s2
	v_add_co_ci_u32_e64 v5, null, s3, v13, s1
	v_add_co_u32 v0, s1, v0, v3
	v_add_co_ci_u32_e64 v1, null, v1, v4, s1
	;; [unrolled: 2-line block ×3, first 2 shown]
	s_and_saveexec_b32 s1, vcc_lo
	s_cbranch_execz .LBB415_29
; %bb.28:
	global_load_dword v4, v[0:1], off
	s_waitcnt vmcnt(0)
	v_mul_f32_e32 v4, s6, v4
	v_fmac_f32_e32 v4, s4, v8
	global_store_dword v[2:3], v4, off
.LBB415_29:
	s_or_b32 exec_lo, exec_lo, s1
	s_and_b32 exec_lo, exec_lo, s0
	s_cbranch_execz .LBB415_19
; %bb.30:
	global_load_dword v0, v[0:1], off offset:64
	s_waitcnt vmcnt(0)
	v_mul_f32_e32 v0, s6, v0
	v_fmac_f32_e32 v0, s4, v7
	global_store_dword v[2:3], v0, off offset:64
	s_endpgm
	.section	.rodata,"a",@progbits
	.p2align	6, 0x0
	.amdhsa_kernel _ZN12_GLOBAL__N_135rocblas_gemm_batched_general_kernelIfLi16ELi16ELi32ELi32ELi8ELi32ELi8ELi8ELi32ELc78ELc67EKDF16_KffEEvlllT_PT11_llS5_llS3_PT12_llPT13_lli
		.amdhsa_group_segment_fixed_size 2048
		.amdhsa_private_segment_fixed_size 0
		.amdhsa_kernarg_size 140
		.amdhsa_user_sgpr_count 6
		.amdhsa_user_sgpr_private_segment_buffer 1
		.amdhsa_user_sgpr_dispatch_ptr 0
		.amdhsa_user_sgpr_queue_ptr 0
		.amdhsa_user_sgpr_kernarg_segment_ptr 1
		.amdhsa_user_sgpr_dispatch_id 0
		.amdhsa_user_sgpr_flat_scratch_init 0
		.amdhsa_user_sgpr_private_segment_size 0
		.amdhsa_wavefront_size32 1
		.amdhsa_uses_dynamic_stack 0
		.amdhsa_system_sgpr_private_segment_wavefront_offset 0
		.amdhsa_system_sgpr_workgroup_id_x 1
		.amdhsa_system_sgpr_workgroup_id_y 1
		.amdhsa_system_sgpr_workgroup_id_z 1
		.amdhsa_system_sgpr_workgroup_info 0
		.amdhsa_system_vgpr_workitem_id 1
		.amdhsa_next_free_vgpr 44
		.amdhsa_next_free_sgpr 34
		.amdhsa_reserve_vcc 1
		.amdhsa_reserve_flat_scratch 0
		.amdhsa_float_round_mode_32 0
		.amdhsa_float_round_mode_16_64 0
		.amdhsa_float_denorm_mode_32 3
		.amdhsa_float_denorm_mode_16_64 3
		.amdhsa_dx10_clamp 1
		.amdhsa_ieee_mode 1
		.amdhsa_fp16_overflow 0
		.amdhsa_workgroup_processor_mode 1
		.amdhsa_memory_ordered 1
		.amdhsa_forward_progress 1
		.amdhsa_shared_vgpr_count 0
		.amdhsa_exception_fp_ieee_invalid_op 0
		.amdhsa_exception_fp_denorm_src 0
		.amdhsa_exception_fp_ieee_div_zero 0
		.amdhsa_exception_fp_ieee_overflow 0
		.amdhsa_exception_fp_ieee_underflow 0
		.amdhsa_exception_fp_ieee_inexact 0
		.amdhsa_exception_int_div_zero 0
	.end_amdhsa_kernel
	.section	.text._ZN12_GLOBAL__N_135rocblas_gemm_batched_general_kernelIfLi16ELi16ELi32ELi32ELi8ELi32ELi8ELi8ELi32ELc78ELc67EKDF16_KffEEvlllT_PT11_llS5_llS3_PT12_llPT13_lli,"axG",@progbits,_ZN12_GLOBAL__N_135rocblas_gemm_batched_general_kernelIfLi16ELi16ELi32ELi32ELi8ELi32ELi8ELi8ELi32ELc78ELc67EKDF16_KffEEvlllT_PT11_llS5_llS3_PT12_llPT13_lli,comdat
.Lfunc_end415:
	.size	_ZN12_GLOBAL__N_135rocblas_gemm_batched_general_kernelIfLi16ELi16ELi32ELi32ELi8ELi32ELi8ELi8ELi32ELc78ELc67EKDF16_KffEEvlllT_PT11_llS5_llS3_PT12_llPT13_lli, .Lfunc_end415-_ZN12_GLOBAL__N_135rocblas_gemm_batched_general_kernelIfLi16ELi16ELi32ELi32ELi8ELi32ELi8ELi8ELi32ELc78ELc67EKDF16_KffEEvlllT_PT11_llS5_llS3_PT12_llPT13_lli
                                        ; -- End function
	.set _ZN12_GLOBAL__N_135rocblas_gemm_batched_general_kernelIfLi16ELi16ELi32ELi32ELi8ELi32ELi8ELi8ELi32ELc78ELc67EKDF16_KffEEvlllT_PT11_llS5_llS3_PT12_llPT13_lli.num_vgpr, 44
	.set _ZN12_GLOBAL__N_135rocblas_gemm_batched_general_kernelIfLi16ELi16ELi32ELi32ELi8ELi32ELi8ELi8ELi32ELc78ELc67EKDF16_KffEEvlllT_PT11_llS5_llS3_PT12_llPT13_lli.num_agpr, 0
	.set _ZN12_GLOBAL__N_135rocblas_gemm_batched_general_kernelIfLi16ELi16ELi32ELi32ELi8ELi32ELi8ELi8ELi32ELc78ELc67EKDF16_KffEEvlllT_PT11_llS5_llS3_PT12_llPT13_lli.numbered_sgpr, 34
	.set _ZN12_GLOBAL__N_135rocblas_gemm_batched_general_kernelIfLi16ELi16ELi32ELi32ELi8ELi32ELi8ELi8ELi32ELc78ELc67EKDF16_KffEEvlllT_PT11_llS5_llS3_PT12_llPT13_lli.num_named_barrier, 0
	.set _ZN12_GLOBAL__N_135rocblas_gemm_batched_general_kernelIfLi16ELi16ELi32ELi32ELi8ELi32ELi8ELi8ELi32ELc78ELc67EKDF16_KffEEvlllT_PT11_llS5_llS3_PT12_llPT13_lli.private_seg_size, 0
	.set _ZN12_GLOBAL__N_135rocblas_gemm_batched_general_kernelIfLi16ELi16ELi32ELi32ELi8ELi32ELi8ELi8ELi32ELc78ELc67EKDF16_KffEEvlllT_PT11_llS5_llS3_PT12_llPT13_lli.uses_vcc, 1
	.set _ZN12_GLOBAL__N_135rocblas_gemm_batched_general_kernelIfLi16ELi16ELi32ELi32ELi8ELi32ELi8ELi8ELi32ELc78ELc67EKDF16_KffEEvlllT_PT11_llS5_llS3_PT12_llPT13_lli.uses_flat_scratch, 0
	.set _ZN12_GLOBAL__N_135rocblas_gemm_batched_general_kernelIfLi16ELi16ELi32ELi32ELi8ELi32ELi8ELi8ELi32ELc78ELc67EKDF16_KffEEvlllT_PT11_llS5_llS3_PT12_llPT13_lli.has_dyn_sized_stack, 0
	.set _ZN12_GLOBAL__N_135rocblas_gemm_batched_general_kernelIfLi16ELi16ELi32ELi32ELi8ELi32ELi8ELi8ELi32ELc78ELc67EKDF16_KffEEvlllT_PT11_llS5_llS3_PT12_llPT13_lli.has_recursion, 0
	.set _ZN12_GLOBAL__N_135rocblas_gemm_batched_general_kernelIfLi16ELi16ELi32ELi32ELi8ELi32ELi8ELi8ELi32ELc78ELc67EKDF16_KffEEvlllT_PT11_llS5_llS3_PT12_llPT13_lli.has_indirect_call, 0
	.section	.AMDGPU.csdata,"",@progbits
; Kernel info:
; codeLenInByte = 1896
; TotalNumSgprs: 36
; NumVgprs: 44
; ScratchSize: 0
; MemoryBound: 0
; FloatMode: 240
; IeeeMode: 1
; LDSByteSize: 2048 bytes/workgroup (compile time only)
; SGPRBlocks: 0
; VGPRBlocks: 5
; NumSGPRsForWavesPerEU: 36
; NumVGPRsForWavesPerEU: 44
; Occupancy: 16
; WaveLimiterHint : 0
; COMPUTE_PGM_RSRC2:SCRATCH_EN: 0
; COMPUTE_PGM_RSRC2:USER_SGPR: 6
; COMPUTE_PGM_RSRC2:TRAP_HANDLER: 0
; COMPUTE_PGM_RSRC2:TGID_X_EN: 1
; COMPUTE_PGM_RSRC2:TGID_Y_EN: 1
; COMPUTE_PGM_RSRC2:TGID_Z_EN: 1
; COMPUTE_PGM_RSRC2:TIDIG_COMP_CNT: 1
	.section	.text._ZN12_GLOBAL__N_135rocblas_gemm_batched_general_kernelIfLi16ELi16ELi32ELi32ELi8ELi32ELi8ELi8ELi32ELc84ELc67EKDF16_KffEEvlllT_PT11_llS5_llS3_PT12_llPT13_lli,"axG",@progbits,_ZN12_GLOBAL__N_135rocblas_gemm_batched_general_kernelIfLi16ELi16ELi32ELi32ELi8ELi32ELi8ELi8ELi32ELc84ELc67EKDF16_KffEEvlllT_PT11_llS5_llS3_PT12_llPT13_lli,comdat
	.globl	_ZN12_GLOBAL__N_135rocblas_gemm_batched_general_kernelIfLi16ELi16ELi32ELi32ELi8ELi32ELi8ELi8ELi32ELc84ELc67EKDF16_KffEEvlllT_PT11_llS5_llS3_PT12_llPT13_lli ; -- Begin function _ZN12_GLOBAL__N_135rocblas_gemm_batched_general_kernelIfLi16ELi16ELi32ELi32ELi8ELi32ELi8ELi8ELi32ELc84ELc67EKDF16_KffEEvlllT_PT11_llS5_llS3_PT12_llPT13_lli
	.p2align	8
	.type	_ZN12_GLOBAL__N_135rocblas_gemm_batched_general_kernelIfLi16ELi16ELi32ELi32ELi8ELi32ELi8ELi8ELi32ELc84ELc67EKDF16_KffEEvlllT_PT11_llS5_llS3_PT12_llPT13_lli,@function
_ZN12_GLOBAL__N_135rocblas_gemm_batched_general_kernelIfLi16ELi16ELi32ELi32ELi8ELi32ELi8ELi8ELi32ELc84ELc67EKDF16_KffEEvlllT_PT11_llS5_llS3_PT12_llPT13_lli: ; @_ZN12_GLOBAL__N_135rocblas_gemm_batched_general_kernelIfLi16ELi16ELi32ELi32ELi8ELi32ELi8ELi8ELi32ELc84ELc67EKDF16_KffEEvlllT_PT11_llS5_llS3_PT12_llPT13_lli
; %bb.0:
	s_clause 0x1
	s_load_dwordx2 s[10:11], s[4:5], 0x10
	s_load_dwordx4 s[20:23], s[4:5], 0x0
	s_mov_b32 s0, s7
	v_mov_b32_e32 v10, 0
	v_mov_b32_e32 v9, 0
	;; [unrolled: 1-line block ×4, first 2 shown]
	s_ashr_i32 s7, s6, 31
	s_ashr_i32 s1, s0, 31
	s_lshl_b64 s[6:7], s[6:7], 5
	s_waitcnt lgkmcnt(0)
	v_cmp_lt_i64_e64 s2, s[10:11], 1
	s_and_b32 vcc_lo, exec_lo, s2
	s_lshl_b64 s[2:3], s[0:1], 5
	s_cbranch_vccnz .LBB416_7
; %bb.1:
	s_clause 0x1
	s_load_dwordx4 s[24:27], s[4:5], 0x40
	s_load_dwordx8 s[12:19], s[4:5], 0x20
	v_lshl_add_u32 v2, v1, 4, v0
	v_and_b32_e32 v6, 7, v0
	v_mov_b32_e32 v3, s7
	s_lshl_b64 s[28:29], s[0:1], 6
	v_mov_b32_e32 v7, 0
	v_and_b32_e32 v14, 31, v2
	v_lshrrev_b32_e32 v10, 3, v2
	v_lshrrev_b32_e32 v13, 5, v2
	v_lshlrev_b32_e32 v15, 2, v6
	v_lshlrev_b32_e32 v11, 2, v0
	v_or_b32_e32 v2, s6, v14
	v_add_co_u32 v8, s0, v10, s2
	v_add_co_ci_u32_e64 v9, null, 0, s3, s0
	v_add_co_u32 v17, s0, s6, v14
	v_add_co_ci_u32_e64 v18, null, s7, 0, s0
	s_waitcnt lgkmcnt(0)
	v_mad_u64_u32 v[4:5], null, s24, v6, 0
	v_cmp_gt_i64_e64 s0, s[20:21], v[2:3]
	v_cmp_gt_i64_e64 s1, s[22:23], v[8:9]
	v_mul_lo_u32 v8, s15, v17
	v_mul_lo_u32 v9, s14, v18
	s_mul_i32 s9, s27, s8
	s_mul_hi_u32 s27, s26, s8
	v_mad_u64_u32 v[2:3], null, s25, v6, v[5:6]
	s_mul_i32 s26, s26, s8
	s_add_i32 s27, s27, s9
	s_mul_i32 s9, s17, s8
	s_mul_hi_u32 s17, s16, s8
	v_lshlrev_b32_e32 v16, 2, v14
	v_lshl_or_b32 v15, v10, 5, v15
	v_mov_b32_e32 v5, v2
	v_mad_u64_u32 v[2:3], null, s14, v17, 0
	s_lshl_b64 s[14:15], s[26:27], 1
	v_lshl_add_u32 v12, v1, 5, 0x400
	v_lshlrev_b64 v[4:5], 1, v[4:5]
	s_add_u32 s14, s28, s14
	s_addc_u32 s15, s29, s15
	v_lshl_or_b32 v14, v13, 7, v16
	v_add3_u32 v3, v3, v9, v8
	v_lshlrev_b32_e32 v8, 1, v10
	v_add_co_u32 v4, vcc_lo, s14, v4
	v_add_co_ci_u32_e64 v5, null, s15, v5, vcc_lo
	v_lshlrev_b64 v[2:3], 1, v[2:3]
	s_add_i32 s15, s17, s9
	s_mul_i32 s14, s16, s8
	v_lshlrev_b32_e32 v9, 1, v13
	s_lshl_b64 s[14:15], s[14:15], 1
	v_add_nc_u32_e32 v15, 0x400, v15
	v_add_co_u32 v2, vcc_lo, v2, s14
	v_add_co_ci_u32_e64 v3, null, s15, v3, vcc_lo
	v_add_co_u32 v4, vcc_lo, v4, v8
	v_add_co_ci_u32_e64 v5, null, 0, v5, vcc_lo
	;; [unrolled: 2-line block ×5, first 2 shown]
	v_mov_b32_e32 v8, 0
	v_mov_b32_e32 v9, 0
	v_mov_b32_e32 v10, 0
	s_lshl_b64 s[12:13], s[24:25], 4
	s_mov_b64 s[14:15], 0
	s_branch .LBB416_3
.LBB416_2:                              ;   in Loop: Header=BB416_3 Depth=1
	s_or_b32 exec_lo, exec_lo, s9
	ds_write_b32 v15, v17
	s_waitcnt lgkmcnt(0)
	s_barrier
	buffer_gl0_inv
	ds_read_b128 v[16:19], v12
	ds_read2_b32 v[32:33], v11 offset1:16
	ds_read_b128 v[20:23], v12 offset:512
	ds_read2_b32 v[34:35], v11 offset0:32 offset1:48
	ds_read2_b32 v[36:37], v11 offset0:64 offset1:80
	;; [unrolled: 1-line block ×3, first 2 shown]
	ds_read_b128 v[24:27], v12 offset:16
	ds_read2_b32 v[40:41], v11 offset0:128 offset1:144
	ds_read_b128 v[28:31], v12 offset:528
	ds_read2_b32 v[42:43], v11 offset0:160 offset1:176
	s_add_u32 s14, s14, 8
	s_addc_u32 s15, s15, 0
	v_add_co_u32 v2, vcc_lo, v2, s12
	v_cmp_lt_i64_e64 s9, s[14:15], s[10:11]
	v_add_co_ci_u32_e64 v3, null, s13, v3, vcc_lo
	v_add_co_u32 v4, vcc_lo, v4, 16
	v_add_co_ci_u32_e64 v5, null, 0, v5, vcc_lo
	s_waitcnt lgkmcnt(8)
	v_fmac_f32_e32 v10, v32, v16
	v_fmac_f32_e32 v9, v33, v16
	s_waitcnt lgkmcnt(7)
	v_fmac_f32_e32 v8, v32, v20
	v_fmac_f32_e32 v7, v33, v20
	ds_read2_b32 v[32:33], v11 offset0:192 offset1:208
	s_waitcnt lgkmcnt(7)
	v_fmac_f32_e32 v10, v34, v17
	v_fmac_f32_e32 v9, v35, v17
	;; [unrolled: 1-line block ×4, first 2 shown]
	ds_read2_b32 v[16:17], v11 offset0:224 offset1:240
	s_waitcnt lgkmcnt(7)
	v_fmac_f32_e32 v10, v36, v18
	v_fmac_f32_e32 v9, v37, v18
	;; [unrolled: 1-line block ×4, first 2 shown]
	s_and_b32 vcc_lo, exec_lo, s9
	s_waitcnt lgkmcnt(6)
	v_fmac_f32_e32 v10, v38, v19
	v_fmac_f32_e32 v9, v39, v19
	;; [unrolled: 1-line block ×4, first 2 shown]
	s_waitcnt lgkmcnt(0)
	v_fmac_f32_e32 v10, v40, v24
	v_fmac_f32_e32 v9, v41, v24
	;; [unrolled: 1-line block ×4, first 2 shown]
	s_barrier
	v_fmac_f32_e32 v10, v42, v25
	v_fmac_f32_e32 v9, v43, v25
	;; [unrolled: 1-line block ×4, first 2 shown]
	buffer_gl0_inv
	v_fmac_f32_e32 v10, v32, v26
	v_fmac_f32_e32 v9, v33, v26
	;; [unrolled: 1-line block ×8, first 2 shown]
	s_cbranch_vccz .LBB416_7
.LBB416_3:                              ; =>This Inner Loop Header: Depth=1
	v_add_co_u32 v16, s9, v13, s14
	v_add_co_ci_u32_e64 v17, null, 0, s15, s9
	v_cmp_gt_i64_e32 vcc_lo, s[10:11], v[16:17]
	v_mov_b32_e32 v16, 0
	s_and_b32 s16, s0, vcc_lo
	s_and_saveexec_b32 s9, s16
	s_cbranch_execz .LBB416_5
; %bb.4:                                ;   in Loop: Header=BB416_3 Depth=1
	global_load_ushort v16, v[4:5], off
	s_waitcnt vmcnt(0)
	v_cvt_f32_f16_e32 v16, v16
.LBB416_5:                              ;   in Loop: Header=BB416_3 Depth=1
	s_or_b32 exec_lo, exec_lo, s9
	v_add_co_u32 v17, s9, v6, s14
	v_add_co_ci_u32_e64 v18, null, 0, s15, s9
	ds_write_b32 v14, v16
	v_cmp_gt_i64_e32 vcc_lo, s[10:11], v[17:18]
	v_mov_b32_e32 v17, 0
	s_and_b32 s16, vcc_lo, s1
	s_and_saveexec_b32 s9, s16
	s_cbranch_execz .LBB416_2
; %bb.6:                                ;   in Loop: Header=BB416_3 Depth=1
	global_load_ushort v16, v[2:3], off
	s_waitcnt vmcnt(0)
	v_cvt_f32_f16_e32 v17, v16
	s_branch .LBB416_2
.LBB416_7:
	s_clause 0x3
	s_load_dwordx4 s[24:27], s[4:5], 0x78
	s_load_dword s9, s[4:5], 0x50
	s_load_dwordx8 s[12:19], s[4:5], 0x58
	s_load_dword s4, s[4:5], 0x18
	v_add_co_u32 v1, s0, s2, v1
	v_add_co_ci_u32_e64 v2, null, s3, 0, s0
	s_waitcnt lgkmcnt(0)
	s_mul_i32 s1, s27, s8
	s_mul_hi_u32 s2, s26, s8
	s_mul_i32 s0, s26, s8
	s_add_i32 s1, s2, s1
	v_cmp_neq_f32_e64 s2, s9, 0
	s_lshl_b64 s[10:11], s[0:1], 2
	v_cmp_gt_i64_e64 s0, s[22:23], v[1:2]
	s_add_u32 s3, s18, s10
	s_addc_u32 s5, s19, s11
	s_and_b32 vcc_lo, exec_lo, s2
	s_cbranch_vccnz .LBB416_20
; %bb.8:
	s_and_saveexec_b32 s10, s0
	s_cbranch_execz .LBB416_18
; %bb.9:
	v_mul_lo_u32 v5, v2, s24
	v_mul_lo_u32 v6, v1, s25
	v_mad_u64_u32 v[3:4], null, v1, s24, 0
	v_add3_u32 v4, v4, v6, v5
	v_add_co_u32 v5, s1, s6, v0
	v_add_co_ci_u32_e64 v6, null, s7, 0, s1
	v_lshlrev_b64 v[11:12], 2, v[3:4]
	v_cmp_gt_i64_e32 vcc_lo, s[20:21], v[5:6]
	v_lshlrev_b64 v[3:4], 2, v[5:6]
	v_add_co_u32 v11, s1, s3, v11
	v_add_co_ci_u32_e64 v12, null, s5, v12, s1
	s_and_saveexec_b32 s2, vcc_lo
	s_cbranch_execz .LBB416_11
; %bb.10:
	v_add_co_u32 v13, s1, v11, v3
	v_add_co_ci_u32_e64 v14, null, v12, v4, s1
	v_mul_f32_e32 v15, s4, v10
	global_store_dword v[13:14], v15, off
.LBB416_11:
	s_or_b32 exec_lo, exec_lo, s2
	v_add_co_u32 v5, s1, v5, 16
	v_add_co_ci_u32_e64 v6, null, 0, v6, s1
	v_cmp_gt_i64_e64 s1, s[20:21], v[5:6]
	s_and_saveexec_b32 s11, s1
	s_cbranch_execz .LBB416_13
; %bb.12:
	v_add_co_u32 v5, s2, v11, v3
	v_add_co_ci_u32_e64 v6, null, v12, v4, s2
	v_mul_f32_e32 v13, s4, v9
	global_store_dword v[5:6], v13, off offset:64
.LBB416_13:
	s_or_b32 exec_lo, exec_lo, s11
	v_add_co_u32 v5, s2, v1, 16
	v_add_co_ci_u32_e64 v6, null, 0, v2, s2
	v_cmp_gt_i64_e64 s2, s[22:23], v[5:6]
	s_and_b32 exec_lo, exec_lo, s2
	s_cbranch_execz .LBB416_18
; %bb.14:
	s_lshl_b64 s[18:19], s[24:25], 6
	v_add_co_u32 v5, s2, v11, s18
	v_add_co_ci_u32_e64 v6, null, s19, v12, s2
	v_add_co_u32 v3, s2, v5, v3
	v_add_co_ci_u32_e64 v4, null, v6, v4, s2
	s_and_saveexec_b32 s2, vcc_lo
	s_cbranch_execz .LBB416_16
; %bb.15:
	v_mul_f32_e32 v5, s4, v8
	global_store_dword v[3:4], v5, off
.LBB416_16:
	s_or_b32 exec_lo, exec_lo, s2
	s_and_b32 exec_lo, exec_lo, s1
	s_cbranch_execz .LBB416_18
; %bb.17:
	v_mul_f32_e32 v5, s4, v7
	global_store_dword v[3:4], v5, off offset:64
.LBB416_18:
	s_or_b32 exec_lo, exec_lo, s10
	s_cbranch_execz .LBB416_21
.LBB416_19:
	s_endpgm
.LBB416_20:
.LBB416_21:
	s_and_saveexec_b32 s1, s0
	s_cbranch_execz .LBB416_19
; %bb.22:
	v_mul_lo_u32 v5, v2, s14
	v_mul_lo_u32 v6, v1, s15
	v_mad_u64_u32 v[3:4], null, v1, s14, 0
	v_mul_lo_u32 v13, v2, s24
	v_mul_lo_u32 v14, v1, s25
	v_mad_u64_u32 v[11:12], null, v1, s24, 0
	s_mul_i32 s0, s17, s8
	s_mul_hi_u32 s1, s16, s8
	v_add3_u32 v4, v4, v6, v5
	s_add_i32 s1, s1, s0
	s_mul_i32 s0, s16, s8
	v_add_co_u32 v5, s2, s6, v0
	v_add3_u32 v12, v12, v14, v13
	v_lshlrev_b64 v[3:4], 2, v[3:4]
	s_lshl_b64 s[0:1], s[0:1], 2
	v_add_co_ci_u32_e64 v6, null, s7, 0, s2
	v_lshlrev_b64 v[12:13], 2, v[11:12]
	s_add_u32 s0, s12, s0
	s_addc_u32 s1, s13, s1
	v_add_co_u32 v0, s0, s0, v3
	v_add_co_ci_u32_e64 v11, null, s1, v4, s0
	v_add_co_u32 v12, s0, s3, v12
	v_cmp_gt_i64_e32 vcc_lo, s[20:21], v[5:6]
	v_lshlrev_b64 v[3:4], 2, v[5:6]
	v_add_co_ci_u32_e64 v13, null, s5, v13, s0
	s_and_saveexec_b32 s1, vcc_lo
	s_cbranch_execz .LBB416_24
; %bb.23:
	v_add_co_u32 v14, s0, v0, v3
	v_add_co_ci_u32_e64 v15, null, v11, v4, s0
	global_load_dword v14, v[14:15], off
	s_waitcnt vmcnt(0)
	v_mul_f32_e32 v16, s9, v14
	v_add_co_u32 v14, s0, v12, v3
	v_add_co_ci_u32_e64 v15, null, v13, v4, s0
	v_fmac_f32_e32 v16, s4, v10
	global_store_dword v[14:15], v16, off
.LBB416_24:
	s_or_b32 exec_lo, exec_lo, s1
	v_add_co_u32 v5, s0, v5, 16
	v_add_co_ci_u32_e64 v6, null, 0, v6, s0
	v_cmp_gt_i64_e64 s0, s[20:21], v[5:6]
	s_and_saveexec_b32 s2, s0
	s_cbranch_execz .LBB416_26
; %bb.25:
	v_add_co_u32 v5, s1, v0, v3
	v_add_co_ci_u32_e64 v6, null, v11, v4, s1
	global_load_dword v5, v[5:6], off offset:64
	s_waitcnt vmcnt(0)
	v_mul_f32_e32 v10, s9, v5
	v_add_co_u32 v5, s1, v12, v3
	v_add_co_ci_u32_e64 v6, null, v13, v4, s1
	v_fmac_f32_e32 v10, s4, v9
	global_store_dword v[5:6], v10, off offset:64
.LBB416_26:
	s_or_b32 exec_lo, exec_lo, s2
	v_add_co_u32 v1, s1, v1, 16
	v_add_co_ci_u32_e64 v2, null, 0, v2, s1
	v_cmp_gt_i64_e64 s1, s[22:23], v[1:2]
	s_and_b32 exec_lo, exec_lo, s1
	s_cbranch_execz .LBB416_19
; %bb.27:
	s_lshl_b64 s[2:3], s[14:15], 6
	v_add_co_u32 v0, s1, v0, s2
	v_add_co_ci_u32_e64 v1, null, s3, v11, s1
	s_lshl_b64 s[2:3], s[24:25], 6
	v_add_co_u32 v2, s1, v12, s2
	v_add_co_ci_u32_e64 v5, null, s3, v13, s1
	v_add_co_u32 v0, s1, v0, v3
	v_add_co_ci_u32_e64 v1, null, v1, v4, s1
	v_add_co_u32 v2, s1, v2, v3
	v_add_co_ci_u32_e64 v3, null, v5, v4, s1
	s_and_saveexec_b32 s1, vcc_lo
	s_cbranch_execz .LBB416_29
; %bb.28:
	global_load_dword v4, v[0:1], off
	s_waitcnt vmcnt(0)
	v_mul_f32_e32 v4, s9, v4
	v_fmac_f32_e32 v4, s4, v8
	global_store_dword v[2:3], v4, off
.LBB416_29:
	s_or_b32 exec_lo, exec_lo, s1
	s_and_b32 exec_lo, exec_lo, s0
	s_cbranch_execz .LBB416_19
; %bb.30:
	global_load_dword v0, v[0:1], off offset:64
	s_waitcnt vmcnt(0)
	v_mul_f32_e32 v0, s9, v0
	v_fmac_f32_e32 v0, s4, v7
	global_store_dword v[2:3], v0, off offset:64
	s_endpgm
	.section	.rodata,"a",@progbits
	.p2align	6, 0x0
	.amdhsa_kernel _ZN12_GLOBAL__N_135rocblas_gemm_batched_general_kernelIfLi16ELi16ELi32ELi32ELi8ELi32ELi8ELi8ELi32ELc84ELc67EKDF16_KffEEvlllT_PT11_llS5_llS3_PT12_llPT13_lli
		.amdhsa_group_segment_fixed_size 2048
		.amdhsa_private_segment_fixed_size 0
		.amdhsa_kernarg_size 140
		.amdhsa_user_sgpr_count 6
		.amdhsa_user_sgpr_private_segment_buffer 1
		.amdhsa_user_sgpr_dispatch_ptr 0
		.amdhsa_user_sgpr_queue_ptr 0
		.amdhsa_user_sgpr_kernarg_segment_ptr 1
		.amdhsa_user_sgpr_dispatch_id 0
		.amdhsa_user_sgpr_flat_scratch_init 0
		.amdhsa_user_sgpr_private_segment_size 0
		.amdhsa_wavefront_size32 1
		.amdhsa_uses_dynamic_stack 0
		.amdhsa_system_sgpr_private_segment_wavefront_offset 0
		.amdhsa_system_sgpr_workgroup_id_x 1
		.amdhsa_system_sgpr_workgroup_id_y 1
		.amdhsa_system_sgpr_workgroup_id_z 1
		.amdhsa_system_sgpr_workgroup_info 0
		.amdhsa_system_vgpr_workitem_id 1
		.amdhsa_next_free_vgpr 44
		.amdhsa_next_free_sgpr 30
		.amdhsa_reserve_vcc 1
		.amdhsa_reserve_flat_scratch 0
		.amdhsa_float_round_mode_32 0
		.amdhsa_float_round_mode_16_64 0
		.amdhsa_float_denorm_mode_32 3
		.amdhsa_float_denorm_mode_16_64 3
		.amdhsa_dx10_clamp 1
		.amdhsa_ieee_mode 1
		.amdhsa_fp16_overflow 0
		.amdhsa_workgroup_processor_mode 1
		.amdhsa_memory_ordered 1
		.amdhsa_forward_progress 1
		.amdhsa_shared_vgpr_count 0
		.amdhsa_exception_fp_ieee_invalid_op 0
		.amdhsa_exception_fp_denorm_src 0
		.amdhsa_exception_fp_ieee_div_zero 0
		.amdhsa_exception_fp_ieee_overflow 0
		.amdhsa_exception_fp_ieee_underflow 0
		.amdhsa_exception_fp_ieee_inexact 0
		.amdhsa_exception_int_div_zero 0
	.end_amdhsa_kernel
	.section	.text._ZN12_GLOBAL__N_135rocblas_gemm_batched_general_kernelIfLi16ELi16ELi32ELi32ELi8ELi32ELi8ELi8ELi32ELc84ELc67EKDF16_KffEEvlllT_PT11_llS5_llS3_PT12_llPT13_lli,"axG",@progbits,_ZN12_GLOBAL__N_135rocblas_gemm_batched_general_kernelIfLi16ELi16ELi32ELi32ELi8ELi32ELi8ELi8ELi32ELc84ELc67EKDF16_KffEEvlllT_PT11_llS5_llS3_PT12_llPT13_lli,comdat
.Lfunc_end416:
	.size	_ZN12_GLOBAL__N_135rocblas_gemm_batched_general_kernelIfLi16ELi16ELi32ELi32ELi8ELi32ELi8ELi8ELi32ELc84ELc67EKDF16_KffEEvlllT_PT11_llS5_llS3_PT12_llPT13_lli, .Lfunc_end416-_ZN12_GLOBAL__N_135rocblas_gemm_batched_general_kernelIfLi16ELi16ELi32ELi32ELi8ELi32ELi8ELi8ELi32ELc84ELc67EKDF16_KffEEvlllT_PT11_llS5_llS3_PT12_llPT13_lli
                                        ; -- End function
	.set _ZN12_GLOBAL__N_135rocblas_gemm_batched_general_kernelIfLi16ELi16ELi32ELi32ELi8ELi32ELi8ELi8ELi32ELc84ELc67EKDF16_KffEEvlllT_PT11_llS5_llS3_PT12_llPT13_lli.num_vgpr, 44
	.set _ZN12_GLOBAL__N_135rocblas_gemm_batched_general_kernelIfLi16ELi16ELi32ELi32ELi8ELi32ELi8ELi8ELi32ELc84ELc67EKDF16_KffEEvlllT_PT11_llS5_llS3_PT12_llPT13_lli.num_agpr, 0
	.set _ZN12_GLOBAL__N_135rocblas_gemm_batched_general_kernelIfLi16ELi16ELi32ELi32ELi8ELi32ELi8ELi8ELi32ELc84ELc67EKDF16_KffEEvlllT_PT11_llS5_llS3_PT12_llPT13_lli.numbered_sgpr, 30
	.set _ZN12_GLOBAL__N_135rocblas_gemm_batched_general_kernelIfLi16ELi16ELi32ELi32ELi8ELi32ELi8ELi8ELi32ELc84ELc67EKDF16_KffEEvlllT_PT11_llS5_llS3_PT12_llPT13_lli.num_named_barrier, 0
	.set _ZN12_GLOBAL__N_135rocblas_gemm_batched_general_kernelIfLi16ELi16ELi32ELi32ELi8ELi32ELi8ELi8ELi32ELc84ELc67EKDF16_KffEEvlllT_PT11_llS5_llS3_PT12_llPT13_lli.private_seg_size, 0
	.set _ZN12_GLOBAL__N_135rocblas_gemm_batched_general_kernelIfLi16ELi16ELi32ELi32ELi8ELi32ELi8ELi8ELi32ELc84ELc67EKDF16_KffEEvlllT_PT11_llS5_llS3_PT12_llPT13_lli.uses_vcc, 1
	.set _ZN12_GLOBAL__N_135rocblas_gemm_batched_general_kernelIfLi16ELi16ELi32ELi32ELi8ELi32ELi8ELi8ELi32ELc84ELc67EKDF16_KffEEvlllT_PT11_llS5_llS3_PT12_llPT13_lli.uses_flat_scratch, 0
	.set _ZN12_GLOBAL__N_135rocblas_gemm_batched_general_kernelIfLi16ELi16ELi32ELi32ELi8ELi32ELi8ELi8ELi32ELc84ELc67EKDF16_KffEEvlllT_PT11_llS5_llS3_PT12_llPT13_lli.has_dyn_sized_stack, 0
	.set _ZN12_GLOBAL__N_135rocblas_gemm_batched_general_kernelIfLi16ELi16ELi32ELi32ELi8ELi32ELi8ELi8ELi32ELc84ELc67EKDF16_KffEEvlllT_PT11_llS5_llS3_PT12_llPT13_lli.has_recursion, 0
	.set _ZN12_GLOBAL__N_135rocblas_gemm_batched_general_kernelIfLi16ELi16ELi32ELi32ELi8ELi32ELi8ELi8ELi32ELc84ELc67EKDF16_KffEEvlllT_PT11_llS5_llS3_PT12_llPT13_lli.has_indirect_call, 0
	.section	.AMDGPU.csdata,"",@progbits
; Kernel info:
; codeLenInByte = 1900
; TotalNumSgprs: 32
; NumVgprs: 44
; ScratchSize: 0
; MemoryBound: 0
; FloatMode: 240
; IeeeMode: 1
; LDSByteSize: 2048 bytes/workgroup (compile time only)
; SGPRBlocks: 0
; VGPRBlocks: 5
; NumSGPRsForWavesPerEU: 32
; NumVGPRsForWavesPerEU: 44
; Occupancy: 16
; WaveLimiterHint : 0
; COMPUTE_PGM_RSRC2:SCRATCH_EN: 0
; COMPUTE_PGM_RSRC2:USER_SGPR: 6
; COMPUTE_PGM_RSRC2:TRAP_HANDLER: 0
; COMPUTE_PGM_RSRC2:TGID_X_EN: 1
; COMPUTE_PGM_RSRC2:TGID_Y_EN: 1
; COMPUTE_PGM_RSRC2:TGID_Z_EN: 1
; COMPUTE_PGM_RSRC2:TIDIG_COMP_CNT: 1
	.section	.text._ZN12_GLOBAL__N_120gemm_ex_scale_kernelILi32ELi32EfPK16rocblas_bfloat16PS1_EEviiT1_T2_lllT3_llli,"axG",@progbits,_ZN12_GLOBAL__N_120gemm_ex_scale_kernelILi32ELi32EfPK16rocblas_bfloat16PS1_EEviiT1_T2_lllT3_llli,comdat
	.globl	_ZN12_GLOBAL__N_120gemm_ex_scale_kernelILi32ELi32EfPK16rocblas_bfloat16PS1_EEviiT1_T2_lllT3_llli ; -- Begin function _ZN12_GLOBAL__N_120gemm_ex_scale_kernelILi32ELi32EfPK16rocblas_bfloat16PS1_EEviiT1_T2_lllT3_llli
	.p2align	8
	.type	_ZN12_GLOBAL__N_120gemm_ex_scale_kernelILi32ELi32EfPK16rocblas_bfloat16PS1_EEviiT1_T2_lllT3_llli,@function
_ZN12_GLOBAL__N_120gemm_ex_scale_kernelILi32ELi32EfPK16rocblas_bfloat16PS1_EEviiT1_T2_lllT3_llli: ; @_ZN12_GLOBAL__N_120gemm_ex_scale_kernelILi32ELi32EfPK16rocblas_bfloat16PS1_EEviiT1_T2_lllT3_llli
; %bb.0:
	s_load_dwordx4 s[0:3], s[4:5], 0x0
	v_lshl_add_u32 v0, s6, 5, v0
	v_lshl_add_u32 v2, s7, 5, v1
	s_waitcnt lgkmcnt(0)
	v_cmp_gt_u32_e32 vcc_lo, s0, v0
	v_cmp_gt_u32_e64 s0, s1, v2
	s_and_b32 s0, vcc_lo, s0
	s_and_saveexec_b32 s1, s0
	s_cbranch_execz .LBB417_10
; %bb.1:
	v_cmp_neq_f32_e64 s0, s2, 0
	v_mov_b32_e32 v3, 0
	s_and_b32 vcc_lo, exec_lo, s0
	s_mov_b32 s0, 0
	s_cbranch_vccnz .LBB417_3
; %bb.2:
	v_mov_b32_e32 v1, 0
	s_load_dwordx16 s[12:27], s[4:5], 0x10
	s_andn2_b32 vcc_lo, exec_lo, s0
	s_cbranch_vccz .LBB417_4
	s_branch .LBB417_9
.LBB417_3:
	s_load_dwordx16 s[12:27], s[4:5], 0x10
.LBB417_4:
	s_waitcnt lgkmcnt(0)
	v_mad_u64_u32 v[3:4], null, s16, v2, 0
	s_mul_i32 s1, s19, s8
	s_mul_hi_u32 s3, s18, s8
	s_mul_i32 s0, s18, s8
	s_add_i32 s1, s3, s1
	s_lshl_b64 s[0:1], s[0:1], 1
	v_mov_b32_e32 v1, v4
	s_add_u32 s3, s12, s0
	s_addc_u32 s4, s13, s1
	s_lshl_b64 s[0:1], s[14:15], 1
	s_add_u32 s0, s3, s0
	v_mad_u64_u32 v[4:5], null, s17, v2, v[1:2]
	v_mov_b32_e32 v1, 0
	s_addc_u32 s1, s4, s1
	v_lshlrev_b64 v[5:6], 1, v[0:1]
	v_lshlrev_b64 v[3:4], 1, v[3:4]
	v_add_co_u32 v3, vcc_lo, s0, v3
	v_add_co_ci_u32_e64 v4, null, s1, v4, vcc_lo
	v_add_co_u32 v3, vcc_lo, v3, v5
	v_add_co_ci_u32_e64 v4, null, v4, v6, vcc_lo
	global_load_ushort v3, v[3:4], off
	s_waitcnt vmcnt(0)
	v_lshlrev_b32_e32 v3, 16, v3
	v_mul_f32_e32 v3, s2, v3
	v_and_b32_e32 v4, 0x7f800000, v3
	v_cmp_ne_u32_e32 vcc_lo, 0x7f800000, v4
                                        ; implicit-def: $vgpr4
	s_and_saveexec_b32 s0, vcc_lo
	s_xor_b32 s0, exec_lo, s0
; %bb.5:
	v_bfe_u32 v4, v3, 16, 1
	v_add3_u32 v4, v3, v4, 0x7fff
                                        ; implicit-def: $vgpr3
; %bb.6:
	s_andn2_saveexec_b32 s0, s0
; %bb.7:
	v_mov_b32_e32 v4, 0
	v_or_b32_e32 v5, 0x10000, v3
	v_cmp_eq_u32_sdwa vcc_lo, v3, v4 src0_sel:WORD_0 src1_sel:DWORD
	v_cndmask_b32_e32 v4, v5, v3, vcc_lo
; %bb.8:
	s_or_b32 exec_lo, exec_lo, s0
	v_lshrrev_b32_e32 v3, 16, v4
.LBB417_9:
	s_waitcnt lgkmcnt(0)
	v_mad_u64_u32 v[4:5], null, s24, v2, 0
	s_mul_i32 s1, s27, s8
	s_mul_hi_u32 s2, s26, s8
	s_mul_i32 s0, s26, s8
	s_add_i32 s1, s2, s1
	v_lshlrev_b64 v[0:1], 1, v[0:1]
	s_lshl_b64 s[0:1], s[0:1], 1
	v_mad_u64_u32 v[5:6], null, s25, v2, v[5:6]
	s_add_u32 s2, s20, s0
	s_addc_u32 s3, s21, s1
	s_lshl_b64 s[0:1], s[22:23], 1
	s_add_u32 s0, s2, s0
	s_addc_u32 s1, s3, s1
	v_lshlrev_b64 v[4:5], 1, v[4:5]
	v_add_co_u32 v2, vcc_lo, s0, v4
	v_add_co_ci_u32_e64 v4, null, s1, v5, vcc_lo
	v_add_co_u32 v0, vcc_lo, v2, v0
	v_add_co_ci_u32_e64 v1, null, v4, v1, vcc_lo
	global_store_short v[0:1], v3, off
.LBB417_10:
	s_endpgm
	.section	.rodata,"a",@progbits
	.p2align	6, 0x0
	.amdhsa_kernel _ZN12_GLOBAL__N_120gemm_ex_scale_kernelILi32ELi32EfPK16rocblas_bfloat16PS1_EEviiT1_T2_lllT3_llli
		.amdhsa_group_segment_fixed_size 0
		.amdhsa_private_segment_fixed_size 0
		.amdhsa_kernarg_size 84
		.amdhsa_user_sgpr_count 6
		.amdhsa_user_sgpr_private_segment_buffer 1
		.amdhsa_user_sgpr_dispatch_ptr 0
		.amdhsa_user_sgpr_queue_ptr 0
		.amdhsa_user_sgpr_kernarg_segment_ptr 1
		.amdhsa_user_sgpr_dispatch_id 0
		.amdhsa_user_sgpr_flat_scratch_init 0
		.amdhsa_user_sgpr_private_segment_size 0
		.amdhsa_wavefront_size32 1
		.amdhsa_uses_dynamic_stack 0
		.amdhsa_system_sgpr_private_segment_wavefront_offset 0
		.amdhsa_system_sgpr_workgroup_id_x 1
		.amdhsa_system_sgpr_workgroup_id_y 1
		.amdhsa_system_sgpr_workgroup_id_z 1
		.amdhsa_system_sgpr_workgroup_info 0
		.amdhsa_system_vgpr_workitem_id 1
		.amdhsa_next_free_vgpr 7
		.amdhsa_next_free_sgpr 28
		.amdhsa_reserve_vcc 1
		.amdhsa_reserve_flat_scratch 0
		.amdhsa_float_round_mode_32 0
		.amdhsa_float_round_mode_16_64 0
		.amdhsa_float_denorm_mode_32 3
		.amdhsa_float_denorm_mode_16_64 3
		.amdhsa_dx10_clamp 1
		.amdhsa_ieee_mode 1
		.amdhsa_fp16_overflow 0
		.amdhsa_workgroup_processor_mode 1
		.amdhsa_memory_ordered 1
		.amdhsa_forward_progress 1
		.amdhsa_shared_vgpr_count 0
		.amdhsa_exception_fp_ieee_invalid_op 0
		.amdhsa_exception_fp_denorm_src 0
		.amdhsa_exception_fp_ieee_div_zero 0
		.amdhsa_exception_fp_ieee_overflow 0
		.amdhsa_exception_fp_ieee_underflow 0
		.amdhsa_exception_fp_ieee_inexact 0
		.amdhsa_exception_int_div_zero 0
	.end_amdhsa_kernel
	.section	.text._ZN12_GLOBAL__N_120gemm_ex_scale_kernelILi32ELi32EfPK16rocblas_bfloat16PS1_EEviiT1_T2_lllT3_llli,"axG",@progbits,_ZN12_GLOBAL__N_120gemm_ex_scale_kernelILi32ELi32EfPK16rocblas_bfloat16PS1_EEviiT1_T2_lllT3_llli,comdat
.Lfunc_end417:
	.size	_ZN12_GLOBAL__N_120gemm_ex_scale_kernelILi32ELi32EfPK16rocblas_bfloat16PS1_EEviiT1_T2_lllT3_llli, .Lfunc_end417-_ZN12_GLOBAL__N_120gemm_ex_scale_kernelILi32ELi32EfPK16rocblas_bfloat16PS1_EEviiT1_T2_lllT3_llli
                                        ; -- End function
	.set _ZN12_GLOBAL__N_120gemm_ex_scale_kernelILi32ELi32EfPK16rocblas_bfloat16PS1_EEviiT1_T2_lllT3_llli.num_vgpr, 7
	.set _ZN12_GLOBAL__N_120gemm_ex_scale_kernelILi32ELi32EfPK16rocblas_bfloat16PS1_EEviiT1_T2_lllT3_llli.num_agpr, 0
	.set _ZN12_GLOBAL__N_120gemm_ex_scale_kernelILi32ELi32EfPK16rocblas_bfloat16PS1_EEviiT1_T2_lllT3_llli.numbered_sgpr, 28
	.set _ZN12_GLOBAL__N_120gemm_ex_scale_kernelILi32ELi32EfPK16rocblas_bfloat16PS1_EEviiT1_T2_lllT3_llli.num_named_barrier, 0
	.set _ZN12_GLOBAL__N_120gemm_ex_scale_kernelILi32ELi32EfPK16rocblas_bfloat16PS1_EEviiT1_T2_lllT3_llli.private_seg_size, 0
	.set _ZN12_GLOBAL__N_120gemm_ex_scale_kernelILi32ELi32EfPK16rocblas_bfloat16PS1_EEviiT1_T2_lllT3_llli.uses_vcc, 1
	.set _ZN12_GLOBAL__N_120gemm_ex_scale_kernelILi32ELi32EfPK16rocblas_bfloat16PS1_EEviiT1_T2_lllT3_llli.uses_flat_scratch, 0
	.set _ZN12_GLOBAL__N_120gemm_ex_scale_kernelILi32ELi32EfPK16rocblas_bfloat16PS1_EEviiT1_T2_lllT3_llli.has_dyn_sized_stack, 0
	.set _ZN12_GLOBAL__N_120gemm_ex_scale_kernelILi32ELi32EfPK16rocblas_bfloat16PS1_EEviiT1_T2_lllT3_llli.has_recursion, 0
	.set _ZN12_GLOBAL__N_120gemm_ex_scale_kernelILi32ELi32EfPK16rocblas_bfloat16PS1_EEviiT1_T2_lllT3_llli.has_indirect_call, 0
	.section	.AMDGPU.csdata,"",@progbits
; Kernel info:
; codeLenInByte = 444
; TotalNumSgprs: 30
; NumVgprs: 7
; ScratchSize: 0
; MemoryBound: 0
; FloatMode: 240
; IeeeMode: 1
; LDSByteSize: 0 bytes/workgroup (compile time only)
; SGPRBlocks: 0
; VGPRBlocks: 0
; NumSGPRsForWavesPerEU: 30
; NumVGPRsForWavesPerEU: 7
; Occupancy: 16
; WaveLimiterHint : 0
; COMPUTE_PGM_RSRC2:SCRATCH_EN: 0
; COMPUTE_PGM_RSRC2:USER_SGPR: 6
; COMPUTE_PGM_RSRC2:TRAP_HANDLER: 0
; COMPUTE_PGM_RSRC2:TGID_X_EN: 1
; COMPUTE_PGM_RSRC2:TGID_Y_EN: 1
; COMPUTE_PGM_RSRC2:TGID_Z_EN: 1
; COMPUTE_PGM_RSRC2:TIDIG_COMP_CNT: 1
	.section	.text._ZN12_GLOBAL__N_127rocblas_gemm_batched_kernelIfLi16ELi16ELi64ELi64ELi4ELi64ELi4ELi4ELi64ELc78ELc78EK16rocblas_bfloat16S2_S1_EEvlllT_PT11_llS5_llS3_PT12_llPT13_lli,"axG",@progbits,_ZN12_GLOBAL__N_127rocblas_gemm_batched_kernelIfLi16ELi16ELi64ELi64ELi4ELi64ELi4ELi4ELi64ELc78ELc78EK16rocblas_bfloat16S2_S1_EEvlllT_PT11_llS5_llS3_PT12_llPT13_lli,comdat
	.globl	_ZN12_GLOBAL__N_127rocblas_gemm_batched_kernelIfLi16ELi16ELi64ELi64ELi4ELi64ELi4ELi4ELi64ELc78ELc78EK16rocblas_bfloat16S2_S1_EEvlllT_PT11_llS5_llS3_PT12_llPT13_lli ; -- Begin function _ZN12_GLOBAL__N_127rocblas_gemm_batched_kernelIfLi16ELi16ELi64ELi64ELi4ELi64ELi4ELi4ELi64ELc78ELc78EK16rocblas_bfloat16S2_S1_EEvlllT_PT11_llS5_llS3_PT12_llPT13_lli
	.p2align	8
	.type	_ZN12_GLOBAL__N_127rocblas_gemm_batched_kernelIfLi16ELi16ELi64ELi64ELi4ELi64ELi4ELi4ELi64ELc78ELc78EK16rocblas_bfloat16S2_S1_EEvlllT_PT11_llS5_llS3_PT12_llPT13_lli,@function
_ZN12_GLOBAL__N_127rocblas_gemm_batched_kernelIfLi16ELi16ELi64ELi64ELi4ELi64ELi4ELi4ELi64ELc78ELc78EK16rocblas_bfloat16S2_S1_EEvlllT_PT11_llS5_llS3_PT12_llPT13_lli: ; @_ZN12_GLOBAL__N_127rocblas_gemm_batched_kernelIfLi16ELi16ELi64ELi64ELi4ELi64ELi4ELi4ELi64ELc78ELc78EK16rocblas_bfloat16S2_S1_EEvlllT_PT11_llS5_llS3_PT12_llPT13_lli
; %bb.0:
	s_load_dwordx2 s[20:21], s[4:5], 0x10
	s_mov_b32 s0, s7
	v_mov_b32_e32 v21, 0
	v_mov_b32_e32 v20, 0
	v_mov_b32_e32 v19, 0
	v_mov_b32_e32 v18, 0
	v_mov_b32_e32 v17, 0
	v_mov_b32_e32 v16, 0
	v_mov_b32_e32 v15, 0
	v_mov_b32_e32 v14, 0
	v_mov_b32_e32 v13, 0
	v_mov_b32_e32 v12, 0
	v_mov_b32_e32 v11, 0
	v_mov_b32_e32 v10, 0
	v_mov_b32_e32 v9, 0
	v_mov_b32_e32 v8, 0
	v_mov_b32_e32 v7, 0
	v_mov_b32_e32 v6, 0
	s_ashr_i32 s7, s6, 31
	s_ashr_i32 s1, s0, 31
	s_waitcnt lgkmcnt(0)
	v_cmp_lt_i64_e64 s2, s[20:21], 1
	s_lshl_b64 s[6:7], s[6:7], 6
	s_lshl_b64 s[10:11], s[0:1], 6
	s_and_b32 vcc_lo, exec_lo, s2
	s_cbranch_vccnz .LBB418_3
; %bb.1:
	v_lshlrev_b32_e32 v2, 4, v1
	s_clause 0x1
	s_load_dwordx8 s[12:19], s[4:5], 0x20
	s_load_dwordx4 s[0:3], s[4:5], 0x40
	v_and_b32_e32 v10, 3, v0
	v_mov_b32_e32 v6, 0
	v_lshlrev_b32_e32 v22, 2, v0
	v_add_nc_u32_e32 v3, v2, v0
	v_add_nc_u32_e32 v23, 0x400, v2
	v_lshlrev_b32_e32 v4, 2, v10
	v_mov_b32_e32 v14, 0
	v_mov_b32_e32 v15, 0
	v_lshrrev_b32_e32 v5, 2, v3
	v_and_b32_e32 v9, 63, v3
	v_lshrrev_b32_e32 v7, 6, v3
	v_mov_b32_e32 v16, 0
	v_mov_b32_e32 v17, 0
	v_add_co_u32 v8, s9, v5, s10
	v_lshlrev_b32_e32 v2, 2, v9
	v_add_co_ci_u32_e64 v11, null, 0, s11, s9
	v_lshl_or_b32 v12, v5, 4, v4
	s_waitcnt lgkmcnt(0)
	v_mul_lo_u32 v13, s1, v8
	v_lshl_or_b32 v24, v7, 8, v2
	v_mad_u64_u32 v[2:3], null, s14, v7, s[6:7]
	v_mul_lo_u32 v11, s0, v11
	v_mad_u64_u32 v[4:5], null, s0, v8, 0
	s_mul_i32 s9, s17, s8
	s_mul_hi_u32 s17, s16, s8
	s_mul_i32 s0, s16, s8
	s_add_i32 s1, s17, s9
	v_add_nc_u32_e32 v25, 0x400, v12
	s_lshl_b64 s[0:1], s[0:1], 1
	v_mad_u64_u32 v[7:8], null, s15, v7, v[3:4]
	v_add3_u32 v5, v5, v11, v13
	s_add_u32 s9, s12, s0
	s_addc_u32 s12, s13, s1
	s_mul_i32 s0, s3, s8
	s_mul_hi_u32 s1, s2, s8
	v_lshlrev_b64 v[3:4], 1, v[4:5]
	v_add_co_u32 v8, vcc_lo, v2, v9
	s_add_i32 s1, s1, s0
	s_mul_i32 s0, s2, s8
	v_add_co_ci_u32_e64 v9, null, 0, v7, vcc_lo
	s_lshl_b64 s[0:1], s[0:1], 1
	v_lshlrev_b32_e32 v5, 1, v10
	v_add_co_u32 v7, vcc_lo, v3, s0
	v_add_co_ci_u32_e64 v4, null, s1, v4, vcc_lo
	v_lshlrev_b64 v[2:3], 1, v[8:9]
	v_add_co_u32 v5, vcc_lo, v7, v5
	v_add_co_ci_u32_e64 v7, null, 0, v4, vcc_lo
	v_mov_b32_e32 v8, 0
	v_add_co_u32 v2, vcc_lo, s9, v2
	v_add_co_ci_u32_e64 v3, null, s12, v3, vcc_lo
	v_add_co_u32 v4, vcc_lo, s18, v5
	v_add_co_ci_u32_e64 v5, null, s19, v7, vcc_lo
	v_mov_b32_e32 v7, 0
	v_mov_b32_e32 v9, 0
	;; [unrolled: 1-line block ×10, first 2 shown]
	s_lshl_b64 s[0:1], s[14:15], 3
	s_mov_b64 s[2:3], 0
.LBB418_2:                              ; =>This Inner Loop Header: Depth=1
	global_load_ushort v26, v[2:3], off
	global_load_ushort v27, v[4:5], off
	s_add_u32 s2, s2, 4
	s_addc_u32 s3, s3, 0
	v_add_co_u32 v2, vcc_lo, v2, s0
	v_cmp_lt_i64_e64 s9, s[2:3], s[20:21]
	v_add_co_ci_u32_e64 v3, null, s1, v3, vcc_lo
	v_add_co_u32 v4, vcc_lo, v4, 8
	v_add_co_ci_u32_e64 v5, null, 0, v5, vcc_lo
	s_and_b32 vcc_lo, exec_lo, s9
	s_waitcnt vmcnt(1)
	v_lshlrev_b32_e32 v26, 16, v26
	s_waitcnt vmcnt(0)
	v_lshlrev_b32_e32 v27, 16, v27
	ds_write_b32 v24, v26
	ds_write_b32 v25, v27
	s_waitcnt lgkmcnt(0)
	s_barrier
	buffer_gl0_inv
	ds_read_b128 v[26:29], v23
	ds_read2_b32 v[42:43], v22 offset1:16
	ds_read2_b32 v[44:45], v22 offset0:32 offset1:48
	ds_read_b128 v[30:33], v23 offset:256
	ds_read_b128 v[34:37], v23 offset:512
	;; [unrolled: 1-line block ×3, first 2 shown]
	ds_read2_b32 v[46:47], v22 offset0:64 offset1:80
	ds_read2_b32 v[48:49], v22 offset0:96 offset1:112
	;; [unrolled: 1-line block ×6, first 2 shown]
	s_waitcnt lgkmcnt(0)
	s_barrier
	buffer_gl0_inv
	v_fmac_f32_e32 v21, v42, v26
	v_fmac_f32_e32 v20, v43, v26
	;; [unrolled: 1-line block ×64, first 2 shown]
	s_cbranch_vccnz .LBB418_2
.LBB418_3:
	s_clause 0x3
	s_load_dwordx4 s[0:3], s[4:5], 0x78
	s_load_dword s9, s[4:5], 0x50
	s_load_dwordx8 s[12:19], s[4:5], 0x58
	s_load_dword s4, s[4:5], 0x18
	v_add_co_u32 v22, s5, s10, v1
	v_add_co_ci_u32_e64 v23, null, s11, 0, s5
	s_waitcnt lgkmcnt(0)
	s_mul_i32 s3, s3, s8
	s_mul_hi_u32 s5, s2, s8
	s_mul_i32 s2, s2, s8
	s_add_i32 s3, s5, s3
	v_cmp_neq_f32_e64 s10, s9, 0
	v_add_co_u32 v0, s5, s6, v0
	s_lshl_b64 s[2:3], s[2:3], 1
	v_add_co_ci_u32_e64 v1, null, s7, 0, s5
	s_add_u32 s5, s18, s2
	s_addc_u32 s6, s19, s3
	s_and_b32 vcc_lo, exec_lo, s10
	s_cbranch_vccnz .LBB418_196
; %bb.4:
	v_mul_f32_e32 v2, s4, v21
	s_mov_b32 s2, exec_lo
                                        ; implicit-def: $vgpr26
	v_and_b32_e32 v3, 0x7f800000, v2
	v_cmpx_ne_u32_e32 0x7f800000, v3
	s_xor_b32 s2, exec_lo, s2
; %bb.5:
	v_bfe_u32 v3, v2, 16, 1
	v_add3_u32 v26, v2, v3, 0x7fff
                                        ; implicit-def: $vgpr2
; %bb.6:
	s_andn2_saveexec_b32 s2, s2
; %bb.7:
	v_mov_b32_e32 v3, 0
	v_or_b32_e32 v4, 0x10000, v2
	v_cmp_eq_u32_sdwa vcc_lo, v2, v3 src0_sel:WORD_0 src1_sel:DWORD
	v_cndmask_b32_e32 v26, v4, v2, vcc_lo
; %bb.8:
	s_or_b32 exec_lo, exec_lo, s2
	v_mul_lo_u32 v4, v23, s0
	v_mul_lo_u32 v5, v22, s1
	v_mad_u64_u32 v[2:3], null, v22, s0, 0
	v_mul_f32_e32 v27, s4, v20
	v_and_b32_e32 v28, 0x7f800000, v27
	v_add3_u32 v3, v3, v5, v4
	v_lshlrev_b64 v[4:5], 1, v[2:3]
	v_lshlrev_b64 v[2:3], 1, v[0:1]
	v_add_co_u32 v24, vcc_lo, s5, v4
	v_add_co_ci_u32_e64 v25, null, s6, v5, vcc_lo
	v_add_co_u32 v4, vcc_lo, v24, v2
	v_add_co_ci_u32_e64 v5, null, v25, v3, vcc_lo
	v_cmp_ne_u32_e32 vcc_lo, 0x7f800000, v28
                                        ; implicit-def: $vgpr28
	global_store_short_d16_hi v[4:5], v26, off
	s_and_saveexec_b32 s2, vcc_lo
	s_xor_b32 s2, exec_lo, s2
; %bb.9:
	v_bfe_u32 v26, v27, 16, 1
	v_add3_u32 v28, v27, v26, 0x7fff
                                        ; implicit-def: $vgpr27
; %bb.10:
	s_andn2_saveexec_b32 s2, s2
; %bb.11:
	v_mov_b32_e32 v26, 0
	v_or_b32_e32 v28, 0x10000, v27
	v_cmp_eq_u32_sdwa vcc_lo, v27, v26 src0_sel:WORD_0 src1_sel:DWORD
	v_cndmask_b32_e32 v28, v28, v27, vcc_lo
; %bb.12:
	s_or_b32 exec_lo, exec_lo, s2
	v_mul_f32_e32 v26, s4, v19
	global_store_short_d16_hi v[4:5], v28, off offset:32
	v_and_b32_e32 v27, 0x7f800000, v26
	v_cmp_ne_u32_e32 vcc_lo, 0x7f800000, v27
                                        ; implicit-def: $vgpr27
	s_and_saveexec_b32 s2, vcc_lo
	s_xor_b32 s2, exec_lo, s2
; %bb.13:
	v_bfe_u32 v27, v26, 16, 1
	v_add3_u32 v27, v26, v27, 0x7fff
                                        ; implicit-def: $vgpr26
; %bb.14:
	s_andn2_saveexec_b32 s2, s2
; %bb.15:
	v_mov_b32_e32 v27, 0
	v_or_b32_e32 v28, 0x10000, v26
	v_cmp_eq_u32_sdwa vcc_lo, v26, v27 src0_sel:WORD_0 src1_sel:DWORD
	v_cndmask_b32_e32 v27, v28, v26, vcc_lo
; %bb.16:
	s_or_b32 exec_lo, exec_lo, s2
	v_mul_f32_e32 v26, s4, v18
	global_store_short_d16_hi v[4:5], v27, off offset:64
	v_and_b32_e32 v28, 0x7f800000, v26
	v_cmp_ne_u32_e32 vcc_lo, 0x7f800000, v28
                                        ; implicit-def: $vgpr28
	s_and_saveexec_b32 s2, vcc_lo
	s_xor_b32 s2, exec_lo, s2
; %bb.17:
	v_bfe_u32 v27, v26, 16, 1
	v_add3_u32 v28, v26, v27, 0x7fff
                                        ; implicit-def: $vgpr26
; %bb.18:
	s_andn2_saveexec_b32 s2, s2
; %bb.19:
	v_mov_b32_e32 v27, 0
	v_or_b32_e32 v28, 0x10000, v26
	v_cmp_eq_u32_sdwa vcc_lo, v26, v27 src0_sel:WORD_0 src1_sel:DWORD
	v_cndmask_b32_e32 v28, v28, v26, vcc_lo
; %bb.20:
	s_or_b32 exec_lo, exec_lo, s2
	v_mul_f32_e32 v27, s4, v17
	global_store_short_d16_hi v[4:5], v28, off offset:96
	v_and_b32_e32 v26, 0x7f800000, v27
	v_cmp_ne_u32_e32 vcc_lo, 0x7f800000, v26
                                        ; implicit-def: $vgpr26
	s_and_saveexec_b32 s2, vcc_lo
	s_xor_b32 s2, exec_lo, s2
; %bb.21:
	v_bfe_u32 v4, v27, 16, 1
	v_add3_u32 v26, v27, v4, 0x7fff
                                        ; implicit-def: $vgpr27
; %bb.22:
	s_andn2_saveexec_b32 s2, s2
; %bb.23:
	v_mov_b32_e32 v4, 0
	v_or_b32_e32 v5, 0x10000, v27
	v_cmp_eq_u32_sdwa vcc_lo, v27, v4 src0_sel:WORD_0 src1_sel:DWORD
	v_cndmask_b32_e32 v26, v5, v27, vcc_lo
; %bb.24:
	s_or_b32 exec_lo, exec_lo, s2
	v_mul_f32_e32 v27, s4, v16
	s_lshl_b64 s[2:3], s[0:1], 5
	v_add_co_u32 v24, vcc_lo, v24, s2
	v_add_co_ci_u32_e64 v25, null, s3, v25, vcc_lo
	v_and_b32_e32 v28, 0x7f800000, v27
	v_add_co_u32 v4, vcc_lo, v24, v2
	v_add_co_ci_u32_e64 v5, null, v25, v3, vcc_lo
	v_cmp_ne_u32_e32 vcc_lo, 0x7f800000, v28
                                        ; implicit-def: $vgpr28
	global_store_short_d16_hi v[4:5], v26, off
	s_and_saveexec_b32 s2, vcc_lo
	s_xor_b32 s2, exec_lo, s2
; %bb.25:
	v_bfe_u32 v26, v27, 16, 1
	v_add3_u32 v28, v27, v26, 0x7fff
                                        ; implicit-def: $vgpr27
; %bb.26:
	s_andn2_saveexec_b32 s2, s2
; %bb.27:
	v_mov_b32_e32 v26, 0
	v_or_b32_e32 v28, 0x10000, v27
	v_cmp_eq_u32_sdwa vcc_lo, v27, v26 src0_sel:WORD_0 src1_sel:DWORD
	v_cndmask_b32_e32 v28, v28, v27, vcc_lo
; %bb.28:
	s_or_b32 exec_lo, exec_lo, s2
	v_mul_f32_e32 v26, s4, v15
	global_store_short_d16_hi v[4:5], v28, off offset:32
	v_and_b32_e32 v27, 0x7f800000, v26
	v_cmp_ne_u32_e32 vcc_lo, 0x7f800000, v27
                                        ; implicit-def: $vgpr27
	s_and_saveexec_b32 s2, vcc_lo
	s_xor_b32 s2, exec_lo, s2
; %bb.29:
	v_bfe_u32 v27, v26, 16, 1
	v_add3_u32 v27, v26, v27, 0x7fff
                                        ; implicit-def: $vgpr26
; %bb.30:
	s_andn2_saveexec_b32 s2, s2
; %bb.31:
	v_mov_b32_e32 v27, 0
	v_or_b32_e32 v28, 0x10000, v26
	v_cmp_eq_u32_sdwa vcc_lo, v26, v27 src0_sel:WORD_0 src1_sel:DWORD
	v_cndmask_b32_e32 v27, v28, v26, vcc_lo
; %bb.32:
	s_or_b32 exec_lo, exec_lo, s2
	v_mul_f32_e32 v26, s4, v14
	global_store_short_d16_hi v[4:5], v27, off offset:64
	v_and_b32_e32 v28, 0x7f800000, v26
	v_cmp_ne_u32_e32 vcc_lo, 0x7f800000, v28
                                        ; implicit-def: $vgpr28
	s_and_saveexec_b32 s2, vcc_lo
	s_xor_b32 s2, exec_lo, s2
; %bb.33:
	v_bfe_u32 v27, v26, 16, 1
	v_add3_u32 v28, v26, v27, 0x7fff
                                        ; implicit-def: $vgpr26
; %bb.34:
	s_andn2_saveexec_b32 s2, s2
; %bb.35:
	v_mov_b32_e32 v27, 0
	v_or_b32_e32 v28, 0x10000, v26
	v_cmp_eq_u32_sdwa vcc_lo, v26, v27 src0_sel:WORD_0 src1_sel:DWORD
	v_cndmask_b32_e32 v28, v28, v26, vcc_lo
; %bb.36:
	s_or_b32 exec_lo, exec_lo, s2
	v_mul_f32_e32 v27, s4, v13
	global_store_short_d16_hi v[4:5], v28, off offset:96
	v_and_b32_e32 v26, 0x7f800000, v27
	v_cmp_ne_u32_e32 vcc_lo, 0x7f800000, v26
                                        ; implicit-def: $vgpr26
	s_and_saveexec_b32 s2, vcc_lo
	s_xor_b32 s2, exec_lo, s2
; %bb.37:
	v_bfe_u32 v4, v27, 16, 1
	v_add3_u32 v26, v27, v4, 0x7fff
                                        ; implicit-def: $vgpr27
; %bb.38:
	s_or_saveexec_b32 s7, s2
	s_lshl_b64 s[2:3], s[0:1], 4
	s_xor_b32 exec_lo, exec_lo, s7
; %bb.39:
	v_mov_b32_e32 v4, 0
	v_or_b32_e32 v5, 0x10000, v27
	v_cmp_eq_u32_sdwa vcc_lo, v27, v4 src0_sel:WORD_0 src1_sel:DWORD
	v_cndmask_b32_e32 v26, v5, v27, vcc_lo
; %bb.40:
	s_or_b32 exec_lo, exec_lo, s7
	v_mul_f32_e32 v27, s4, v12
	s_lshl_b64 s[2:3], s[2:3], 1
	v_add_co_u32 v24, vcc_lo, v24, s2
	v_add_co_ci_u32_e64 v25, null, s3, v25, vcc_lo
	v_and_b32_e32 v28, 0x7f800000, v27
	v_add_co_u32 v4, vcc_lo, v24, v2
	v_add_co_ci_u32_e64 v5, null, v25, v3, vcc_lo
	v_cmp_ne_u32_e32 vcc_lo, 0x7f800000, v28
                                        ; implicit-def: $vgpr28
	global_store_short_d16_hi v[4:5], v26, off
	s_and_saveexec_b32 s7, vcc_lo
	s_xor_b32 s7, exec_lo, s7
; %bb.41:
	v_bfe_u32 v26, v27, 16, 1
	v_add3_u32 v28, v27, v26, 0x7fff
                                        ; implicit-def: $vgpr27
; %bb.42:
	s_andn2_saveexec_b32 s7, s7
; %bb.43:
	v_mov_b32_e32 v26, 0
	v_or_b32_e32 v28, 0x10000, v27
	v_cmp_eq_u32_sdwa vcc_lo, v27, v26 src0_sel:WORD_0 src1_sel:DWORD
	v_cndmask_b32_e32 v28, v28, v27, vcc_lo
; %bb.44:
	s_or_b32 exec_lo, exec_lo, s7
	v_mul_f32_e32 v26, s4, v11
	global_store_short_d16_hi v[4:5], v28, off offset:32
	v_and_b32_e32 v27, 0x7f800000, v26
	v_cmp_ne_u32_e32 vcc_lo, 0x7f800000, v27
                                        ; implicit-def: $vgpr27
	s_and_saveexec_b32 s7, vcc_lo
	s_xor_b32 s7, exec_lo, s7
; %bb.45:
	v_bfe_u32 v27, v26, 16, 1
	v_add3_u32 v27, v26, v27, 0x7fff
                                        ; implicit-def: $vgpr26
; %bb.46:
	s_andn2_saveexec_b32 s7, s7
; %bb.47:
	v_mov_b32_e32 v27, 0
	v_or_b32_e32 v28, 0x10000, v26
	v_cmp_eq_u32_sdwa vcc_lo, v26, v27 src0_sel:WORD_0 src1_sel:DWORD
	v_cndmask_b32_e32 v27, v28, v26, vcc_lo
; %bb.48:
	s_or_b32 exec_lo, exec_lo, s7
	v_mul_f32_e32 v26, s4, v10
	s_mov_b32 s7, exec_lo
	global_store_short_d16_hi v[4:5], v27, off offset:64
                                        ; implicit-def: $vgpr27
	v_and_b32_e32 v28, 0x7f800000, v26
	v_cmpx_ne_u32_e32 0x7f800000, v28
	s_xor_b32 s7, exec_lo, s7
; %bb.49:
	v_bfe_u32 v27, v26, 16, 1
	v_add3_u32 v27, v26, v27, 0x7fff
                                        ; implicit-def: $vgpr26
; %bb.50:
	s_andn2_saveexec_b32 s7, s7
; %bb.51:
	v_mov_b32_e32 v27, 0
	v_or_b32_e32 v28, 0x10000, v26
	v_cmp_eq_u32_sdwa vcc_lo, v26, v27 src0_sel:WORD_0 src1_sel:DWORD
	v_cndmask_b32_e32 v27, v28, v26, vcc_lo
; %bb.52:
	s_or_b32 exec_lo, exec_lo, s7
	v_mul_f32_e32 v26, s4, v9
	s_mov_b32 s7, exec_lo
	global_store_short_d16_hi v[4:5], v27, off offset:96
                                        ; implicit-def: $vgpr4
	v_and_b32_e32 v28, 0x7f800000, v26
	v_cmpx_ne_u32_e32 0x7f800000, v28
	s_xor_b32 s7, exec_lo, s7
; %bb.53:
	v_bfe_u32 v4, v26, 16, 1
	v_add3_u32 v4, v26, v4, 0x7fff
                                        ; implicit-def: $vgpr26
; %bb.54:
	s_andn2_saveexec_b32 s7, s7
; %bb.55:
	v_mov_b32_e32 v4, 0
	v_or_b32_e32 v5, 0x10000, v26
	v_cmp_eq_u32_sdwa vcc_lo, v26, v4 src0_sel:WORD_0 src1_sel:DWORD
	v_cndmask_b32_e32 v4, v5, v26, vcc_lo
; %bb.56:
	s_or_b32 exec_lo, exec_lo, s7
	v_add_co_u32 v24, vcc_lo, v24, s2
	v_mul_f32_e32 v5, s4, v8
	v_add_co_ci_u32_e64 v25, null, s3, v25, vcc_lo
	v_add_co_u32 v2, vcc_lo, v24, v2
	v_and_b32_e32 v26, 0x7f800000, v5
	v_add_co_ci_u32_e64 v3, null, v25, v3, vcc_lo
	s_mov_b32 s2, exec_lo
                                        ; implicit-def: $vgpr24
	global_store_short_d16_hi v[2:3], v4, off
	v_cmpx_ne_u32_e32 0x7f800000, v26
	s_xor_b32 s2, exec_lo, s2
; %bb.57:
	v_bfe_u32 v4, v5, 16, 1
	v_add3_u32 v24, v5, v4, 0x7fff
                                        ; implicit-def: $vgpr5
; %bb.58:
	s_andn2_saveexec_b32 s2, s2
; %bb.59:
	v_mov_b32_e32 v4, 0
	v_or_b32_e32 v24, 0x10000, v5
	v_cmp_eq_u32_sdwa vcc_lo, v5, v4 src0_sel:WORD_0 src1_sel:DWORD
	v_cndmask_b32_e32 v24, v24, v5, vcc_lo
; %bb.60:
	s_or_b32 exec_lo, exec_lo, s2
	v_mul_f32_e32 v4, s4, v7
	global_store_short_d16_hi v[2:3], v24, off offset:32
	v_and_b32_e32 v5, 0x7f800000, v4
	v_cmp_ne_u32_e32 vcc_lo, 0x7f800000, v5
                                        ; implicit-def: $vgpr5
	s_and_saveexec_b32 s2, vcc_lo
	s_xor_b32 s2, exec_lo, s2
; %bb.61:
	v_bfe_u32 v5, v4, 16, 1
	v_add3_u32 v5, v4, v5, 0x7fff
                                        ; implicit-def: $vgpr4
; %bb.62:
	s_andn2_saveexec_b32 s2, s2
; %bb.63:
	v_mov_b32_e32 v5, 0
	v_or_b32_e32 v24, 0x10000, v4
	v_cmp_eq_u32_sdwa vcc_lo, v4, v5 src0_sel:WORD_0 src1_sel:DWORD
	v_cndmask_b32_e32 v5, v24, v4, vcc_lo
; %bb.64:
	s_or_b32 exec_lo, exec_lo, s2
	v_mul_f32_e32 v4, s4, v6
	s_mov_b32 s2, exec_lo
	global_store_short_d16_hi v[2:3], v5, off offset:64
                                        ; implicit-def: $vgpr5
	v_and_b32_e32 v24, 0x7f800000, v4
	v_cmpx_ne_u32_e32 0x7f800000, v24
	s_xor_b32 s2, exec_lo, s2
; %bb.65:
	v_bfe_u32 v5, v4, 16, 1
	v_add3_u32 v5, v4, v5, 0x7fff
                                        ; implicit-def: $vgpr4
; %bb.66:
	s_andn2_saveexec_b32 s2, s2
; %bb.67:
	v_mov_b32_e32 v5, 0
	v_or_b32_e32 v24, 0x10000, v4
	v_cmp_eq_u32_sdwa vcc_lo, v4, v5 src0_sel:WORD_0 src1_sel:DWORD
	v_cndmask_b32_e32 v5, v24, v4, vcc_lo
; %bb.68:
	s_or_b32 exec_lo, exec_lo, s2
	global_store_short_d16_hi v[2:3], v5, off offset:96
	s_branch .LBB418_197
.LBB418_69:
	v_mul_lo_u32 v4, v23, s14
	v_mul_lo_u32 v5, v22, s15
	v_mad_u64_u32 v[2:3], null, v22, s14, 0
	s_mul_i32 s3, s17, s8
	s_mul_hi_u32 s7, s16, s8
	s_mul_i32 s2, s16, s8
	s_add_i32 s3, s7, s3
	v_lshlrev_b64 v[0:1], 1, v[0:1]
	s_lshl_b64 s[2:3], s[2:3], 1
	v_add3_u32 v3, v3, v5, v4
	s_add_u32 s2, s12, s2
	s_addc_u32 s3, s13, s3
	v_lshlrev_b64 v[2:3], 1, v[2:3]
	v_add_co_u32 v24, vcc_lo, s2, v2
	v_add_co_ci_u32_e64 v25, null, s3, v3, vcc_lo
	v_add_co_u32 v2, vcc_lo, v24, v0
	v_add_co_ci_u32_e64 v3, null, v25, v1, vcc_lo
	global_load_ushort v4, v[2:3], off
	s_waitcnt vmcnt(0)
	v_lshlrev_b32_e32 v4, 16, v4
	v_mul_f32_e32 v4, s9, v4
	v_and_b32_e32 v5, 0x7f800000, v4
	v_cmp_ne_u32_e32 vcc_lo, 0x7f800000, v5
                                        ; implicit-def: $vgpr5
	s_and_saveexec_b32 s2, vcc_lo
	s_xor_b32 s2, exec_lo, s2
; %bb.70:
	v_bfe_u32 v5, v4, 16, 1
	v_add3_u32 v5, v4, v5, 0x7fff
                                        ; implicit-def: $vgpr4
; %bb.71:
	s_andn2_saveexec_b32 s2, s2
; %bb.72:
	v_mov_b32_e32 v5, 0
	v_or_b32_e32 v26, 0x10000, v4
	v_cmp_eq_u32_sdwa vcc_lo, v4, v5 src0_sel:WORD_0 src1_sel:DWORD
	v_cndmask_b32_e32 v5, v26, v4, vcc_lo
; %bb.73:
	s_or_b32 exec_lo, exec_lo, s2
	v_and_b32_e32 v4, 0xffff0000, v5
	s_mov_b32 s2, exec_lo
                                        ; implicit-def: $vgpr26
	v_fmac_f32_e32 v4, s4, v21
	v_and_b32_e32 v5, 0x7f800000, v4
	v_cmpx_ne_u32_e32 0x7f800000, v5
	s_xor_b32 s2, exec_lo, s2
; %bb.74:
	v_bfe_u32 v5, v4, 16, 1
	v_add3_u32 v26, v4, v5, 0x7fff
                                        ; implicit-def: $vgpr4
; %bb.75:
	s_andn2_saveexec_b32 s2, s2
; %bb.76:
	v_mov_b32_e32 v5, 0
	v_or_b32_e32 v21, 0x10000, v4
	v_cmp_eq_u32_sdwa vcc_lo, v4, v5 src0_sel:WORD_0 src1_sel:DWORD
	v_cndmask_b32_e32 v26, v21, v4, vcc_lo
; %bb.77:
	s_or_b32 exec_lo, exec_lo, s2
	v_mul_lo_u32 v21, v23, s0
	v_mul_lo_u32 v23, v22, s1
	v_mad_u64_u32 v[4:5], null, v22, s0, 0
	v_add3_u32 v5, v5, v23, v21
	v_lshlrev_b64 v[4:5], 1, v[4:5]
	v_add_co_u32 v21, vcc_lo, s5, v4
	v_add_co_ci_u32_e64 v22, null, s6, v5, vcc_lo
	v_add_co_u32 v4, vcc_lo, v21, v0
	v_add_co_ci_u32_e64 v5, null, v22, v1, vcc_lo
	global_store_short_d16_hi v[4:5], v26, off
	global_load_ushort v23, v[2:3], off offset:32
	s_waitcnt vmcnt(0)
	v_lshlrev_b32_e32 v23, 16, v23
	v_mul_f32_e32 v23, s9, v23
	v_and_b32_e32 v26, 0x7f800000, v23
	v_cmp_ne_u32_e32 vcc_lo, 0x7f800000, v26
                                        ; implicit-def: $vgpr26
	s_and_saveexec_b32 s2, vcc_lo
	s_xor_b32 s2, exec_lo, s2
; %bb.78:
	v_bfe_u32 v26, v23, 16, 1
	v_add3_u32 v26, v23, v26, 0x7fff
                                        ; implicit-def: $vgpr23
; %bb.79:
	s_andn2_saveexec_b32 s2, s2
; %bb.80:
	v_mov_b32_e32 v26, 0
	v_or_b32_e32 v27, 0x10000, v23
	v_cmp_eq_u32_sdwa vcc_lo, v23, v26 src0_sel:WORD_0 src1_sel:DWORD
	v_cndmask_b32_e32 v26, v27, v23, vcc_lo
; %bb.81:
	s_or_b32 exec_lo, exec_lo, s2
	v_and_b32_e32 v23, 0xffff0000, v26
	v_fmac_f32_e32 v23, s4, v20
	v_and_b32_e32 v20, 0x7f800000, v23
	v_cmp_ne_u32_e32 vcc_lo, 0x7f800000, v20
                                        ; implicit-def: $vgpr20
	s_and_saveexec_b32 s2, vcc_lo
	s_xor_b32 s2, exec_lo, s2
; %bb.82:
	v_bfe_u32 v20, v23, 16, 1
	v_add3_u32 v20, v23, v20, 0x7fff
                                        ; implicit-def: $vgpr23
; %bb.83:
	s_andn2_saveexec_b32 s2, s2
; %bb.84:
	v_mov_b32_e32 v20, 0
	v_or_b32_e32 v26, 0x10000, v23
	v_cmp_eq_u32_sdwa vcc_lo, v23, v20 src0_sel:WORD_0 src1_sel:DWORD
	v_cndmask_b32_e32 v20, v26, v23, vcc_lo
; %bb.85:
	s_or_b32 exec_lo, exec_lo, s2
	global_store_short_d16_hi v[4:5], v20, off offset:32
	global_load_ushort v20, v[2:3], off offset:64
	s_waitcnt vmcnt(0)
	v_lshlrev_b32_e32 v20, 16, v20
	v_mul_f32_e32 v20, s9, v20
	v_and_b32_e32 v23, 0x7f800000, v20
	v_cmp_ne_u32_e32 vcc_lo, 0x7f800000, v23
                                        ; implicit-def: $vgpr23
	s_and_saveexec_b32 s2, vcc_lo
	s_xor_b32 s2, exec_lo, s2
; %bb.86:
	v_bfe_u32 v23, v20, 16, 1
	v_add3_u32 v23, v20, v23, 0x7fff
                                        ; implicit-def: $vgpr20
; %bb.87:
	s_andn2_saveexec_b32 s2, s2
; %bb.88:
	v_mov_b32_e32 v23, 0
	v_or_b32_e32 v26, 0x10000, v20
	v_cmp_eq_u32_sdwa vcc_lo, v20, v23 src0_sel:WORD_0 src1_sel:DWORD
	v_cndmask_b32_e32 v23, v26, v20, vcc_lo
; %bb.89:
	s_or_b32 exec_lo, exec_lo, s2
	v_and_b32_e32 v20, 0xffff0000, v23
	v_fmac_f32_e32 v20, s4, v19
	v_and_b32_e32 v19, 0x7f800000, v20
	v_cmp_ne_u32_e32 vcc_lo, 0x7f800000, v19
                                        ; implicit-def: $vgpr19
	s_and_saveexec_b32 s2, vcc_lo
	s_xor_b32 s2, exec_lo, s2
; %bb.90:
	v_bfe_u32 v19, v20, 16, 1
	v_add3_u32 v19, v20, v19, 0x7fff
                                        ; implicit-def: $vgpr20
; %bb.91:
	s_andn2_saveexec_b32 s2, s2
; %bb.92:
	v_mov_b32_e32 v19, 0
	v_or_b32_e32 v23, 0x10000, v20
	v_cmp_eq_u32_sdwa vcc_lo, v20, v19 src0_sel:WORD_0 src1_sel:DWORD
	v_cndmask_b32_e32 v19, v23, v20, vcc_lo
; %bb.93:
	s_or_b32 exec_lo, exec_lo, s2
	global_store_short_d16_hi v[4:5], v19, off offset:64
	global_load_ushort v2, v[2:3], off offset:96
	s_waitcnt vmcnt(0)
	v_lshlrev_b32_e32 v2, 16, v2
	v_mul_f32_e32 v2, s9, v2
	v_and_b32_e32 v3, 0x7f800000, v2
	v_cmp_ne_u32_e32 vcc_lo, 0x7f800000, v3
                                        ; implicit-def: $vgpr3
	s_and_saveexec_b32 s2, vcc_lo
	s_xor_b32 s2, exec_lo, s2
; %bb.94:
	v_bfe_u32 v3, v2, 16, 1
	v_add3_u32 v3, v2, v3, 0x7fff
                                        ; implicit-def: $vgpr2
; %bb.95:
	s_andn2_saveexec_b32 s2, s2
; %bb.96:
	v_mov_b32_e32 v3, 0
	v_or_b32_e32 v19, 0x10000, v2
	v_cmp_eq_u32_sdwa vcc_lo, v2, v3 src0_sel:WORD_0 src1_sel:DWORD
	v_cndmask_b32_e32 v3, v19, v2, vcc_lo
; %bb.97:
	s_or_b32 exec_lo, exec_lo, s2
	v_and_b32_e32 v2, 0xffff0000, v3
	s_mov_b32 s2, exec_lo
	v_fmac_f32_e32 v2, s4, v18
                                        ; implicit-def: $vgpr18
	v_and_b32_e32 v3, 0x7f800000, v2
	v_cmpx_ne_u32_e32 0x7f800000, v3
	s_xor_b32 s2, exec_lo, s2
; %bb.98:
	v_bfe_u32 v3, v2, 16, 1
	v_add3_u32 v18, v2, v3, 0x7fff
                                        ; implicit-def: $vgpr2
; %bb.99:
	s_andn2_saveexec_b32 s2, s2
; %bb.100:
	v_mov_b32_e32 v3, 0
	v_or_b32_e32 v18, 0x10000, v2
	v_cmp_eq_u32_sdwa vcc_lo, v2, v3 src0_sel:WORD_0 src1_sel:DWORD
	v_cndmask_b32_e32 v18, v18, v2, vcc_lo
; %bb.101:
	s_or_b32 exec_lo, exec_lo, s2
	s_lshl_b64 s[2:3], s[14:15], 5
	global_store_short_d16_hi v[4:5], v18, off offset:96
	v_add_co_u32 v19, vcc_lo, v24, s2
	v_add_co_ci_u32_e64 v20, null, s3, v25, vcc_lo
	v_add_co_u32 v2, vcc_lo, v19, v0
	v_add_co_ci_u32_e64 v3, null, v20, v1, vcc_lo
	global_load_ushort v4, v[2:3], off
	s_waitcnt vmcnt(0)
	v_lshlrev_b32_e32 v4, 16, v4
	v_mul_f32_e32 v4, s9, v4
	v_and_b32_e32 v5, 0x7f800000, v4
	v_cmp_ne_u32_e32 vcc_lo, 0x7f800000, v5
                                        ; implicit-def: $vgpr5
	s_and_saveexec_b32 s2, vcc_lo
	s_xor_b32 s2, exec_lo, s2
; %bb.102:
	v_bfe_u32 v5, v4, 16, 1
	v_add3_u32 v5, v4, v5, 0x7fff
                                        ; implicit-def: $vgpr4
; %bb.103:
	s_andn2_saveexec_b32 s2, s2
; %bb.104:
	v_mov_b32_e32 v5, 0
	v_or_b32_e32 v18, 0x10000, v4
	v_cmp_eq_u32_sdwa vcc_lo, v4, v5 src0_sel:WORD_0 src1_sel:DWORD
	v_cndmask_b32_e32 v5, v18, v4, vcc_lo
; %bb.105:
	s_or_b32 exec_lo, exec_lo, s2
	v_and_b32_e32 v4, 0xffff0000, v5
	s_mov_b32 s2, exec_lo
                                        ; implicit-def: $vgpr23
	v_fmac_f32_e32 v4, s4, v17
	v_and_b32_e32 v5, 0x7f800000, v4
	v_cmpx_ne_u32_e32 0x7f800000, v5
	s_xor_b32 s2, exec_lo, s2
; %bb.106:
	v_bfe_u32 v5, v4, 16, 1
	v_add3_u32 v23, v4, v5, 0x7fff
                                        ; implicit-def: $vgpr4
; %bb.107:
	s_andn2_saveexec_b32 s2, s2
; %bb.108:
	v_mov_b32_e32 v5, 0
	v_or_b32_e32 v17, 0x10000, v4
	v_cmp_eq_u32_sdwa vcc_lo, v4, v5 src0_sel:WORD_0 src1_sel:DWORD
	v_cndmask_b32_e32 v23, v17, v4, vcc_lo
; %bb.109:
	s_or_b32 exec_lo, exec_lo, s2
	s_lshl_b64 s[2:3], s[0:1], 5
	v_add_co_u32 v17, vcc_lo, v21, s2
	v_add_co_ci_u32_e64 v18, null, s3, v22, vcc_lo
	v_add_co_u32 v4, vcc_lo, v17, v0
	v_add_co_ci_u32_e64 v5, null, v18, v1, vcc_lo
	global_store_short_d16_hi v[4:5], v23, off
	global_load_ushort v21, v[2:3], off offset:32
	s_waitcnt vmcnt(0)
	v_lshlrev_b32_e32 v21, 16, v21
	v_mul_f32_e32 v21, s9, v21
	v_and_b32_e32 v22, 0x7f800000, v21
	v_cmp_ne_u32_e32 vcc_lo, 0x7f800000, v22
                                        ; implicit-def: $vgpr22
	s_and_saveexec_b32 s2, vcc_lo
	s_xor_b32 s2, exec_lo, s2
; %bb.110:
	v_bfe_u32 v22, v21, 16, 1
	v_add3_u32 v22, v21, v22, 0x7fff
                                        ; implicit-def: $vgpr21
; %bb.111:
	s_andn2_saveexec_b32 s2, s2
; %bb.112:
	v_mov_b32_e32 v22, 0
	v_or_b32_e32 v23, 0x10000, v21
	v_cmp_eq_u32_sdwa vcc_lo, v21, v22 src0_sel:WORD_0 src1_sel:DWORD
	v_cndmask_b32_e32 v22, v23, v21, vcc_lo
; %bb.113:
	s_or_b32 exec_lo, exec_lo, s2
	v_and_b32_e32 v21, 0xffff0000, v22
	v_fmac_f32_e32 v21, s4, v16
	v_and_b32_e32 v16, 0x7f800000, v21
	v_cmp_ne_u32_e32 vcc_lo, 0x7f800000, v16
                                        ; implicit-def: $vgpr16
	s_and_saveexec_b32 s2, vcc_lo
	s_xor_b32 s2, exec_lo, s2
; %bb.114:
	v_bfe_u32 v16, v21, 16, 1
	v_add3_u32 v16, v21, v16, 0x7fff
                                        ; implicit-def: $vgpr21
; %bb.115:
	s_andn2_saveexec_b32 s2, s2
; %bb.116:
	v_mov_b32_e32 v16, 0
	v_or_b32_e32 v22, 0x10000, v21
	v_cmp_eq_u32_sdwa vcc_lo, v21, v16 src0_sel:WORD_0 src1_sel:DWORD
	v_cndmask_b32_e32 v16, v22, v21, vcc_lo
; %bb.117:
	s_or_b32 exec_lo, exec_lo, s2
	global_store_short_d16_hi v[4:5], v16, off offset:32
	global_load_ushort v16, v[2:3], off offset:64
	s_waitcnt vmcnt(0)
	v_lshlrev_b32_e32 v16, 16, v16
	v_mul_f32_e32 v16, s9, v16
	v_and_b32_e32 v21, 0x7f800000, v16
	v_cmp_ne_u32_e32 vcc_lo, 0x7f800000, v21
                                        ; implicit-def: $vgpr21
	s_and_saveexec_b32 s2, vcc_lo
	s_xor_b32 s2, exec_lo, s2
; %bb.118:
	v_bfe_u32 v21, v16, 16, 1
	v_add3_u32 v21, v16, v21, 0x7fff
                                        ; implicit-def: $vgpr16
; %bb.119:
	s_andn2_saveexec_b32 s2, s2
; %bb.120:
	v_mov_b32_e32 v21, 0
	v_or_b32_e32 v22, 0x10000, v16
	v_cmp_eq_u32_sdwa vcc_lo, v16, v21 src0_sel:WORD_0 src1_sel:DWORD
	v_cndmask_b32_e32 v21, v22, v16, vcc_lo
; %bb.121:
	s_or_b32 exec_lo, exec_lo, s2
	v_and_b32_e32 v16, 0xffff0000, v21
	v_fmac_f32_e32 v16, s4, v15
	v_and_b32_e32 v15, 0x7f800000, v16
	v_cmp_ne_u32_e32 vcc_lo, 0x7f800000, v15
                                        ; implicit-def: $vgpr15
	s_and_saveexec_b32 s2, vcc_lo
	s_xor_b32 s2, exec_lo, s2
; %bb.122:
	v_bfe_u32 v15, v16, 16, 1
	v_add3_u32 v15, v16, v15, 0x7fff
                                        ; implicit-def: $vgpr16
; %bb.123:
	s_andn2_saveexec_b32 s2, s2
; %bb.124:
	v_mov_b32_e32 v15, 0
	v_or_b32_e32 v21, 0x10000, v16
	v_cmp_eq_u32_sdwa vcc_lo, v16, v15 src0_sel:WORD_0 src1_sel:DWORD
	v_cndmask_b32_e32 v15, v21, v16, vcc_lo
; %bb.125:
	s_or_b32 exec_lo, exec_lo, s2
	global_store_short_d16_hi v[4:5], v15, off offset:64
	global_load_ushort v2, v[2:3], off offset:96
	s_waitcnt vmcnt(0)
	v_lshlrev_b32_e32 v2, 16, v2
	v_mul_f32_e32 v2, s9, v2
	v_and_b32_e32 v3, 0x7f800000, v2
	v_cmp_ne_u32_e32 vcc_lo, 0x7f800000, v3
                                        ; implicit-def: $vgpr3
	s_and_saveexec_b32 s2, vcc_lo
	s_xor_b32 s2, exec_lo, s2
; %bb.126:
	v_bfe_u32 v3, v2, 16, 1
	v_add3_u32 v3, v2, v3, 0x7fff
                                        ; implicit-def: $vgpr2
; %bb.127:
	s_andn2_saveexec_b32 s2, s2
; %bb.128:
	v_mov_b32_e32 v3, 0
	v_or_b32_e32 v15, 0x10000, v2
	v_cmp_eq_u32_sdwa vcc_lo, v2, v3 src0_sel:WORD_0 src1_sel:DWORD
	v_cndmask_b32_e32 v3, v15, v2, vcc_lo
; %bb.129:
	s_or_b32 exec_lo, exec_lo, s2
	v_and_b32_e32 v2, 0xffff0000, v3
	s_mov_b32 s2, exec_lo
                                        ; implicit-def: $vgpr16
	v_fmac_f32_e32 v2, s4, v14
	v_and_b32_e32 v3, 0x7f800000, v2
	v_cmpx_ne_u32_e32 0x7f800000, v3
	s_xor_b32 s2, exec_lo, s2
; %bb.130:
	v_bfe_u32 v3, v2, 16, 1
	v_add3_u32 v16, v2, v3, 0x7fff
                                        ; implicit-def: $vgpr2
; %bb.131:
	s_or_saveexec_b32 s5, s2
	s_lshl_b64 s[2:3], s[14:15], 4
	s_xor_b32 exec_lo, exec_lo, s5
; %bb.132:
	v_mov_b32_e32 v3, 0
	v_or_b32_e32 v14, 0x10000, v2
	v_cmp_eq_u32_sdwa vcc_lo, v2, v3 src0_sel:WORD_0 src1_sel:DWORD
	v_cndmask_b32_e32 v16, v14, v2, vcc_lo
; %bb.133:
	s_or_b32 exec_lo, exec_lo, s5
	s_lshl_b64 s[2:3], s[2:3], 1
	global_store_short_d16_hi v[4:5], v16, off offset:96
	v_add_co_u32 v14, vcc_lo, v19, s2
	v_add_co_ci_u32_e64 v15, null, s3, v20, vcc_lo
	v_add_co_u32 v2, vcc_lo, v14, v0
	v_add_co_ci_u32_e64 v3, null, v15, v1, vcc_lo
	global_load_ushort v4, v[2:3], off
	s_waitcnt vmcnt(0)
	v_lshlrev_b32_e32 v4, 16, v4
	v_mul_f32_e32 v4, s9, v4
	v_and_b32_e32 v5, 0x7f800000, v4
	v_cmp_ne_u32_e32 vcc_lo, 0x7f800000, v5
                                        ; implicit-def: $vgpr5
	s_and_saveexec_b32 s5, vcc_lo
	s_xor_b32 s5, exec_lo, s5
; %bb.134:
	v_bfe_u32 v5, v4, 16, 1
	v_add3_u32 v5, v4, v5, 0x7fff
                                        ; implicit-def: $vgpr4
; %bb.135:
	s_andn2_saveexec_b32 s5, s5
; %bb.136:
	v_mov_b32_e32 v5, 0
	v_or_b32_e32 v16, 0x10000, v4
	v_cmp_eq_u32_sdwa vcc_lo, v4, v5 src0_sel:WORD_0 src1_sel:DWORD
	v_cndmask_b32_e32 v5, v16, v4, vcc_lo
; %bb.137:
	s_or_b32 exec_lo, exec_lo, s5
	v_and_b32_e32 v4, 0xffff0000, v5
	s_mov_b32 s5, exec_lo
                                        ; implicit-def: $vgpr19
	v_fmac_f32_e32 v4, s4, v13
	v_and_b32_e32 v5, 0x7f800000, v4
	v_cmpx_ne_u32_e32 0x7f800000, v5
	s_xor_b32 s5, exec_lo, s5
; %bb.138:
	v_bfe_u32 v5, v4, 16, 1
	v_add3_u32 v19, v4, v5, 0x7fff
                                        ; implicit-def: $vgpr4
; %bb.139:
	s_or_saveexec_b32 s5, s5
	s_lshl_b64 s[0:1], s[0:1], 4
	s_xor_b32 exec_lo, exec_lo, s5
; %bb.140:
	v_mov_b32_e32 v5, 0
	v_or_b32_e32 v13, 0x10000, v4
	v_cmp_eq_u32_sdwa vcc_lo, v4, v5 src0_sel:WORD_0 src1_sel:DWORD
	v_cndmask_b32_e32 v19, v13, v4, vcc_lo
; %bb.141:
	s_or_b32 exec_lo, exec_lo, s5
	s_lshl_b64 s[0:1], s[0:1], 1
	v_add_co_u32 v13, vcc_lo, v17, s0
	v_add_co_ci_u32_e64 v16, null, s1, v18, vcc_lo
	v_add_co_u32 v4, vcc_lo, v13, v0
	v_add_co_ci_u32_e64 v5, null, v16, v1, vcc_lo
	global_store_short_d16_hi v[4:5], v19, off
	global_load_ushort v17, v[2:3], off offset:32
	s_waitcnt vmcnt(0)
	v_lshlrev_b32_e32 v17, 16, v17
	v_mul_f32_e32 v17, s9, v17
	v_and_b32_e32 v18, 0x7f800000, v17
	v_cmp_ne_u32_e32 vcc_lo, 0x7f800000, v18
                                        ; implicit-def: $vgpr18
	s_and_saveexec_b32 s5, vcc_lo
	s_xor_b32 s5, exec_lo, s5
; %bb.142:
	v_bfe_u32 v18, v17, 16, 1
	v_add3_u32 v18, v17, v18, 0x7fff
                                        ; implicit-def: $vgpr17
; %bb.143:
	s_andn2_saveexec_b32 s5, s5
; %bb.144:
	v_mov_b32_e32 v18, 0
	v_or_b32_e32 v19, 0x10000, v17
	v_cmp_eq_u32_sdwa vcc_lo, v17, v18 src0_sel:WORD_0 src1_sel:DWORD
	v_cndmask_b32_e32 v18, v19, v17, vcc_lo
; %bb.145:
	s_or_b32 exec_lo, exec_lo, s5
	v_and_b32_e32 v17, 0xffff0000, v18
	v_fmac_f32_e32 v17, s4, v12
	v_and_b32_e32 v12, 0x7f800000, v17
	v_cmp_ne_u32_e32 vcc_lo, 0x7f800000, v12
                                        ; implicit-def: $vgpr12
	s_and_saveexec_b32 s5, vcc_lo
	s_xor_b32 s5, exec_lo, s5
; %bb.146:
	v_bfe_u32 v12, v17, 16, 1
	v_add3_u32 v12, v17, v12, 0x7fff
                                        ; implicit-def: $vgpr17
; %bb.147:
	s_andn2_saveexec_b32 s5, s5
; %bb.148:
	v_mov_b32_e32 v12, 0
	v_or_b32_e32 v18, 0x10000, v17
	v_cmp_eq_u32_sdwa vcc_lo, v17, v12 src0_sel:WORD_0 src1_sel:DWORD
	v_cndmask_b32_e32 v12, v18, v17, vcc_lo
; %bb.149:
	s_or_b32 exec_lo, exec_lo, s5
	global_store_short_d16_hi v[4:5], v12, off offset:32
	global_load_ushort v12, v[2:3], off offset:64
	s_waitcnt vmcnt(0)
	v_lshlrev_b32_e32 v12, 16, v12
	v_mul_f32_e32 v12, s9, v12
	v_and_b32_e32 v17, 0x7f800000, v12
	v_cmp_ne_u32_e32 vcc_lo, 0x7f800000, v17
                                        ; implicit-def: $vgpr17
	s_and_saveexec_b32 s5, vcc_lo
	s_xor_b32 s5, exec_lo, s5
; %bb.150:
	v_bfe_u32 v17, v12, 16, 1
	v_add3_u32 v17, v12, v17, 0x7fff
                                        ; implicit-def: $vgpr12
; %bb.151:
	s_andn2_saveexec_b32 s5, s5
; %bb.152:
	v_mov_b32_e32 v17, 0
	v_or_b32_e32 v18, 0x10000, v12
	v_cmp_eq_u32_sdwa vcc_lo, v12, v17 src0_sel:WORD_0 src1_sel:DWORD
	v_cndmask_b32_e32 v17, v18, v12, vcc_lo
; %bb.153:
	s_or_b32 exec_lo, exec_lo, s5
	v_and_b32_e32 v12, 0xffff0000, v17
	v_fmac_f32_e32 v12, s4, v11
	v_and_b32_e32 v11, 0x7f800000, v12
	v_cmp_ne_u32_e32 vcc_lo, 0x7f800000, v11
                                        ; implicit-def: $vgpr11
	s_and_saveexec_b32 s5, vcc_lo
	s_xor_b32 s5, exec_lo, s5
; %bb.154:
	v_bfe_u32 v11, v12, 16, 1
	v_add3_u32 v11, v12, v11, 0x7fff
                                        ; implicit-def: $vgpr12
; %bb.155:
	s_andn2_saveexec_b32 s5, s5
; %bb.156:
	v_mov_b32_e32 v11, 0
	v_or_b32_e32 v17, 0x10000, v12
	v_cmp_eq_u32_sdwa vcc_lo, v12, v11 src0_sel:WORD_0 src1_sel:DWORD
	v_cndmask_b32_e32 v11, v17, v12, vcc_lo
; %bb.157:
	s_or_b32 exec_lo, exec_lo, s5
	global_store_short_d16_hi v[4:5], v11, off offset:64
	global_load_ushort v2, v[2:3], off offset:96
	s_waitcnt vmcnt(0)
	v_lshlrev_b32_e32 v2, 16, v2
	v_mul_f32_e32 v2, s9, v2
	v_and_b32_e32 v3, 0x7f800000, v2
	v_cmp_ne_u32_e32 vcc_lo, 0x7f800000, v3
                                        ; implicit-def: $vgpr3
	s_and_saveexec_b32 s5, vcc_lo
	s_xor_b32 s5, exec_lo, s5
; %bb.158:
	v_bfe_u32 v3, v2, 16, 1
	v_add3_u32 v3, v2, v3, 0x7fff
                                        ; implicit-def: $vgpr2
; %bb.159:
	s_andn2_saveexec_b32 s5, s5
; %bb.160:
	v_mov_b32_e32 v3, 0
	v_or_b32_e32 v11, 0x10000, v2
	v_cmp_eq_u32_sdwa vcc_lo, v2, v3 src0_sel:WORD_0 src1_sel:DWORD
	v_cndmask_b32_e32 v3, v11, v2, vcc_lo
; %bb.161:
	s_or_b32 exec_lo, exec_lo, s5
	v_and_b32_e32 v2, 0xffff0000, v3
	s_mov_b32 s5, exec_lo
	v_fmac_f32_e32 v2, s4, v10
                                        ; implicit-def: $vgpr10
	v_and_b32_e32 v3, 0x7f800000, v2
	v_cmpx_ne_u32_e32 0x7f800000, v3
	s_xor_b32 s5, exec_lo, s5
; %bb.162:
	v_bfe_u32 v3, v2, 16, 1
	v_add3_u32 v10, v2, v3, 0x7fff
                                        ; implicit-def: $vgpr2
; %bb.163:
	s_andn2_saveexec_b32 s5, s5
; %bb.164:
	v_mov_b32_e32 v3, 0
	v_or_b32_e32 v10, 0x10000, v2
	v_cmp_eq_u32_sdwa vcc_lo, v2, v3 src0_sel:WORD_0 src1_sel:DWORD
	v_cndmask_b32_e32 v10, v10, v2, vcc_lo
; %bb.165:
	s_or_b32 exec_lo, exec_lo, s5
	v_add_co_u32 v2, vcc_lo, v14, s2
	v_add_co_ci_u32_e64 v3, null, s3, v15, vcc_lo
	global_store_short_d16_hi v[4:5], v10, off offset:96
	v_add_co_u32 v2, vcc_lo, v2, v0
	v_add_co_ci_u32_e64 v3, null, v3, v1, vcc_lo
	global_load_ushort v4, v[2:3], off
	s_waitcnt vmcnt(0)
	v_lshlrev_b32_e32 v4, 16, v4
	v_mul_f32_e32 v4, s9, v4
	v_and_b32_e32 v5, 0x7f800000, v4
	v_cmp_ne_u32_e32 vcc_lo, 0x7f800000, v5
                                        ; implicit-def: $vgpr5
	s_and_saveexec_b32 s2, vcc_lo
	s_xor_b32 s2, exec_lo, s2
; %bb.166:
	v_bfe_u32 v5, v4, 16, 1
	v_add3_u32 v5, v4, v5, 0x7fff
                                        ; implicit-def: $vgpr4
; %bb.167:
	s_andn2_saveexec_b32 s2, s2
; %bb.168:
	v_mov_b32_e32 v5, 0
	v_or_b32_e32 v10, 0x10000, v4
	v_cmp_eq_u32_sdwa vcc_lo, v4, v5 src0_sel:WORD_0 src1_sel:DWORD
	v_cndmask_b32_e32 v5, v10, v4, vcc_lo
; %bb.169:
	s_or_b32 exec_lo, exec_lo, s2
	v_and_b32_e32 v5, 0xffff0000, v5
	v_fmac_f32_e32 v5, s4, v9
	v_and_b32_e32 v4, 0x7f800000, v5
	v_cmp_ne_u32_e32 vcc_lo, 0x7f800000, v4
                                        ; implicit-def: $vgpr4
	s_and_saveexec_b32 s2, vcc_lo
	s_xor_b32 s2, exec_lo, s2
; %bb.170:
	v_bfe_u32 v4, v5, 16, 1
	v_add3_u32 v4, v5, v4, 0x7fff
                                        ; implicit-def: $vgpr5
; %bb.171:
	s_andn2_saveexec_b32 s2, s2
; %bb.172:
	v_mov_b32_e32 v4, 0
	v_or_b32_e32 v9, 0x10000, v5
	v_cmp_eq_u32_sdwa vcc_lo, v5, v4 src0_sel:WORD_0 src1_sel:DWORD
	v_cndmask_b32_e32 v4, v9, v5, vcc_lo
; %bb.173:
	s_or_b32 exec_lo, exec_lo, s2
	v_add_co_u32 v5, vcc_lo, v13, s0
	v_add_co_ci_u32_e64 v9, null, s1, v16, vcc_lo
	v_add_co_u32 v0, vcc_lo, v5, v0
	v_add_co_ci_u32_e64 v1, null, v9, v1, vcc_lo
	global_store_short_d16_hi v[0:1], v4, off
	global_load_ushort v4, v[2:3], off offset:32
	s_waitcnt vmcnt(0)
	v_lshlrev_b32_e32 v4, 16, v4
	v_mul_f32_e32 v4, s9, v4
	v_and_b32_e32 v5, 0x7f800000, v4
	v_cmp_ne_u32_e32 vcc_lo, 0x7f800000, v5
                                        ; implicit-def: $vgpr5
	s_and_saveexec_b32 s0, vcc_lo
	s_xor_b32 s0, exec_lo, s0
; %bb.174:
	v_bfe_u32 v5, v4, 16, 1
	v_add3_u32 v5, v4, v5, 0x7fff
                                        ; implicit-def: $vgpr4
; %bb.175:
	s_andn2_saveexec_b32 s0, s0
; %bb.176:
	v_mov_b32_e32 v5, 0
	v_or_b32_e32 v9, 0x10000, v4
	v_cmp_eq_u32_sdwa vcc_lo, v4, v5 src0_sel:WORD_0 src1_sel:DWORD
	v_cndmask_b32_e32 v5, v9, v4, vcc_lo
; %bb.177:
	s_or_b32 exec_lo, exec_lo, s0
	v_and_b32_e32 v4, 0xffff0000, v5
	v_fmac_f32_e32 v4, s4, v8
	v_and_b32_e32 v5, 0x7f800000, v4
	v_cmp_ne_u32_e32 vcc_lo, 0x7f800000, v5
                                        ; implicit-def: $vgpr5
	s_and_saveexec_b32 s0, vcc_lo
	s_xor_b32 s0, exec_lo, s0
; %bb.178:
	v_bfe_u32 v5, v4, 16, 1
	v_add3_u32 v5, v4, v5, 0x7fff
                                        ; implicit-def: $vgpr4
; %bb.179:
	s_andn2_saveexec_b32 s0, s0
; %bb.180:
	v_mov_b32_e32 v5, 0
	v_or_b32_e32 v8, 0x10000, v4
	v_cmp_eq_u32_sdwa vcc_lo, v4, v5 src0_sel:WORD_0 src1_sel:DWORD
	v_cndmask_b32_e32 v5, v8, v4, vcc_lo
; %bb.181:
	s_or_b32 exec_lo, exec_lo, s0
	global_store_short_d16_hi v[0:1], v5, off offset:32
	global_load_ushort v4, v[2:3], off offset:64
	s_waitcnt vmcnt(0)
	v_lshlrev_b32_e32 v4, 16, v4
	v_mul_f32_e32 v4, s9, v4
	v_and_b32_e32 v5, 0x7f800000, v4
	v_cmp_ne_u32_e32 vcc_lo, 0x7f800000, v5
                                        ; implicit-def: $vgpr5
	s_and_saveexec_b32 s0, vcc_lo
	s_xor_b32 s0, exec_lo, s0
; %bb.182:
	v_bfe_u32 v5, v4, 16, 1
	v_add3_u32 v5, v4, v5, 0x7fff
                                        ; implicit-def: $vgpr4
; %bb.183:
	s_andn2_saveexec_b32 s0, s0
; %bb.184:
	v_mov_b32_e32 v5, 0
	v_or_b32_e32 v8, 0x10000, v4
	v_cmp_eq_u32_sdwa vcc_lo, v4, v5 src0_sel:WORD_0 src1_sel:DWORD
	v_cndmask_b32_e32 v5, v8, v4, vcc_lo
; %bb.185:
	s_or_b32 exec_lo, exec_lo, s0
	v_and_b32_e32 v4, 0xffff0000, v5
	v_fmac_f32_e32 v4, s4, v7
	v_and_b32_e32 v5, 0x7f800000, v4
	v_cmp_ne_u32_e32 vcc_lo, 0x7f800000, v5
                                        ; implicit-def: $vgpr5
	s_and_saveexec_b32 s0, vcc_lo
	s_xor_b32 s0, exec_lo, s0
; %bb.186:
	v_bfe_u32 v5, v4, 16, 1
	v_add3_u32 v5, v4, v5, 0x7fff
                                        ; implicit-def: $vgpr4
; %bb.187:
	s_andn2_saveexec_b32 s0, s0
; %bb.188:
	v_mov_b32_e32 v5, 0
	v_or_b32_e32 v7, 0x10000, v4
	v_cmp_eq_u32_sdwa vcc_lo, v4, v5 src0_sel:WORD_0 src1_sel:DWORD
	v_cndmask_b32_e32 v5, v7, v4, vcc_lo
; %bb.189:
	s_or_b32 exec_lo, exec_lo, s0
	global_store_short_d16_hi v[0:1], v5, off offset:64
	global_load_ushort v2, v[2:3], off offset:96
	s_waitcnt vmcnt(0)
	v_lshlrev_b32_e32 v2, 16, v2
	v_mul_f32_e32 v2, s9, v2
	v_and_b32_e32 v3, 0x7f800000, v2
	v_cmp_ne_u32_e32 vcc_lo, 0x7f800000, v3
                                        ; implicit-def: $vgpr3
	s_and_saveexec_b32 s0, vcc_lo
	s_xor_b32 s0, exec_lo, s0
; %bb.190:
	v_bfe_u32 v3, v2, 16, 1
	v_add3_u32 v3, v2, v3, 0x7fff
                                        ; implicit-def: $vgpr2
; %bb.191:
	s_andn2_saveexec_b32 s0, s0
; %bb.192:
	v_mov_b32_e32 v3, 0
	v_or_b32_e32 v4, 0x10000, v2
	v_cmp_eq_u32_sdwa vcc_lo, v2, v3 src0_sel:WORD_0 src1_sel:DWORD
	v_cndmask_b32_e32 v3, v4, v2, vcc_lo
; %bb.193:
	s_or_b32 exec_lo, exec_lo, s0
	v_and_b32_e32 v2, 0xffff0000, v3
	v_fmac_f32_e32 v2, s4, v6
	v_and_b32_e32 v3, 0x7f800000, v2
	v_cmp_ne_u32_e32 vcc_lo, 0x7f800000, v3
                                        ; implicit-def: $vgpr3
	s_and_saveexec_b32 s0, vcc_lo
	s_xor_b32 s0, exec_lo, s0
	s_cbranch_execnz .LBB418_198
; %bb.194:
	s_andn2_saveexec_b32 s0, s0
	s_cbranch_execnz .LBB418_199
.LBB418_195:
	s_or_b32 exec_lo, exec_lo, s0
	global_store_short_d16_hi v[0:1], v3, off offset:96
	s_endpgm
.LBB418_196:
	s_cbranch_execnz .LBB418_69
.LBB418_197:
	s_endpgm
.LBB418_198:
	v_bfe_u32 v3, v2, 16, 1
	v_add3_u32 v3, v2, v3, 0x7fff
                                        ; implicit-def: $vgpr2
	s_andn2_saveexec_b32 s0, s0
	s_cbranch_execz .LBB418_195
.LBB418_199:
	v_mov_b32_e32 v3, 0
	v_or_b32_e32 v4, 0x10000, v2
	v_cmp_eq_u32_sdwa vcc_lo, v2, v3 src0_sel:WORD_0 src1_sel:DWORD
	v_cndmask_b32_e32 v3, v4, v2, vcc_lo
	s_or_b32 exec_lo, exec_lo, s0
	global_store_short_d16_hi v[0:1], v3, off offset:96
	s_endpgm
	.section	.rodata,"a",@progbits
	.p2align	6, 0x0
	.amdhsa_kernel _ZN12_GLOBAL__N_127rocblas_gemm_batched_kernelIfLi16ELi16ELi64ELi64ELi4ELi64ELi4ELi4ELi64ELc78ELc78EK16rocblas_bfloat16S2_S1_EEvlllT_PT11_llS5_llS3_PT12_llPT13_lli
		.amdhsa_group_segment_fixed_size 2048
		.amdhsa_private_segment_fixed_size 0
		.amdhsa_kernarg_size 140
		.amdhsa_user_sgpr_count 6
		.amdhsa_user_sgpr_private_segment_buffer 1
		.amdhsa_user_sgpr_dispatch_ptr 0
		.amdhsa_user_sgpr_queue_ptr 0
		.amdhsa_user_sgpr_kernarg_segment_ptr 1
		.amdhsa_user_sgpr_dispatch_id 0
		.amdhsa_user_sgpr_flat_scratch_init 0
		.amdhsa_user_sgpr_private_segment_size 0
		.amdhsa_wavefront_size32 1
		.amdhsa_uses_dynamic_stack 0
		.amdhsa_system_sgpr_private_segment_wavefront_offset 0
		.amdhsa_system_sgpr_workgroup_id_x 1
		.amdhsa_system_sgpr_workgroup_id_y 1
		.amdhsa_system_sgpr_workgroup_id_z 1
		.amdhsa_system_sgpr_workgroup_info 0
		.amdhsa_system_vgpr_workitem_id 1
		.amdhsa_next_free_vgpr 58
		.amdhsa_next_free_sgpr 22
		.amdhsa_reserve_vcc 1
		.amdhsa_reserve_flat_scratch 0
		.amdhsa_float_round_mode_32 0
		.amdhsa_float_round_mode_16_64 0
		.amdhsa_float_denorm_mode_32 3
		.amdhsa_float_denorm_mode_16_64 3
		.amdhsa_dx10_clamp 1
		.amdhsa_ieee_mode 1
		.amdhsa_fp16_overflow 0
		.amdhsa_workgroup_processor_mode 1
		.amdhsa_memory_ordered 1
		.amdhsa_forward_progress 1
		.amdhsa_shared_vgpr_count 0
		.amdhsa_exception_fp_ieee_invalid_op 0
		.amdhsa_exception_fp_denorm_src 0
		.amdhsa_exception_fp_ieee_div_zero 0
		.amdhsa_exception_fp_ieee_overflow 0
		.amdhsa_exception_fp_ieee_underflow 0
		.amdhsa_exception_fp_ieee_inexact 0
		.amdhsa_exception_int_div_zero 0
	.end_amdhsa_kernel
	.section	.text._ZN12_GLOBAL__N_127rocblas_gemm_batched_kernelIfLi16ELi16ELi64ELi64ELi4ELi64ELi4ELi4ELi64ELc78ELc78EK16rocblas_bfloat16S2_S1_EEvlllT_PT11_llS5_llS3_PT12_llPT13_lli,"axG",@progbits,_ZN12_GLOBAL__N_127rocblas_gemm_batched_kernelIfLi16ELi16ELi64ELi64ELi4ELi64ELi4ELi4ELi64ELc78ELc78EK16rocblas_bfloat16S2_S1_EEvlllT_PT11_llS5_llS3_PT12_llPT13_lli,comdat
.Lfunc_end418:
	.size	_ZN12_GLOBAL__N_127rocblas_gemm_batched_kernelIfLi16ELi16ELi64ELi64ELi4ELi64ELi4ELi4ELi64ELc78ELc78EK16rocblas_bfloat16S2_S1_EEvlllT_PT11_llS5_llS3_PT12_llPT13_lli, .Lfunc_end418-_ZN12_GLOBAL__N_127rocblas_gemm_batched_kernelIfLi16ELi16ELi64ELi64ELi4ELi64ELi4ELi4ELi64ELc78ELc78EK16rocblas_bfloat16S2_S1_EEvlllT_PT11_llS5_llS3_PT12_llPT13_lli
                                        ; -- End function
	.set _ZN12_GLOBAL__N_127rocblas_gemm_batched_kernelIfLi16ELi16ELi64ELi64ELi4ELi64ELi4ELi4ELi64ELc78ELc78EK16rocblas_bfloat16S2_S1_EEvlllT_PT11_llS5_llS3_PT12_llPT13_lli.num_vgpr, 58
	.set _ZN12_GLOBAL__N_127rocblas_gemm_batched_kernelIfLi16ELi16ELi64ELi64ELi4ELi64ELi4ELi4ELi64ELc78ELc78EK16rocblas_bfloat16S2_S1_EEvlllT_PT11_llS5_llS3_PT12_llPT13_lli.num_agpr, 0
	.set _ZN12_GLOBAL__N_127rocblas_gemm_batched_kernelIfLi16ELi16ELi64ELi64ELi4ELi64ELi4ELi4ELi64ELc78ELc78EK16rocblas_bfloat16S2_S1_EEvlllT_PT11_llS5_llS3_PT12_llPT13_lli.numbered_sgpr, 22
	.set _ZN12_GLOBAL__N_127rocblas_gemm_batched_kernelIfLi16ELi16ELi64ELi64ELi4ELi64ELi4ELi4ELi64ELc78ELc78EK16rocblas_bfloat16S2_S1_EEvlllT_PT11_llS5_llS3_PT12_llPT13_lli.num_named_barrier, 0
	.set _ZN12_GLOBAL__N_127rocblas_gemm_batched_kernelIfLi16ELi16ELi64ELi64ELi4ELi64ELi4ELi4ELi64ELc78ELc78EK16rocblas_bfloat16S2_S1_EEvlllT_PT11_llS5_llS3_PT12_llPT13_lli.private_seg_size, 0
	.set _ZN12_GLOBAL__N_127rocblas_gemm_batched_kernelIfLi16ELi16ELi64ELi64ELi4ELi64ELi4ELi4ELi64ELc78ELc78EK16rocblas_bfloat16S2_S1_EEvlllT_PT11_llS5_llS3_PT12_llPT13_lli.uses_vcc, 1
	.set _ZN12_GLOBAL__N_127rocblas_gemm_batched_kernelIfLi16ELi16ELi64ELi64ELi4ELi64ELi4ELi4ELi64ELc78ELc78EK16rocblas_bfloat16S2_S1_EEvlllT_PT11_llS5_llS3_PT12_llPT13_lli.uses_flat_scratch, 0
	.set _ZN12_GLOBAL__N_127rocblas_gemm_batched_kernelIfLi16ELi16ELi64ELi64ELi4ELi64ELi4ELi4ELi64ELc78ELc78EK16rocblas_bfloat16S2_S1_EEvlllT_PT11_llS5_llS3_PT12_llPT13_lli.has_dyn_sized_stack, 0
	.set _ZN12_GLOBAL__N_127rocblas_gemm_batched_kernelIfLi16ELi16ELi64ELi64ELi4ELi64ELi4ELi4ELi64ELc78ELc78EK16rocblas_bfloat16S2_S1_EEvlllT_PT11_llS5_llS3_PT12_llPT13_lli.has_recursion, 0
	.set _ZN12_GLOBAL__N_127rocblas_gemm_batched_kernelIfLi16ELi16ELi64ELi64ELi4ELi64ELi4ELi4ELi64ELc78ELc78EK16rocblas_bfloat16S2_S1_EEvlllT_PT11_llS5_llS3_PT12_llPT13_lli.has_indirect_call, 0
	.section	.AMDGPU.csdata,"",@progbits
; Kernel info:
; codeLenInByte = 6216
; TotalNumSgprs: 24
; NumVgprs: 58
; ScratchSize: 0
; MemoryBound: 0
; FloatMode: 240
; IeeeMode: 1
; LDSByteSize: 2048 bytes/workgroup (compile time only)
; SGPRBlocks: 0
; VGPRBlocks: 7
; NumSGPRsForWavesPerEU: 24
; NumVGPRsForWavesPerEU: 58
; Occupancy: 16
; WaveLimiterHint : 0
; COMPUTE_PGM_RSRC2:SCRATCH_EN: 0
; COMPUTE_PGM_RSRC2:USER_SGPR: 6
; COMPUTE_PGM_RSRC2:TRAP_HANDLER: 0
; COMPUTE_PGM_RSRC2:TGID_X_EN: 1
; COMPUTE_PGM_RSRC2:TGID_Y_EN: 1
; COMPUTE_PGM_RSRC2:TGID_Z_EN: 1
; COMPUTE_PGM_RSRC2:TIDIG_COMP_CNT: 1
	.section	.text._ZN12_GLOBAL__N_127rocblas_gemm_batched_kernelIfLi16ELi16ELi64ELi64ELi4ELi64ELi4ELi4ELi64ELc84ELc78EK16rocblas_bfloat16S2_S1_EEvlllT_PT11_llS5_llS3_PT12_llPT13_lli,"axG",@progbits,_ZN12_GLOBAL__N_127rocblas_gemm_batched_kernelIfLi16ELi16ELi64ELi64ELi4ELi64ELi4ELi4ELi64ELc84ELc78EK16rocblas_bfloat16S2_S1_EEvlllT_PT11_llS5_llS3_PT12_llPT13_lli,comdat
	.globl	_ZN12_GLOBAL__N_127rocblas_gemm_batched_kernelIfLi16ELi16ELi64ELi64ELi4ELi64ELi4ELi4ELi64ELc84ELc78EK16rocblas_bfloat16S2_S1_EEvlllT_PT11_llS5_llS3_PT12_llPT13_lli ; -- Begin function _ZN12_GLOBAL__N_127rocblas_gemm_batched_kernelIfLi16ELi16ELi64ELi64ELi4ELi64ELi4ELi4ELi64ELc84ELc78EK16rocblas_bfloat16S2_S1_EEvlllT_PT11_llS5_llS3_PT12_llPT13_lli
	.p2align	8
	.type	_ZN12_GLOBAL__N_127rocblas_gemm_batched_kernelIfLi16ELi16ELi64ELi64ELi4ELi64ELi4ELi4ELi64ELc84ELc78EK16rocblas_bfloat16S2_S1_EEvlllT_PT11_llS5_llS3_PT12_llPT13_lli,@function
_ZN12_GLOBAL__N_127rocblas_gemm_batched_kernelIfLi16ELi16ELi64ELi64ELi4ELi64ELi4ELi4ELi64ELc84ELc78EK16rocblas_bfloat16S2_S1_EEvlllT_PT11_llS5_llS3_PT12_llPT13_lli: ; @_ZN12_GLOBAL__N_127rocblas_gemm_batched_kernelIfLi16ELi16ELi64ELi64ELi4ELi64ELi4ELi4ELi64ELc84ELc78EK16rocblas_bfloat16S2_S1_EEvlllT_PT11_llS5_llS3_PT12_llPT13_lli
; %bb.0:
	s_load_dwordx2 s[20:21], s[4:5], 0x10
	s_mov_b32 s0, s7
	v_mov_b32_e32 v21, 0
	v_mov_b32_e32 v20, 0
	;; [unrolled: 1-line block ×16, first 2 shown]
	s_ashr_i32 s7, s6, 31
	s_ashr_i32 s1, s0, 31
	s_waitcnt lgkmcnt(0)
	v_cmp_lt_i64_e64 s2, s[20:21], 1
	s_lshl_b64 s[6:7], s[6:7], 6
	s_lshl_b64 s[10:11], s[0:1], 6
	s_and_b32 vcc_lo, exec_lo, s2
	s_cbranch_vccnz .LBB419_3
; %bb.1:
	v_lshlrev_b32_e32 v7, 4, v1
	s_clause 0x1
	s_load_dwordx8 s[12:19], s[4:5], 0x20
	s_load_dwordx4 s[0:3], s[4:5], 0x40
	v_and_b32_e32 v8, 3, v0
	v_mov_b32_e32 v6, 0
	v_add_nc_u32_e32 v2, v7, v0
	v_add_nc_u32_e32 v25, 0x400, v7
	v_lshlrev_b32_e32 v22, 2, v0
	v_lshlrev_b32_e32 v4, 2, v8
	v_mov_b32_e32 v14, 0
	v_and_b32_e32 v3, 63, v2
	v_lshrrev_b32_e32 v5, 2, v2
	v_lshrrev_b32_e32 v11, 6, v2
	v_mov_b32_e32 v15, 0
	v_mov_b32_e32 v16, 0
	v_add_co_u32 v9, s9, s6, v3
	v_add_co_ci_u32_e64 v10, null, s7, 0, s9
	v_lshlrev_b32_e32 v12, 2, v3
	v_lshl_or_b32 v4, v5, 4, v4
	s_waitcnt lgkmcnt(0)
	v_mul_lo_u32 v13, s15, v9
	v_mul_lo_u32 v10, s14, v10
	v_mad_u64_u32 v[2:3], null, s14, v9, 0
	v_add_co_u32 v5, s9, v5, s10
	v_add_co_ci_u32_e64 v9, null, 0, s11, s9
	v_lshl_or_b32 v23, v11, 8, v12
	v_add_nc_u32_e32 v24, 0x400, v4
	v_mul_lo_u32 v12, s1, v5
	v_add3_u32 v3, v3, v10, v13
	v_mul_lo_u32 v9, s0, v9
	v_mad_u64_u32 v[4:5], null, s0, v5, 0
	s_mul_i32 s0, s17, s8
	s_mul_hi_u32 s1, s16, s8
	v_lshlrev_b64 v[2:3], 1, v[2:3]
	s_add_i32 s1, s1, s0
	s_mul_i32 s0, s16, s8
	v_mov_b32_e32 v10, 0
	v_add3_u32 v5, v5, v9, v12
	s_lshl_b64 s[0:1], s[0:1], 1
	v_mov_b32_e32 v12, 0
	v_add_co_u32 v7, vcc_lo, v2, s0
	v_add_co_ci_u32_e64 v9, null, s1, v3, vcc_lo
	s_mul_i32 s0, s3, s8
	s_mul_hi_u32 s1, s2, s8
	v_lshlrev_b64 v[2:3], 1, v[4:5]
	s_add_i32 s1, s1, s0
	s_mul_i32 s0, s2, s8
	v_lshlrev_b32_e32 v4, 1, v11
	s_lshl_b64 s[0:1], s[0:1], 1
	v_lshlrev_b32_e32 v5, 1, v8
	v_add_co_u32 v2, vcc_lo, v2, s0
	v_add_co_ci_u32_e64 v3, null, s1, v3, vcc_lo
	v_add_co_u32 v4, vcc_lo, v7, v4
	v_add_co_ci_u32_e64 v7, null, 0, v9, vcc_lo
	;; [unrolled: 2-line block ×5, first 2 shown]
	v_mov_b32_e32 v7, 0
	v_mov_b32_e32 v8, 0
	;; [unrolled: 1-line block ×10, first 2 shown]
	s_mov_b64 s[0:1], 0
.LBB419_2:                              ; =>This Inner Loop Header: Depth=1
	global_load_ushort v26, v[2:3], off
	global_load_ushort v27, v[4:5], off
	s_add_u32 s0, s0, 4
	s_addc_u32 s1, s1, 0
	v_add_co_u32 v2, vcc_lo, v2, 8
	v_cmp_lt_i64_e64 s2, s[0:1], s[20:21]
	v_add_co_ci_u32_e64 v3, null, 0, v3, vcc_lo
	v_add_co_u32 v4, vcc_lo, v4, 8
	v_add_co_ci_u32_e64 v5, null, 0, v5, vcc_lo
	s_and_b32 vcc_lo, exec_lo, s2
	s_waitcnt vmcnt(1)
	v_lshlrev_b32_e32 v26, 16, v26
	s_waitcnt vmcnt(0)
	v_lshlrev_b32_e32 v27, 16, v27
	ds_write_b32 v23, v26
	ds_write_b32 v24, v27
	s_waitcnt lgkmcnt(0)
	s_barrier
	buffer_gl0_inv
	ds_read_b128 v[26:29], v25
	ds_read2_b32 v[42:43], v22 offset1:16
	ds_read2_b32 v[44:45], v22 offset0:32 offset1:48
	ds_read_b128 v[30:33], v25 offset:256
	ds_read_b128 v[34:37], v25 offset:512
	;; [unrolled: 1-line block ×3, first 2 shown]
	ds_read2_b32 v[46:47], v22 offset0:64 offset1:80
	ds_read2_b32 v[48:49], v22 offset0:96 offset1:112
	ds_read2_b32 v[50:51], v22 offset0:128 offset1:144
	ds_read2_b32 v[52:53], v22 offset0:160 offset1:176
	ds_read2_b32 v[54:55], v22 offset0:192 offset1:208
	ds_read2_b32 v[56:57], v22 offset0:224 offset1:240
	s_waitcnt lgkmcnt(0)
	s_barrier
	buffer_gl0_inv
	v_fmac_f32_e32 v21, v42, v26
	v_fmac_f32_e32 v20, v43, v26
	;; [unrolled: 1-line block ×64, first 2 shown]
	s_cbranch_vccnz .LBB419_2
.LBB419_3:
	s_clause 0x3
	s_load_dwordx4 s[0:3], s[4:5], 0x78
	s_load_dword s9, s[4:5], 0x50
	s_load_dwordx8 s[12:19], s[4:5], 0x58
	s_load_dword s4, s[4:5], 0x18
	v_add_co_u32 v22, s5, s10, v1
	v_add_co_ci_u32_e64 v23, null, s11, 0, s5
	s_waitcnt lgkmcnt(0)
	s_mul_i32 s3, s3, s8
	s_mul_hi_u32 s5, s2, s8
	s_mul_i32 s2, s2, s8
	s_add_i32 s3, s5, s3
	v_cmp_neq_f32_e64 s10, s9, 0
	v_add_co_u32 v0, s5, s6, v0
	s_lshl_b64 s[2:3], s[2:3], 1
	v_add_co_ci_u32_e64 v1, null, s7, 0, s5
	s_add_u32 s5, s18, s2
	s_addc_u32 s6, s19, s3
	s_and_b32 vcc_lo, exec_lo, s10
	s_cbranch_vccnz .LBB419_196
; %bb.4:
	v_mul_f32_e32 v2, s4, v21
	s_mov_b32 s2, exec_lo
                                        ; implicit-def: $vgpr26
	v_and_b32_e32 v3, 0x7f800000, v2
	v_cmpx_ne_u32_e32 0x7f800000, v3
	s_xor_b32 s2, exec_lo, s2
; %bb.5:
	v_bfe_u32 v3, v2, 16, 1
	v_add3_u32 v26, v2, v3, 0x7fff
                                        ; implicit-def: $vgpr2
; %bb.6:
	s_andn2_saveexec_b32 s2, s2
; %bb.7:
	v_mov_b32_e32 v3, 0
	v_or_b32_e32 v4, 0x10000, v2
	v_cmp_eq_u32_sdwa vcc_lo, v2, v3 src0_sel:WORD_0 src1_sel:DWORD
	v_cndmask_b32_e32 v26, v4, v2, vcc_lo
; %bb.8:
	s_or_b32 exec_lo, exec_lo, s2
	v_mul_lo_u32 v4, v23, s0
	v_mul_lo_u32 v5, v22, s1
	v_mad_u64_u32 v[2:3], null, v22, s0, 0
	v_mul_f32_e32 v27, s4, v20
	v_and_b32_e32 v28, 0x7f800000, v27
	v_add3_u32 v3, v3, v5, v4
	v_lshlrev_b64 v[4:5], 1, v[2:3]
	v_lshlrev_b64 v[2:3], 1, v[0:1]
	v_add_co_u32 v24, vcc_lo, s5, v4
	v_add_co_ci_u32_e64 v25, null, s6, v5, vcc_lo
	v_add_co_u32 v4, vcc_lo, v24, v2
	v_add_co_ci_u32_e64 v5, null, v25, v3, vcc_lo
	v_cmp_ne_u32_e32 vcc_lo, 0x7f800000, v28
                                        ; implicit-def: $vgpr28
	global_store_short_d16_hi v[4:5], v26, off
	s_and_saveexec_b32 s2, vcc_lo
	s_xor_b32 s2, exec_lo, s2
; %bb.9:
	v_bfe_u32 v26, v27, 16, 1
	v_add3_u32 v28, v27, v26, 0x7fff
                                        ; implicit-def: $vgpr27
; %bb.10:
	s_andn2_saveexec_b32 s2, s2
; %bb.11:
	v_mov_b32_e32 v26, 0
	v_or_b32_e32 v28, 0x10000, v27
	v_cmp_eq_u32_sdwa vcc_lo, v27, v26 src0_sel:WORD_0 src1_sel:DWORD
	v_cndmask_b32_e32 v28, v28, v27, vcc_lo
; %bb.12:
	s_or_b32 exec_lo, exec_lo, s2
	v_mul_f32_e32 v26, s4, v19
	global_store_short_d16_hi v[4:5], v28, off offset:32
	v_and_b32_e32 v27, 0x7f800000, v26
	v_cmp_ne_u32_e32 vcc_lo, 0x7f800000, v27
                                        ; implicit-def: $vgpr27
	s_and_saveexec_b32 s2, vcc_lo
	s_xor_b32 s2, exec_lo, s2
; %bb.13:
	v_bfe_u32 v27, v26, 16, 1
	v_add3_u32 v27, v26, v27, 0x7fff
                                        ; implicit-def: $vgpr26
; %bb.14:
	s_andn2_saveexec_b32 s2, s2
; %bb.15:
	v_mov_b32_e32 v27, 0
	v_or_b32_e32 v28, 0x10000, v26
	v_cmp_eq_u32_sdwa vcc_lo, v26, v27 src0_sel:WORD_0 src1_sel:DWORD
	v_cndmask_b32_e32 v27, v28, v26, vcc_lo
; %bb.16:
	s_or_b32 exec_lo, exec_lo, s2
	v_mul_f32_e32 v26, s4, v18
	global_store_short_d16_hi v[4:5], v27, off offset:64
	v_and_b32_e32 v28, 0x7f800000, v26
	v_cmp_ne_u32_e32 vcc_lo, 0x7f800000, v28
                                        ; implicit-def: $vgpr28
	s_and_saveexec_b32 s2, vcc_lo
	s_xor_b32 s2, exec_lo, s2
; %bb.17:
	v_bfe_u32 v27, v26, 16, 1
	v_add3_u32 v28, v26, v27, 0x7fff
                                        ; implicit-def: $vgpr26
; %bb.18:
	s_andn2_saveexec_b32 s2, s2
; %bb.19:
	v_mov_b32_e32 v27, 0
	v_or_b32_e32 v28, 0x10000, v26
	v_cmp_eq_u32_sdwa vcc_lo, v26, v27 src0_sel:WORD_0 src1_sel:DWORD
	v_cndmask_b32_e32 v28, v28, v26, vcc_lo
; %bb.20:
	s_or_b32 exec_lo, exec_lo, s2
	v_mul_f32_e32 v27, s4, v17
	global_store_short_d16_hi v[4:5], v28, off offset:96
	v_and_b32_e32 v26, 0x7f800000, v27
	v_cmp_ne_u32_e32 vcc_lo, 0x7f800000, v26
                                        ; implicit-def: $vgpr26
	s_and_saveexec_b32 s2, vcc_lo
	s_xor_b32 s2, exec_lo, s2
; %bb.21:
	v_bfe_u32 v4, v27, 16, 1
	v_add3_u32 v26, v27, v4, 0x7fff
                                        ; implicit-def: $vgpr27
; %bb.22:
	s_andn2_saveexec_b32 s2, s2
; %bb.23:
	v_mov_b32_e32 v4, 0
	v_or_b32_e32 v5, 0x10000, v27
	v_cmp_eq_u32_sdwa vcc_lo, v27, v4 src0_sel:WORD_0 src1_sel:DWORD
	v_cndmask_b32_e32 v26, v5, v27, vcc_lo
; %bb.24:
	s_or_b32 exec_lo, exec_lo, s2
	v_mul_f32_e32 v27, s4, v16
	s_lshl_b64 s[2:3], s[0:1], 5
	v_add_co_u32 v24, vcc_lo, v24, s2
	v_add_co_ci_u32_e64 v25, null, s3, v25, vcc_lo
	v_and_b32_e32 v28, 0x7f800000, v27
	v_add_co_u32 v4, vcc_lo, v24, v2
	v_add_co_ci_u32_e64 v5, null, v25, v3, vcc_lo
	v_cmp_ne_u32_e32 vcc_lo, 0x7f800000, v28
                                        ; implicit-def: $vgpr28
	global_store_short_d16_hi v[4:5], v26, off
	s_and_saveexec_b32 s2, vcc_lo
	s_xor_b32 s2, exec_lo, s2
; %bb.25:
	v_bfe_u32 v26, v27, 16, 1
	v_add3_u32 v28, v27, v26, 0x7fff
                                        ; implicit-def: $vgpr27
; %bb.26:
	s_andn2_saveexec_b32 s2, s2
; %bb.27:
	v_mov_b32_e32 v26, 0
	v_or_b32_e32 v28, 0x10000, v27
	v_cmp_eq_u32_sdwa vcc_lo, v27, v26 src0_sel:WORD_0 src1_sel:DWORD
	v_cndmask_b32_e32 v28, v28, v27, vcc_lo
; %bb.28:
	s_or_b32 exec_lo, exec_lo, s2
	v_mul_f32_e32 v26, s4, v15
	global_store_short_d16_hi v[4:5], v28, off offset:32
	v_and_b32_e32 v27, 0x7f800000, v26
	v_cmp_ne_u32_e32 vcc_lo, 0x7f800000, v27
                                        ; implicit-def: $vgpr27
	s_and_saveexec_b32 s2, vcc_lo
	s_xor_b32 s2, exec_lo, s2
; %bb.29:
	v_bfe_u32 v27, v26, 16, 1
	v_add3_u32 v27, v26, v27, 0x7fff
                                        ; implicit-def: $vgpr26
; %bb.30:
	s_andn2_saveexec_b32 s2, s2
; %bb.31:
	v_mov_b32_e32 v27, 0
	v_or_b32_e32 v28, 0x10000, v26
	v_cmp_eq_u32_sdwa vcc_lo, v26, v27 src0_sel:WORD_0 src1_sel:DWORD
	v_cndmask_b32_e32 v27, v28, v26, vcc_lo
; %bb.32:
	s_or_b32 exec_lo, exec_lo, s2
	v_mul_f32_e32 v26, s4, v14
	global_store_short_d16_hi v[4:5], v27, off offset:64
	v_and_b32_e32 v28, 0x7f800000, v26
	v_cmp_ne_u32_e32 vcc_lo, 0x7f800000, v28
                                        ; implicit-def: $vgpr28
	s_and_saveexec_b32 s2, vcc_lo
	s_xor_b32 s2, exec_lo, s2
; %bb.33:
	v_bfe_u32 v27, v26, 16, 1
	v_add3_u32 v28, v26, v27, 0x7fff
                                        ; implicit-def: $vgpr26
; %bb.34:
	s_andn2_saveexec_b32 s2, s2
; %bb.35:
	v_mov_b32_e32 v27, 0
	v_or_b32_e32 v28, 0x10000, v26
	v_cmp_eq_u32_sdwa vcc_lo, v26, v27 src0_sel:WORD_0 src1_sel:DWORD
	v_cndmask_b32_e32 v28, v28, v26, vcc_lo
; %bb.36:
	s_or_b32 exec_lo, exec_lo, s2
	v_mul_f32_e32 v27, s4, v13
	global_store_short_d16_hi v[4:5], v28, off offset:96
	v_and_b32_e32 v26, 0x7f800000, v27
	v_cmp_ne_u32_e32 vcc_lo, 0x7f800000, v26
                                        ; implicit-def: $vgpr26
	s_and_saveexec_b32 s2, vcc_lo
	s_xor_b32 s2, exec_lo, s2
; %bb.37:
	v_bfe_u32 v4, v27, 16, 1
	v_add3_u32 v26, v27, v4, 0x7fff
                                        ; implicit-def: $vgpr27
; %bb.38:
	s_or_saveexec_b32 s7, s2
	s_lshl_b64 s[2:3], s[0:1], 4
	s_xor_b32 exec_lo, exec_lo, s7
; %bb.39:
	v_mov_b32_e32 v4, 0
	v_or_b32_e32 v5, 0x10000, v27
	v_cmp_eq_u32_sdwa vcc_lo, v27, v4 src0_sel:WORD_0 src1_sel:DWORD
	v_cndmask_b32_e32 v26, v5, v27, vcc_lo
; %bb.40:
	s_or_b32 exec_lo, exec_lo, s7
	v_mul_f32_e32 v27, s4, v12
	s_lshl_b64 s[2:3], s[2:3], 1
	v_add_co_u32 v24, vcc_lo, v24, s2
	v_add_co_ci_u32_e64 v25, null, s3, v25, vcc_lo
	v_and_b32_e32 v28, 0x7f800000, v27
	v_add_co_u32 v4, vcc_lo, v24, v2
	v_add_co_ci_u32_e64 v5, null, v25, v3, vcc_lo
	v_cmp_ne_u32_e32 vcc_lo, 0x7f800000, v28
                                        ; implicit-def: $vgpr28
	global_store_short_d16_hi v[4:5], v26, off
	s_and_saveexec_b32 s7, vcc_lo
	s_xor_b32 s7, exec_lo, s7
; %bb.41:
	v_bfe_u32 v26, v27, 16, 1
	v_add3_u32 v28, v27, v26, 0x7fff
                                        ; implicit-def: $vgpr27
; %bb.42:
	s_andn2_saveexec_b32 s7, s7
; %bb.43:
	v_mov_b32_e32 v26, 0
	v_or_b32_e32 v28, 0x10000, v27
	v_cmp_eq_u32_sdwa vcc_lo, v27, v26 src0_sel:WORD_0 src1_sel:DWORD
	v_cndmask_b32_e32 v28, v28, v27, vcc_lo
; %bb.44:
	s_or_b32 exec_lo, exec_lo, s7
	v_mul_f32_e32 v26, s4, v11
	global_store_short_d16_hi v[4:5], v28, off offset:32
	v_and_b32_e32 v27, 0x7f800000, v26
	v_cmp_ne_u32_e32 vcc_lo, 0x7f800000, v27
                                        ; implicit-def: $vgpr27
	s_and_saveexec_b32 s7, vcc_lo
	s_xor_b32 s7, exec_lo, s7
; %bb.45:
	v_bfe_u32 v27, v26, 16, 1
	v_add3_u32 v27, v26, v27, 0x7fff
                                        ; implicit-def: $vgpr26
; %bb.46:
	s_andn2_saveexec_b32 s7, s7
; %bb.47:
	v_mov_b32_e32 v27, 0
	v_or_b32_e32 v28, 0x10000, v26
	v_cmp_eq_u32_sdwa vcc_lo, v26, v27 src0_sel:WORD_0 src1_sel:DWORD
	v_cndmask_b32_e32 v27, v28, v26, vcc_lo
; %bb.48:
	s_or_b32 exec_lo, exec_lo, s7
	v_mul_f32_e32 v26, s4, v10
	s_mov_b32 s7, exec_lo
	global_store_short_d16_hi v[4:5], v27, off offset:64
                                        ; implicit-def: $vgpr27
	v_and_b32_e32 v28, 0x7f800000, v26
	v_cmpx_ne_u32_e32 0x7f800000, v28
	s_xor_b32 s7, exec_lo, s7
; %bb.49:
	v_bfe_u32 v27, v26, 16, 1
	v_add3_u32 v27, v26, v27, 0x7fff
                                        ; implicit-def: $vgpr26
; %bb.50:
	s_andn2_saveexec_b32 s7, s7
; %bb.51:
	v_mov_b32_e32 v27, 0
	v_or_b32_e32 v28, 0x10000, v26
	v_cmp_eq_u32_sdwa vcc_lo, v26, v27 src0_sel:WORD_0 src1_sel:DWORD
	v_cndmask_b32_e32 v27, v28, v26, vcc_lo
; %bb.52:
	s_or_b32 exec_lo, exec_lo, s7
	v_mul_f32_e32 v26, s4, v9
	s_mov_b32 s7, exec_lo
	global_store_short_d16_hi v[4:5], v27, off offset:96
                                        ; implicit-def: $vgpr4
	v_and_b32_e32 v28, 0x7f800000, v26
	v_cmpx_ne_u32_e32 0x7f800000, v28
	s_xor_b32 s7, exec_lo, s7
; %bb.53:
	v_bfe_u32 v4, v26, 16, 1
	v_add3_u32 v4, v26, v4, 0x7fff
                                        ; implicit-def: $vgpr26
; %bb.54:
	s_andn2_saveexec_b32 s7, s7
; %bb.55:
	v_mov_b32_e32 v4, 0
	v_or_b32_e32 v5, 0x10000, v26
	v_cmp_eq_u32_sdwa vcc_lo, v26, v4 src0_sel:WORD_0 src1_sel:DWORD
	v_cndmask_b32_e32 v4, v5, v26, vcc_lo
; %bb.56:
	s_or_b32 exec_lo, exec_lo, s7
	v_add_co_u32 v24, vcc_lo, v24, s2
	v_mul_f32_e32 v5, s4, v8
	v_add_co_ci_u32_e64 v25, null, s3, v25, vcc_lo
	v_add_co_u32 v2, vcc_lo, v24, v2
	v_and_b32_e32 v26, 0x7f800000, v5
	v_add_co_ci_u32_e64 v3, null, v25, v3, vcc_lo
	s_mov_b32 s2, exec_lo
                                        ; implicit-def: $vgpr24
	global_store_short_d16_hi v[2:3], v4, off
	v_cmpx_ne_u32_e32 0x7f800000, v26
	s_xor_b32 s2, exec_lo, s2
; %bb.57:
	v_bfe_u32 v4, v5, 16, 1
	v_add3_u32 v24, v5, v4, 0x7fff
                                        ; implicit-def: $vgpr5
; %bb.58:
	s_andn2_saveexec_b32 s2, s2
; %bb.59:
	v_mov_b32_e32 v4, 0
	v_or_b32_e32 v24, 0x10000, v5
	v_cmp_eq_u32_sdwa vcc_lo, v5, v4 src0_sel:WORD_0 src1_sel:DWORD
	v_cndmask_b32_e32 v24, v24, v5, vcc_lo
; %bb.60:
	s_or_b32 exec_lo, exec_lo, s2
	v_mul_f32_e32 v4, s4, v7
	global_store_short_d16_hi v[2:3], v24, off offset:32
	v_and_b32_e32 v5, 0x7f800000, v4
	v_cmp_ne_u32_e32 vcc_lo, 0x7f800000, v5
                                        ; implicit-def: $vgpr5
	s_and_saveexec_b32 s2, vcc_lo
	s_xor_b32 s2, exec_lo, s2
; %bb.61:
	v_bfe_u32 v5, v4, 16, 1
	v_add3_u32 v5, v4, v5, 0x7fff
                                        ; implicit-def: $vgpr4
; %bb.62:
	s_andn2_saveexec_b32 s2, s2
; %bb.63:
	v_mov_b32_e32 v5, 0
	v_or_b32_e32 v24, 0x10000, v4
	v_cmp_eq_u32_sdwa vcc_lo, v4, v5 src0_sel:WORD_0 src1_sel:DWORD
	v_cndmask_b32_e32 v5, v24, v4, vcc_lo
; %bb.64:
	s_or_b32 exec_lo, exec_lo, s2
	v_mul_f32_e32 v4, s4, v6
	s_mov_b32 s2, exec_lo
	global_store_short_d16_hi v[2:3], v5, off offset:64
                                        ; implicit-def: $vgpr5
	v_and_b32_e32 v24, 0x7f800000, v4
	v_cmpx_ne_u32_e32 0x7f800000, v24
	s_xor_b32 s2, exec_lo, s2
; %bb.65:
	v_bfe_u32 v5, v4, 16, 1
	v_add3_u32 v5, v4, v5, 0x7fff
                                        ; implicit-def: $vgpr4
; %bb.66:
	s_andn2_saveexec_b32 s2, s2
; %bb.67:
	v_mov_b32_e32 v5, 0
	v_or_b32_e32 v24, 0x10000, v4
	v_cmp_eq_u32_sdwa vcc_lo, v4, v5 src0_sel:WORD_0 src1_sel:DWORD
	v_cndmask_b32_e32 v5, v24, v4, vcc_lo
; %bb.68:
	s_or_b32 exec_lo, exec_lo, s2
	global_store_short_d16_hi v[2:3], v5, off offset:96
	s_branch .LBB419_197
.LBB419_69:
	v_mul_lo_u32 v4, v23, s14
	v_mul_lo_u32 v5, v22, s15
	v_mad_u64_u32 v[2:3], null, v22, s14, 0
	s_mul_i32 s3, s17, s8
	s_mul_hi_u32 s7, s16, s8
	s_mul_i32 s2, s16, s8
	s_add_i32 s3, s7, s3
	v_lshlrev_b64 v[0:1], 1, v[0:1]
	s_lshl_b64 s[2:3], s[2:3], 1
	v_add3_u32 v3, v3, v5, v4
	s_add_u32 s2, s12, s2
	s_addc_u32 s3, s13, s3
	v_lshlrev_b64 v[2:3], 1, v[2:3]
	v_add_co_u32 v24, vcc_lo, s2, v2
	v_add_co_ci_u32_e64 v25, null, s3, v3, vcc_lo
	v_add_co_u32 v2, vcc_lo, v24, v0
	v_add_co_ci_u32_e64 v3, null, v25, v1, vcc_lo
	global_load_ushort v4, v[2:3], off
	s_waitcnt vmcnt(0)
	v_lshlrev_b32_e32 v4, 16, v4
	v_mul_f32_e32 v4, s9, v4
	v_and_b32_e32 v5, 0x7f800000, v4
	v_cmp_ne_u32_e32 vcc_lo, 0x7f800000, v5
                                        ; implicit-def: $vgpr5
	s_and_saveexec_b32 s2, vcc_lo
	s_xor_b32 s2, exec_lo, s2
; %bb.70:
	v_bfe_u32 v5, v4, 16, 1
	v_add3_u32 v5, v4, v5, 0x7fff
                                        ; implicit-def: $vgpr4
; %bb.71:
	s_andn2_saveexec_b32 s2, s2
; %bb.72:
	v_mov_b32_e32 v5, 0
	v_or_b32_e32 v26, 0x10000, v4
	v_cmp_eq_u32_sdwa vcc_lo, v4, v5 src0_sel:WORD_0 src1_sel:DWORD
	v_cndmask_b32_e32 v5, v26, v4, vcc_lo
; %bb.73:
	s_or_b32 exec_lo, exec_lo, s2
	v_and_b32_e32 v4, 0xffff0000, v5
	s_mov_b32 s2, exec_lo
                                        ; implicit-def: $vgpr26
	v_fmac_f32_e32 v4, s4, v21
	v_and_b32_e32 v5, 0x7f800000, v4
	v_cmpx_ne_u32_e32 0x7f800000, v5
	s_xor_b32 s2, exec_lo, s2
; %bb.74:
	v_bfe_u32 v5, v4, 16, 1
	v_add3_u32 v26, v4, v5, 0x7fff
                                        ; implicit-def: $vgpr4
; %bb.75:
	s_andn2_saveexec_b32 s2, s2
; %bb.76:
	v_mov_b32_e32 v5, 0
	v_or_b32_e32 v21, 0x10000, v4
	v_cmp_eq_u32_sdwa vcc_lo, v4, v5 src0_sel:WORD_0 src1_sel:DWORD
	v_cndmask_b32_e32 v26, v21, v4, vcc_lo
; %bb.77:
	s_or_b32 exec_lo, exec_lo, s2
	v_mul_lo_u32 v21, v23, s0
	v_mul_lo_u32 v23, v22, s1
	v_mad_u64_u32 v[4:5], null, v22, s0, 0
	v_add3_u32 v5, v5, v23, v21
	v_lshlrev_b64 v[4:5], 1, v[4:5]
	v_add_co_u32 v21, vcc_lo, s5, v4
	v_add_co_ci_u32_e64 v22, null, s6, v5, vcc_lo
	v_add_co_u32 v4, vcc_lo, v21, v0
	v_add_co_ci_u32_e64 v5, null, v22, v1, vcc_lo
	global_store_short_d16_hi v[4:5], v26, off
	global_load_ushort v23, v[2:3], off offset:32
	s_waitcnt vmcnt(0)
	v_lshlrev_b32_e32 v23, 16, v23
	v_mul_f32_e32 v23, s9, v23
	v_and_b32_e32 v26, 0x7f800000, v23
	v_cmp_ne_u32_e32 vcc_lo, 0x7f800000, v26
                                        ; implicit-def: $vgpr26
	s_and_saveexec_b32 s2, vcc_lo
	s_xor_b32 s2, exec_lo, s2
; %bb.78:
	v_bfe_u32 v26, v23, 16, 1
	v_add3_u32 v26, v23, v26, 0x7fff
                                        ; implicit-def: $vgpr23
; %bb.79:
	s_andn2_saveexec_b32 s2, s2
; %bb.80:
	v_mov_b32_e32 v26, 0
	v_or_b32_e32 v27, 0x10000, v23
	v_cmp_eq_u32_sdwa vcc_lo, v23, v26 src0_sel:WORD_0 src1_sel:DWORD
	v_cndmask_b32_e32 v26, v27, v23, vcc_lo
; %bb.81:
	s_or_b32 exec_lo, exec_lo, s2
	v_and_b32_e32 v23, 0xffff0000, v26
	v_fmac_f32_e32 v23, s4, v20
	v_and_b32_e32 v20, 0x7f800000, v23
	v_cmp_ne_u32_e32 vcc_lo, 0x7f800000, v20
                                        ; implicit-def: $vgpr20
	s_and_saveexec_b32 s2, vcc_lo
	s_xor_b32 s2, exec_lo, s2
; %bb.82:
	v_bfe_u32 v20, v23, 16, 1
	v_add3_u32 v20, v23, v20, 0x7fff
                                        ; implicit-def: $vgpr23
; %bb.83:
	s_andn2_saveexec_b32 s2, s2
; %bb.84:
	v_mov_b32_e32 v20, 0
	v_or_b32_e32 v26, 0x10000, v23
	v_cmp_eq_u32_sdwa vcc_lo, v23, v20 src0_sel:WORD_0 src1_sel:DWORD
	v_cndmask_b32_e32 v20, v26, v23, vcc_lo
; %bb.85:
	s_or_b32 exec_lo, exec_lo, s2
	global_store_short_d16_hi v[4:5], v20, off offset:32
	global_load_ushort v20, v[2:3], off offset:64
	s_waitcnt vmcnt(0)
	v_lshlrev_b32_e32 v20, 16, v20
	v_mul_f32_e32 v20, s9, v20
	v_and_b32_e32 v23, 0x7f800000, v20
	v_cmp_ne_u32_e32 vcc_lo, 0x7f800000, v23
                                        ; implicit-def: $vgpr23
	s_and_saveexec_b32 s2, vcc_lo
	s_xor_b32 s2, exec_lo, s2
; %bb.86:
	v_bfe_u32 v23, v20, 16, 1
	v_add3_u32 v23, v20, v23, 0x7fff
                                        ; implicit-def: $vgpr20
; %bb.87:
	s_andn2_saveexec_b32 s2, s2
; %bb.88:
	v_mov_b32_e32 v23, 0
	v_or_b32_e32 v26, 0x10000, v20
	v_cmp_eq_u32_sdwa vcc_lo, v20, v23 src0_sel:WORD_0 src1_sel:DWORD
	v_cndmask_b32_e32 v23, v26, v20, vcc_lo
; %bb.89:
	s_or_b32 exec_lo, exec_lo, s2
	v_and_b32_e32 v20, 0xffff0000, v23
	v_fmac_f32_e32 v20, s4, v19
	v_and_b32_e32 v19, 0x7f800000, v20
	v_cmp_ne_u32_e32 vcc_lo, 0x7f800000, v19
                                        ; implicit-def: $vgpr19
	s_and_saveexec_b32 s2, vcc_lo
	s_xor_b32 s2, exec_lo, s2
; %bb.90:
	v_bfe_u32 v19, v20, 16, 1
	v_add3_u32 v19, v20, v19, 0x7fff
                                        ; implicit-def: $vgpr20
; %bb.91:
	s_andn2_saveexec_b32 s2, s2
; %bb.92:
	v_mov_b32_e32 v19, 0
	v_or_b32_e32 v23, 0x10000, v20
	v_cmp_eq_u32_sdwa vcc_lo, v20, v19 src0_sel:WORD_0 src1_sel:DWORD
	v_cndmask_b32_e32 v19, v23, v20, vcc_lo
; %bb.93:
	s_or_b32 exec_lo, exec_lo, s2
	global_store_short_d16_hi v[4:5], v19, off offset:64
	global_load_ushort v2, v[2:3], off offset:96
	s_waitcnt vmcnt(0)
	v_lshlrev_b32_e32 v2, 16, v2
	v_mul_f32_e32 v2, s9, v2
	v_and_b32_e32 v3, 0x7f800000, v2
	v_cmp_ne_u32_e32 vcc_lo, 0x7f800000, v3
                                        ; implicit-def: $vgpr3
	s_and_saveexec_b32 s2, vcc_lo
	s_xor_b32 s2, exec_lo, s2
; %bb.94:
	v_bfe_u32 v3, v2, 16, 1
	v_add3_u32 v3, v2, v3, 0x7fff
                                        ; implicit-def: $vgpr2
; %bb.95:
	s_andn2_saveexec_b32 s2, s2
; %bb.96:
	v_mov_b32_e32 v3, 0
	v_or_b32_e32 v19, 0x10000, v2
	v_cmp_eq_u32_sdwa vcc_lo, v2, v3 src0_sel:WORD_0 src1_sel:DWORD
	v_cndmask_b32_e32 v3, v19, v2, vcc_lo
; %bb.97:
	s_or_b32 exec_lo, exec_lo, s2
	v_and_b32_e32 v2, 0xffff0000, v3
	s_mov_b32 s2, exec_lo
	v_fmac_f32_e32 v2, s4, v18
                                        ; implicit-def: $vgpr18
	v_and_b32_e32 v3, 0x7f800000, v2
	v_cmpx_ne_u32_e32 0x7f800000, v3
	s_xor_b32 s2, exec_lo, s2
; %bb.98:
	v_bfe_u32 v3, v2, 16, 1
	v_add3_u32 v18, v2, v3, 0x7fff
                                        ; implicit-def: $vgpr2
; %bb.99:
	s_andn2_saveexec_b32 s2, s2
; %bb.100:
	v_mov_b32_e32 v3, 0
	v_or_b32_e32 v18, 0x10000, v2
	v_cmp_eq_u32_sdwa vcc_lo, v2, v3 src0_sel:WORD_0 src1_sel:DWORD
	v_cndmask_b32_e32 v18, v18, v2, vcc_lo
; %bb.101:
	s_or_b32 exec_lo, exec_lo, s2
	s_lshl_b64 s[2:3], s[14:15], 5
	global_store_short_d16_hi v[4:5], v18, off offset:96
	v_add_co_u32 v19, vcc_lo, v24, s2
	v_add_co_ci_u32_e64 v20, null, s3, v25, vcc_lo
	v_add_co_u32 v2, vcc_lo, v19, v0
	v_add_co_ci_u32_e64 v3, null, v20, v1, vcc_lo
	global_load_ushort v4, v[2:3], off
	s_waitcnt vmcnt(0)
	v_lshlrev_b32_e32 v4, 16, v4
	v_mul_f32_e32 v4, s9, v4
	v_and_b32_e32 v5, 0x7f800000, v4
	v_cmp_ne_u32_e32 vcc_lo, 0x7f800000, v5
                                        ; implicit-def: $vgpr5
	s_and_saveexec_b32 s2, vcc_lo
	s_xor_b32 s2, exec_lo, s2
; %bb.102:
	v_bfe_u32 v5, v4, 16, 1
	v_add3_u32 v5, v4, v5, 0x7fff
                                        ; implicit-def: $vgpr4
; %bb.103:
	s_andn2_saveexec_b32 s2, s2
; %bb.104:
	v_mov_b32_e32 v5, 0
	v_or_b32_e32 v18, 0x10000, v4
	v_cmp_eq_u32_sdwa vcc_lo, v4, v5 src0_sel:WORD_0 src1_sel:DWORD
	v_cndmask_b32_e32 v5, v18, v4, vcc_lo
; %bb.105:
	s_or_b32 exec_lo, exec_lo, s2
	v_and_b32_e32 v4, 0xffff0000, v5
	s_mov_b32 s2, exec_lo
                                        ; implicit-def: $vgpr23
	v_fmac_f32_e32 v4, s4, v17
	v_and_b32_e32 v5, 0x7f800000, v4
	v_cmpx_ne_u32_e32 0x7f800000, v5
	s_xor_b32 s2, exec_lo, s2
; %bb.106:
	v_bfe_u32 v5, v4, 16, 1
	v_add3_u32 v23, v4, v5, 0x7fff
                                        ; implicit-def: $vgpr4
; %bb.107:
	s_andn2_saveexec_b32 s2, s2
; %bb.108:
	v_mov_b32_e32 v5, 0
	v_or_b32_e32 v17, 0x10000, v4
	v_cmp_eq_u32_sdwa vcc_lo, v4, v5 src0_sel:WORD_0 src1_sel:DWORD
	v_cndmask_b32_e32 v23, v17, v4, vcc_lo
; %bb.109:
	s_or_b32 exec_lo, exec_lo, s2
	s_lshl_b64 s[2:3], s[0:1], 5
	v_add_co_u32 v17, vcc_lo, v21, s2
	v_add_co_ci_u32_e64 v18, null, s3, v22, vcc_lo
	v_add_co_u32 v4, vcc_lo, v17, v0
	v_add_co_ci_u32_e64 v5, null, v18, v1, vcc_lo
	global_store_short_d16_hi v[4:5], v23, off
	global_load_ushort v21, v[2:3], off offset:32
	s_waitcnt vmcnt(0)
	v_lshlrev_b32_e32 v21, 16, v21
	v_mul_f32_e32 v21, s9, v21
	v_and_b32_e32 v22, 0x7f800000, v21
	v_cmp_ne_u32_e32 vcc_lo, 0x7f800000, v22
                                        ; implicit-def: $vgpr22
	s_and_saveexec_b32 s2, vcc_lo
	s_xor_b32 s2, exec_lo, s2
; %bb.110:
	v_bfe_u32 v22, v21, 16, 1
	v_add3_u32 v22, v21, v22, 0x7fff
                                        ; implicit-def: $vgpr21
; %bb.111:
	s_andn2_saveexec_b32 s2, s2
; %bb.112:
	v_mov_b32_e32 v22, 0
	v_or_b32_e32 v23, 0x10000, v21
	v_cmp_eq_u32_sdwa vcc_lo, v21, v22 src0_sel:WORD_0 src1_sel:DWORD
	v_cndmask_b32_e32 v22, v23, v21, vcc_lo
; %bb.113:
	s_or_b32 exec_lo, exec_lo, s2
	v_and_b32_e32 v21, 0xffff0000, v22
	v_fmac_f32_e32 v21, s4, v16
	v_and_b32_e32 v16, 0x7f800000, v21
	v_cmp_ne_u32_e32 vcc_lo, 0x7f800000, v16
                                        ; implicit-def: $vgpr16
	s_and_saveexec_b32 s2, vcc_lo
	s_xor_b32 s2, exec_lo, s2
; %bb.114:
	v_bfe_u32 v16, v21, 16, 1
	v_add3_u32 v16, v21, v16, 0x7fff
                                        ; implicit-def: $vgpr21
; %bb.115:
	s_andn2_saveexec_b32 s2, s2
; %bb.116:
	v_mov_b32_e32 v16, 0
	v_or_b32_e32 v22, 0x10000, v21
	v_cmp_eq_u32_sdwa vcc_lo, v21, v16 src0_sel:WORD_0 src1_sel:DWORD
	v_cndmask_b32_e32 v16, v22, v21, vcc_lo
; %bb.117:
	s_or_b32 exec_lo, exec_lo, s2
	global_store_short_d16_hi v[4:5], v16, off offset:32
	global_load_ushort v16, v[2:3], off offset:64
	s_waitcnt vmcnt(0)
	v_lshlrev_b32_e32 v16, 16, v16
	v_mul_f32_e32 v16, s9, v16
	v_and_b32_e32 v21, 0x7f800000, v16
	v_cmp_ne_u32_e32 vcc_lo, 0x7f800000, v21
                                        ; implicit-def: $vgpr21
	s_and_saveexec_b32 s2, vcc_lo
	s_xor_b32 s2, exec_lo, s2
; %bb.118:
	v_bfe_u32 v21, v16, 16, 1
	v_add3_u32 v21, v16, v21, 0x7fff
                                        ; implicit-def: $vgpr16
; %bb.119:
	s_andn2_saveexec_b32 s2, s2
; %bb.120:
	v_mov_b32_e32 v21, 0
	v_or_b32_e32 v22, 0x10000, v16
	v_cmp_eq_u32_sdwa vcc_lo, v16, v21 src0_sel:WORD_0 src1_sel:DWORD
	v_cndmask_b32_e32 v21, v22, v16, vcc_lo
; %bb.121:
	s_or_b32 exec_lo, exec_lo, s2
	v_and_b32_e32 v16, 0xffff0000, v21
	v_fmac_f32_e32 v16, s4, v15
	v_and_b32_e32 v15, 0x7f800000, v16
	v_cmp_ne_u32_e32 vcc_lo, 0x7f800000, v15
                                        ; implicit-def: $vgpr15
	s_and_saveexec_b32 s2, vcc_lo
	s_xor_b32 s2, exec_lo, s2
; %bb.122:
	v_bfe_u32 v15, v16, 16, 1
	v_add3_u32 v15, v16, v15, 0x7fff
                                        ; implicit-def: $vgpr16
; %bb.123:
	s_andn2_saveexec_b32 s2, s2
; %bb.124:
	v_mov_b32_e32 v15, 0
	v_or_b32_e32 v21, 0x10000, v16
	v_cmp_eq_u32_sdwa vcc_lo, v16, v15 src0_sel:WORD_0 src1_sel:DWORD
	v_cndmask_b32_e32 v15, v21, v16, vcc_lo
; %bb.125:
	s_or_b32 exec_lo, exec_lo, s2
	global_store_short_d16_hi v[4:5], v15, off offset:64
	global_load_ushort v2, v[2:3], off offset:96
	s_waitcnt vmcnt(0)
	v_lshlrev_b32_e32 v2, 16, v2
	v_mul_f32_e32 v2, s9, v2
	v_and_b32_e32 v3, 0x7f800000, v2
	v_cmp_ne_u32_e32 vcc_lo, 0x7f800000, v3
                                        ; implicit-def: $vgpr3
	s_and_saveexec_b32 s2, vcc_lo
	s_xor_b32 s2, exec_lo, s2
; %bb.126:
	v_bfe_u32 v3, v2, 16, 1
	v_add3_u32 v3, v2, v3, 0x7fff
                                        ; implicit-def: $vgpr2
; %bb.127:
	s_andn2_saveexec_b32 s2, s2
; %bb.128:
	v_mov_b32_e32 v3, 0
	v_or_b32_e32 v15, 0x10000, v2
	v_cmp_eq_u32_sdwa vcc_lo, v2, v3 src0_sel:WORD_0 src1_sel:DWORD
	v_cndmask_b32_e32 v3, v15, v2, vcc_lo
; %bb.129:
	s_or_b32 exec_lo, exec_lo, s2
	v_and_b32_e32 v2, 0xffff0000, v3
	s_mov_b32 s2, exec_lo
                                        ; implicit-def: $vgpr16
	v_fmac_f32_e32 v2, s4, v14
	v_and_b32_e32 v3, 0x7f800000, v2
	v_cmpx_ne_u32_e32 0x7f800000, v3
	s_xor_b32 s2, exec_lo, s2
; %bb.130:
	v_bfe_u32 v3, v2, 16, 1
	v_add3_u32 v16, v2, v3, 0x7fff
                                        ; implicit-def: $vgpr2
; %bb.131:
	s_or_saveexec_b32 s5, s2
	s_lshl_b64 s[2:3], s[14:15], 4
	s_xor_b32 exec_lo, exec_lo, s5
; %bb.132:
	v_mov_b32_e32 v3, 0
	v_or_b32_e32 v14, 0x10000, v2
	v_cmp_eq_u32_sdwa vcc_lo, v2, v3 src0_sel:WORD_0 src1_sel:DWORD
	v_cndmask_b32_e32 v16, v14, v2, vcc_lo
; %bb.133:
	s_or_b32 exec_lo, exec_lo, s5
	s_lshl_b64 s[2:3], s[2:3], 1
	global_store_short_d16_hi v[4:5], v16, off offset:96
	v_add_co_u32 v14, vcc_lo, v19, s2
	v_add_co_ci_u32_e64 v15, null, s3, v20, vcc_lo
	v_add_co_u32 v2, vcc_lo, v14, v0
	v_add_co_ci_u32_e64 v3, null, v15, v1, vcc_lo
	global_load_ushort v4, v[2:3], off
	s_waitcnt vmcnt(0)
	v_lshlrev_b32_e32 v4, 16, v4
	v_mul_f32_e32 v4, s9, v4
	v_and_b32_e32 v5, 0x7f800000, v4
	v_cmp_ne_u32_e32 vcc_lo, 0x7f800000, v5
                                        ; implicit-def: $vgpr5
	s_and_saveexec_b32 s5, vcc_lo
	s_xor_b32 s5, exec_lo, s5
; %bb.134:
	v_bfe_u32 v5, v4, 16, 1
	v_add3_u32 v5, v4, v5, 0x7fff
                                        ; implicit-def: $vgpr4
; %bb.135:
	s_andn2_saveexec_b32 s5, s5
; %bb.136:
	v_mov_b32_e32 v5, 0
	v_or_b32_e32 v16, 0x10000, v4
	v_cmp_eq_u32_sdwa vcc_lo, v4, v5 src0_sel:WORD_0 src1_sel:DWORD
	v_cndmask_b32_e32 v5, v16, v4, vcc_lo
; %bb.137:
	s_or_b32 exec_lo, exec_lo, s5
	v_and_b32_e32 v4, 0xffff0000, v5
	s_mov_b32 s5, exec_lo
                                        ; implicit-def: $vgpr19
	v_fmac_f32_e32 v4, s4, v13
	v_and_b32_e32 v5, 0x7f800000, v4
	v_cmpx_ne_u32_e32 0x7f800000, v5
	s_xor_b32 s5, exec_lo, s5
; %bb.138:
	v_bfe_u32 v5, v4, 16, 1
	v_add3_u32 v19, v4, v5, 0x7fff
                                        ; implicit-def: $vgpr4
; %bb.139:
	s_or_saveexec_b32 s5, s5
	s_lshl_b64 s[0:1], s[0:1], 4
	s_xor_b32 exec_lo, exec_lo, s5
; %bb.140:
	v_mov_b32_e32 v5, 0
	v_or_b32_e32 v13, 0x10000, v4
	v_cmp_eq_u32_sdwa vcc_lo, v4, v5 src0_sel:WORD_0 src1_sel:DWORD
	v_cndmask_b32_e32 v19, v13, v4, vcc_lo
; %bb.141:
	s_or_b32 exec_lo, exec_lo, s5
	s_lshl_b64 s[0:1], s[0:1], 1
	v_add_co_u32 v13, vcc_lo, v17, s0
	v_add_co_ci_u32_e64 v16, null, s1, v18, vcc_lo
	v_add_co_u32 v4, vcc_lo, v13, v0
	v_add_co_ci_u32_e64 v5, null, v16, v1, vcc_lo
	global_store_short_d16_hi v[4:5], v19, off
	global_load_ushort v17, v[2:3], off offset:32
	s_waitcnt vmcnt(0)
	v_lshlrev_b32_e32 v17, 16, v17
	v_mul_f32_e32 v17, s9, v17
	v_and_b32_e32 v18, 0x7f800000, v17
	v_cmp_ne_u32_e32 vcc_lo, 0x7f800000, v18
                                        ; implicit-def: $vgpr18
	s_and_saveexec_b32 s5, vcc_lo
	s_xor_b32 s5, exec_lo, s5
; %bb.142:
	v_bfe_u32 v18, v17, 16, 1
	v_add3_u32 v18, v17, v18, 0x7fff
                                        ; implicit-def: $vgpr17
; %bb.143:
	s_andn2_saveexec_b32 s5, s5
; %bb.144:
	v_mov_b32_e32 v18, 0
	v_or_b32_e32 v19, 0x10000, v17
	v_cmp_eq_u32_sdwa vcc_lo, v17, v18 src0_sel:WORD_0 src1_sel:DWORD
	v_cndmask_b32_e32 v18, v19, v17, vcc_lo
; %bb.145:
	s_or_b32 exec_lo, exec_lo, s5
	v_and_b32_e32 v17, 0xffff0000, v18
	v_fmac_f32_e32 v17, s4, v12
	v_and_b32_e32 v12, 0x7f800000, v17
	v_cmp_ne_u32_e32 vcc_lo, 0x7f800000, v12
                                        ; implicit-def: $vgpr12
	s_and_saveexec_b32 s5, vcc_lo
	s_xor_b32 s5, exec_lo, s5
; %bb.146:
	v_bfe_u32 v12, v17, 16, 1
	v_add3_u32 v12, v17, v12, 0x7fff
                                        ; implicit-def: $vgpr17
; %bb.147:
	s_andn2_saveexec_b32 s5, s5
; %bb.148:
	v_mov_b32_e32 v12, 0
	v_or_b32_e32 v18, 0x10000, v17
	v_cmp_eq_u32_sdwa vcc_lo, v17, v12 src0_sel:WORD_0 src1_sel:DWORD
	v_cndmask_b32_e32 v12, v18, v17, vcc_lo
; %bb.149:
	s_or_b32 exec_lo, exec_lo, s5
	global_store_short_d16_hi v[4:5], v12, off offset:32
	global_load_ushort v12, v[2:3], off offset:64
	s_waitcnt vmcnt(0)
	v_lshlrev_b32_e32 v12, 16, v12
	v_mul_f32_e32 v12, s9, v12
	v_and_b32_e32 v17, 0x7f800000, v12
	v_cmp_ne_u32_e32 vcc_lo, 0x7f800000, v17
                                        ; implicit-def: $vgpr17
	s_and_saveexec_b32 s5, vcc_lo
	s_xor_b32 s5, exec_lo, s5
; %bb.150:
	v_bfe_u32 v17, v12, 16, 1
	v_add3_u32 v17, v12, v17, 0x7fff
                                        ; implicit-def: $vgpr12
; %bb.151:
	s_andn2_saveexec_b32 s5, s5
; %bb.152:
	v_mov_b32_e32 v17, 0
	v_or_b32_e32 v18, 0x10000, v12
	v_cmp_eq_u32_sdwa vcc_lo, v12, v17 src0_sel:WORD_0 src1_sel:DWORD
	v_cndmask_b32_e32 v17, v18, v12, vcc_lo
; %bb.153:
	s_or_b32 exec_lo, exec_lo, s5
	v_and_b32_e32 v12, 0xffff0000, v17
	v_fmac_f32_e32 v12, s4, v11
	v_and_b32_e32 v11, 0x7f800000, v12
	v_cmp_ne_u32_e32 vcc_lo, 0x7f800000, v11
                                        ; implicit-def: $vgpr11
	s_and_saveexec_b32 s5, vcc_lo
	s_xor_b32 s5, exec_lo, s5
; %bb.154:
	v_bfe_u32 v11, v12, 16, 1
	v_add3_u32 v11, v12, v11, 0x7fff
                                        ; implicit-def: $vgpr12
; %bb.155:
	s_andn2_saveexec_b32 s5, s5
; %bb.156:
	v_mov_b32_e32 v11, 0
	v_or_b32_e32 v17, 0x10000, v12
	v_cmp_eq_u32_sdwa vcc_lo, v12, v11 src0_sel:WORD_0 src1_sel:DWORD
	v_cndmask_b32_e32 v11, v17, v12, vcc_lo
; %bb.157:
	s_or_b32 exec_lo, exec_lo, s5
	global_store_short_d16_hi v[4:5], v11, off offset:64
	global_load_ushort v2, v[2:3], off offset:96
	s_waitcnt vmcnt(0)
	v_lshlrev_b32_e32 v2, 16, v2
	v_mul_f32_e32 v2, s9, v2
	v_and_b32_e32 v3, 0x7f800000, v2
	v_cmp_ne_u32_e32 vcc_lo, 0x7f800000, v3
                                        ; implicit-def: $vgpr3
	s_and_saveexec_b32 s5, vcc_lo
	s_xor_b32 s5, exec_lo, s5
; %bb.158:
	v_bfe_u32 v3, v2, 16, 1
	v_add3_u32 v3, v2, v3, 0x7fff
                                        ; implicit-def: $vgpr2
; %bb.159:
	s_andn2_saveexec_b32 s5, s5
; %bb.160:
	v_mov_b32_e32 v3, 0
	v_or_b32_e32 v11, 0x10000, v2
	v_cmp_eq_u32_sdwa vcc_lo, v2, v3 src0_sel:WORD_0 src1_sel:DWORD
	v_cndmask_b32_e32 v3, v11, v2, vcc_lo
; %bb.161:
	s_or_b32 exec_lo, exec_lo, s5
	v_and_b32_e32 v2, 0xffff0000, v3
	s_mov_b32 s5, exec_lo
	v_fmac_f32_e32 v2, s4, v10
                                        ; implicit-def: $vgpr10
	v_and_b32_e32 v3, 0x7f800000, v2
	v_cmpx_ne_u32_e32 0x7f800000, v3
	s_xor_b32 s5, exec_lo, s5
; %bb.162:
	v_bfe_u32 v3, v2, 16, 1
	v_add3_u32 v10, v2, v3, 0x7fff
                                        ; implicit-def: $vgpr2
; %bb.163:
	s_andn2_saveexec_b32 s5, s5
; %bb.164:
	v_mov_b32_e32 v3, 0
	v_or_b32_e32 v10, 0x10000, v2
	v_cmp_eq_u32_sdwa vcc_lo, v2, v3 src0_sel:WORD_0 src1_sel:DWORD
	v_cndmask_b32_e32 v10, v10, v2, vcc_lo
; %bb.165:
	s_or_b32 exec_lo, exec_lo, s5
	v_add_co_u32 v2, vcc_lo, v14, s2
	v_add_co_ci_u32_e64 v3, null, s3, v15, vcc_lo
	global_store_short_d16_hi v[4:5], v10, off offset:96
	v_add_co_u32 v2, vcc_lo, v2, v0
	v_add_co_ci_u32_e64 v3, null, v3, v1, vcc_lo
	global_load_ushort v4, v[2:3], off
	s_waitcnt vmcnt(0)
	v_lshlrev_b32_e32 v4, 16, v4
	v_mul_f32_e32 v4, s9, v4
	v_and_b32_e32 v5, 0x7f800000, v4
	v_cmp_ne_u32_e32 vcc_lo, 0x7f800000, v5
                                        ; implicit-def: $vgpr5
	s_and_saveexec_b32 s2, vcc_lo
	s_xor_b32 s2, exec_lo, s2
; %bb.166:
	v_bfe_u32 v5, v4, 16, 1
	v_add3_u32 v5, v4, v5, 0x7fff
                                        ; implicit-def: $vgpr4
; %bb.167:
	s_andn2_saveexec_b32 s2, s2
; %bb.168:
	v_mov_b32_e32 v5, 0
	v_or_b32_e32 v10, 0x10000, v4
	v_cmp_eq_u32_sdwa vcc_lo, v4, v5 src0_sel:WORD_0 src1_sel:DWORD
	v_cndmask_b32_e32 v5, v10, v4, vcc_lo
; %bb.169:
	s_or_b32 exec_lo, exec_lo, s2
	v_and_b32_e32 v5, 0xffff0000, v5
	v_fmac_f32_e32 v5, s4, v9
	v_and_b32_e32 v4, 0x7f800000, v5
	v_cmp_ne_u32_e32 vcc_lo, 0x7f800000, v4
                                        ; implicit-def: $vgpr4
	s_and_saveexec_b32 s2, vcc_lo
	s_xor_b32 s2, exec_lo, s2
; %bb.170:
	v_bfe_u32 v4, v5, 16, 1
	v_add3_u32 v4, v5, v4, 0x7fff
                                        ; implicit-def: $vgpr5
; %bb.171:
	s_andn2_saveexec_b32 s2, s2
; %bb.172:
	v_mov_b32_e32 v4, 0
	v_or_b32_e32 v9, 0x10000, v5
	v_cmp_eq_u32_sdwa vcc_lo, v5, v4 src0_sel:WORD_0 src1_sel:DWORD
	v_cndmask_b32_e32 v4, v9, v5, vcc_lo
; %bb.173:
	s_or_b32 exec_lo, exec_lo, s2
	v_add_co_u32 v5, vcc_lo, v13, s0
	v_add_co_ci_u32_e64 v9, null, s1, v16, vcc_lo
	v_add_co_u32 v0, vcc_lo, v5, v0
	v_add_co_ci_u32_e64 v1, null, v9, v1, vcc_lo
	global_store_short_d16_hi v[0:1], v4, off
	global_load_ushort v4, v[2:3], off offset:32
	s_waitcnt vmcnt(0)
	v_lshlrev_b32_e32 v4, 16, v4
	v_mul_f32_e32 v4, s9, v4
	v_and_b32_e32 v5, 0x7f800000, v4
	v_cmp_ne_u32_e32 vcc_lo, 0x7f800000, v5
                                        ; implicit-def: $vgpr5
	s_and_saveexec_b32 s0, vcc_lo
	s_xor_b32 s0, exec_lo, s0
; %bb.174:
	v_bfe_u32 v5, v4, 16, 1
	v_add3_u32 v5, v4, v5, 0x7fff
                                        ; implicit-def: $vgpr4
; %bb.175:
	s_andn2_saveexec_b32 s0, s0
; %bb.176:
	v_mov_b32_e32 v5, 0
	v_or_b32_e32 v9, 0x10000, v4
	v_cmp_eq_u32_sdwa vcc_lo, v4, v5 src0_sel:WORD_0 src1_sel:DWORD
	v_cndmask_b32_e32 v5, v9, v4, vcc_lo
; %bb.177:
	s_or_b32 exec_lo, exec_lo, s0
	v_and_b32_e32 v4, 0xffff0000, v5
	v_fmac_f32_e32 v4, s4, v8
	v_and_b32_e32 v5, 0x7f800000, v4
	v_cmp_ne_u32_e32 vcc_lo, 0x7f800000, v5
                                        ; implicit-def: $vgpr5
	s_and_saveexec_b32 s0, vcc_lo
	s_xor_b32 s0, exec_lo, s0
; %bb.178:
	v_bfe_u32 v5, v4, 16, 1
	v_add3_u32 v5, v4, v5, 0x7fff
                                        ; implicit-def: $vgpr4
; %bb.179:
	s_andn2_saveexec_b32 s0, s0
; %bb.180:
	v_mov_b32_e32 v5, 0
	v_or_b32_e32 v8, 0x10000, v4
	v_cmp_eq_u32_sdwa vcc_lo, v4, v5 src0_sel:WORD_0 src1_sel:DWORD
	v_cndmask_b32_e32 v5, v8, v4, vcc_lo
; %bb.181:
	s_or_b32 exec_lo, exec_lo, s0
	global_store_short_d16_hi v[0:1], v5, off offset:32
	global_load_ushort v4, v[2:3], off offset:64
	s_waitcnt vmcnt(0)
	v_lshlrev_b32_e32 v4, 16, v4
	v_mul_f32_e32 v4, s9, v4
	v_and_b32_e32 v5, 0x7f800000, v4
	v_cmp_ne_u32_e32 vcc_lo, 0x7f800000, v5
                                        ; implicit-def: $vgpr5
	s_and_saveexec_b32 s0, vcc_lo
	s_xor_b32 s0, exec_lo, s0
; %bb.182:
	v_bfe_u32 v5, v4, 16, 1
	v_add3_u32 v5, v4, v5, 0x7fff
                                        ; implicit-def: $vgpr4
; %bb.183:
	s_andn2_saveexec_b32 s0, s0
; %bb.184:
	v_mov_b32_e32 v5, 0
	v_or_b32_e32 v8, 0x10000, v4
	v_cmp_eq_u32_sdwa vcc_lo, v4, v5 src0_sel:WORD_0 src1_sel:DWORD
	v_cndmask_b32_e32 v5, v8, v4, vcc_lo
; %bb.185:
	s_or_b32 exec_lo, exec_lo, s0
	v_and_b32_e32 v4, 0xffff0000, v5
	v_fmac_f32_e32 v4, s4, v7
	v_and_b32_e32 v5, 0x7f800000, v4
	v_cmp_ne_u32_e32 vcc_lo, 0x7f800000, v5
                                        ; implicit-def: $vgpr5
	s_and_saveexec_b32 s0, vcc_lo
	s_xor_b32 s0, exec_lo, s0
; %bb.186:
	v_bfe_u32 v5, v4, 16, 1
	v_add3_u32 v5, v4, v5, 0x7fff
                                        ; implicit-def: $vgpr4
; %bb.187:
	s_andn2_saveexec_b32 s0, s0
; %bb.188:
	v_mov_b32_e32 v5, 0
	v_or_b32_e32 v7, 0x10000, v4
	v_cmp_eq_u32_sdwa vcc_lo, v4, v5 src0_sel:WORD_0 src1_sel:DWORD
	v_cndmask_b32_e32 v5, v7, v4, vcc_lo
; %bb.189:
	s_or_b32 exec_lo, exec_lo, s0
	global_store_short_d16_hi v[0:1], v5, off offset:64
	global_load_ushort v2, v[2:3], off offset:96
	s_waitcnt vmcnt(0)
	v_lshlrev_b32_e32 v2, 16, v2
	v_mul_f32_e32 v2, s9, v2
	v_and_b32_e32 v3, 0x7f800000, v2
	v_cmp_ne_u32_e32 vcc_lo, 0x7f800000, v3
                                        ; implicit-def: $vgpr3
	s_and_saveexec_b32 s0, vcc_lo
	s_xor_b32 s0, exec_lo, s0
; %bb.190:
	v_bfe_u32 v3, v2, 16, 1
	v_add3_u32 v3, v2, v3, 0x7fff
                                        ; implicit-def: $vgpr2
; %bb.191:
	s_andn2_saveexec_b32 s0, s0
; %bb.192:
	v_mov_b32_e32 v3, 0
	v_or_b32_e32 v4, 0x10000, v2
	v_cmp_eq_u32_sdwa vcc_lo, v2, v3 src0_sel:WORD_0 src1_sel:DWORD
	v_cndmask_b32_e32 v3, v4, v2, vcc_lo
; %bb.193:
	s_or_b32 exec_lo, exec_lo, s0
	v_and_b32_e32 v2, 0xffff0000, v3
	v_fmac_f32_e32 v2, s4, v6
	v_and_b32_e32 v3, 0x7f800000, v2
	v_cmp_ne_u32_e32 vcc_lo, 0x7f800000, v3
                                        ; implicit-def: $vgpr3
	s_and_saveexec_b32 s0, vcc_lo
	s_xor_b32 s0, exec_lo, s0
	s_cbranch_execnz .LBB419_198
; %bb.194:
	s_andn2_saveexec_b32 s0, s0
	s_cbranch_execnz .LBB419_199
.LBB419_195:
	s_or_b32 exec_lo, exec_lo, s0
	global_store_short_d16_hi v[0:1], v3, off offset:96
	s_endpgm
.LBB419_196:
	s_cbranch_execnz .LBB419_69
.LBB419_197:
	s_endpgm
.LBB419_198:
	v_bfe_u32 v3, v2, 16, 1
	v_add3_u32 v3, v2, v3, 0x7fff
                                        ; implicit-def: $vgpr2
	s_andn2_saveexec_b32 s0, s0
	s_cbranch_execz .LBB419_195
.LBB419_199:
	v_mov_b32_e32 v3, 0
	v_or_b32_e32 v4, 0x10000, v2
	v_cmp_eq_u32_sdwa vcc_lo, v2, v3 src0_sel:WORD_0 src1_sel:DWORD
	v_cndmask_b32_e32 v3, v4, v2, vcc_lo
	s_or_b32 exec_lo, exec_lo, s0
	global_store_short_d16_hi v[0:1], v3, off offset:96
	s_endpgm
	.section	.rodata,"a",@progbits
	.p2align	6, 0x0
	.amdhsa_kernel _ZN12_GLOBAL__N_127rocblas_gemm_batched_kernelIfLi16ELi16ELi64ELi64ELi4ELi64ELi4ELi4ELi64ELc84ELc78EK16rocblas_bfloat16S2_S1_EEvlllT_PT11_llS5_llS3_PT12_llPT13_lli
		.amdhsa_group_segment_fixed_size 2048
		.amdhsa_private_segment_fixed_size 0
		.amdhsa_kernarg_size 140
		.amdhsa_user_sgpr_count 6
		.amdhsa_user_sgpr_private_segment_buffer 1
		.amdhsa_user_sgpr_dispatch_ptr 0
		.amdhsa_user_sgpr_queue_ptr 0
		.amdhsa_user_sgpr_kernarg_segment_ptr 1
		.amdhsa_user_sgpr_dispatch_id 0
		.amdhsa_user_sgpr_flat_scratch_init 0
		.amdhsa_user_sgpr_private_segment_size 0
		.amdhsa_wavefront_size32 1
		.amdhsa_uses_dynamic_stack 0
		.amdhsa_system_sgpr_private_segment_wavefront_offset 0
		.amdhsa_system_sgpr_workgroup_id_x 1
		.amdhsa_system_sgpr_workgroup_id_y 1
		.amdhsa_system_sgpr_workgroup_id_z 1
		.amdhsa_system_sgpr_workgroup_info 0
		.amdhsa_system_vgpr_workitem_id 1
		.amdhsa_next_free_vgpr 58
		.amdhsa_next_free_sgpr 22
		.amdhsa_reserve_vcc 1
		.amdhsa_reserve_flat_scratch 0
		.amdhsa_float_round_mode_32 0
		.amdhsa_float_round_mode_16_64 0
		.amdhsa_float_denorm_mode_32 3
		.amdhsa_float_denorm_mode_16_64 3
		.amdhsa_dx10_clamp 1
		.amdhsa_ieee_mode 1
		.amdhsa_fp16_overflow 0
		.amdhsa_workgroup_processor_mode 1
		.amdhsa_memory_ordered 1
		.amdhsa_forward_progress 1
		.amdhsa_shared_vgpr_count 0
		.amdhsa_exception_fp_ieee_invalid_op 0
		.amdhsa_exception_fp_denorm_src 0
		.amdhsa_exception_fp_ieee_div_zero 0
		.amdhsa_exception_fp_ieee_overflow 0
		.amdhsa_exception_fp_ieee_underflow 0
		.amdhsa_exception_fp_ieee_inexact 0
		.amdhsa_exception_int_div_zero 0
	.end_amdhsa_kernel
	.section	.text._ZN12_GLOBAL__N_127rocblas_gemm_batched_kernelIfLi16ELi16ELi64ELi64ELi4ELi64ELi4ELi4ELi64ELc84ELc78EK16rocblas_bfloat16S2_S1_EEvlllT_PT11_llS5_llS3_PT12_llPT13_lli,"axG",@progbits,_ZN12_GLOBAL__N_127rocblas_gemm_batched_kernelIfLi16ELi16ELi64ELi64ELi4ELi64ELi4ELi4ELi64ELc84ELc78EK16rocblas_bfloat16S2_S1_EEvlllT_PT11_llS5_llS3_PT12_llPT13_lli,comdat
.Lfunc_end419:
	.size	_ZN12_GLOBAL__N_127rocblas_gemm_batched_kernelIfLi16ELi16ELi64ELi64ELi4ELi64ELi4ELi4ELi64ELc84ELc78EK16rocblas_bfloat16S2_S1_EEvlllT_PT11_llS5_llS3_PT12_llPT13_lli, .Lfunc_end419-_ZN12_GLOBAL__N_127rocblas_gemm_batched_kernelIfLi16ELi16ELi64ELi64ELi4ELi64ELi4ELi4ELi64ELc84ELc78EK16rocblas_bfloat16S2_S1_EEvlllT_PT11_llS5_llS3_PT12_llPT13_lli
                                        ; -- End function
	.set _ZN12_GLOBAL__N_127rocblas_gemm_batched_kernelIfLi16ELi16ELi64ELi64ELi4ELi64ELi4ELi4ELi64ELc84ELc78EK16rocblas_bfloat16S2_S1_EEvlllT_PT11_llS5_llS3_PT12_llPT13_lli.num_vgpr, 58
	.set _ZN12_GLOBAL__N_127rocblas_gemm_batched_kernelIfLi16ELi16ELi64ELi64ELi4ELi64ELi4ELi4ELi64ELc84ELc78EK16rocblas_bfloat16S2_S1_EEvlllT_PT11_llS5_llS3_PT12_llPT13_lli.num_agpr, 0
	.set _ZN12_GLOBAL__N_127rocblas_gemm_batched_kernelIfLi16ELi16ELi64ELi64ELi4ELi64ELi4ELi4ELi64ELc84ELc78EK16rocblas_bfloat16S2_S1_EEvlllT_PT11_llS5_llS3_PT12_llPT13_lli.numbered_sgpr, 22
	.set _ZN12_GLOBAL__N_127rocblas_gemm_batched_kernelIfLi16ELi16ELi64ELi64ELi4ELi64ELi4ELi4ELi64ELc84ELc78EK16rocblas_bfloat16S2_S1_EEvlllT_PT11_llS5_llS3_PT12_llPT13_lli.num_named_barrier, 0
	.set _ZN12_GLOBAL__N_127rocblas_gemm_batched_kernelIfLi16ELi16ELi64ELi64ELi4ELi64ELi4ELi4ELi64ELc84ELc78EK16rocblas_bfloat16S2_S1_EEvlllT_PT11_llS5_llS3_PT12_llPT13_lli.private_seg_size, 0
	.set _ZN12_GLOBAL__N_127rocblas_gemm_batched_kernelIfLi16ELi16ELi64ELi64ELi4ELi64ELi4ELi4ELi64ELc84ELc78EK16rocblas_bfloat16S2_S1_EEvlllT_PT11_llS5_llS3_PT12_llPT13_lli.uses_vcc, 1
	.set _ZN12_GLOBAL__N_127rocblas_gemm_batched_kernelIfLi16ELi16ELi64ELi64ELi4ELi64ELi4ELi4ELi64ELc84ELc78EK16rocblas_bfloat16S2_S1_EEvlllT_PT11_llS5_llS3_PT12_llPT13_lli.uses_flat_scratch, 0
	.set _ZN12_GLOBAL__N_127rocblas_gemm_batched_kernelIfLi16ELi16ELi64ELi64ELi4ELi64ELi4ELi4ELi64ELc84ELc78EK16rocblas_bfloat16S2_S1_EEvlllT_PT11_llS5_llS3_PT12_llPT13_lli.has_dyn_sized_stack, 0
	.set _ZN12_GLOBAL__N_127rocblas_gemm_batched_kernelIfLi16ELi16ELi64ELi64ELi4ELi64ELi4ELi4ELi64ELc84ELc78EK16rocblas_bfloat16S2_S1_EEvlllT_PT11_llS5_llS3_PT12_llPT13_lli.has_recursion, 0
	.set _ZN12_GLOBAL__N_127rocblas_gemm_batched_kernelIfLi16ELi16ELi64ELi64ELi4ELi64ELi4ELi4ELi64ELc84ELc78EK16rocblas_bfloat16S2_S1_EEvlllT_PT11_llS5_llS3_PT12_llPT13_lli.has_indirect_call, 0
	.section	.AMDGPU.csdata,"",@progbits
; Kernel info:
; codeLenInByte = 6256
; TotalNumSgprs: 24
; NumVgprs: 58
; ScratchSize: 0
; MemoryBound: 0
; FloatMode: 240
; IeeeMode: 1
; LDSByteSize: 2048 bytes/workgroup (compile time only)
; SGPRBlocks: 0
; VGPRBlocks: 7
; NumSGPRsForWavesPerEU: 24
; NumVGPRsForWavesPerEU: 58
; Occupancy: 16
; WaveLimiterHint : 0
; COMPUTE_PGM_RSRC2:SCRATCH_EN: 0
; COMPUTE_PGM_RSRC2:USER_SGPR: 6
; COMPUTE_PGM_RSRC2:TRAP_HANDLER: 0
; COMPUTE_PGM_RSRC2:TGID_X_EN: 1
; COMPUTE_PGM_RSRC2:TGID_Y_EN: 1
; COMPUTE_PGM_RSRC2:TGID_Z_EN: 1
; COMPUTE_PGM_RSRC2:TIDIG_COMP_CNT: 1
	.section	.text._ZN12_GLOBAL__N_127rocblas_gemm_batched_kernelIfLi16ELi16ELi64ELi64ELi4ELi64ELi4ELi4ELi64ELc78ELc84EK16rocblas_bfloat16S2_S1_EEvlllT_PT11_llS5_llS3_PT12_llPT13_lli,"axG",@progbits,_ZN12_GLOBAL__N_127rocblas_gemm_batched_kernelIfLi16ELi16ELi64ELi64ELi4ELi64ELi4ELi4ELi64ELc78ELc84EK16rocblas_bfloat16S2_S1_EEvlllT_PT11_llS5_llS3_PT12_llPT13_lli,comdat
	.globl	_ZN12_GLOBAL__N_127rocblas_gemm_batched_kernelIfLi16ELi16ELi64ELi64ELi4ELi64ELi4ELi4ELi64ELc78ELc84EK16rocblas_bfloat16S2_S1_EEvlllT_PT11_llS5_llS3_PT12_llPT13_lli ; -- Begin function _ZN12_GLOBAL__N_127rocblas_gemm_batched_kernelIfLi16ELi16ELi64ELi64ELi4ELi64ELi4ELi4ELi64ELc78ELc84EK16rocblas_bfloat16S2_S1_EEvlllT_PT11_llS5_llS3_PT12_llPT13_lli
	.p2align	8
	.type	_ZN12_GLOBAL__N_127rocblas_gemm_batched_kernelIfLi16ELi16ELi64ELi64ELi4ELi64ELi4ELi4ELi64ELc78ELc84EK16rocblas_bfloat16S2_S1_EEvlllT_PT11_llS5_llS3_PT12_llPT13_lli,@function
_ZN12_GLOBAL__N_127rocblas_gemm_batched_kernelIfLi16ELi16ELi64ELi64ELi4ELi64ELi4ELi4ELi64ELc78ELc84EK16rocblas_bfloat16S2_S1_EEvlllT_PT11_llS5_llS3_PT12_llPT13_lli: ; @_ZN12_GLOBAL__N_127rocblas_gemm_batched_kernelIfLi16ELi16ELi64ELi64ELi4ELi64ELi4ELi4ELi64ELc78ELc84EK16rocblas_bfloat16S2_S1_EEvlllT_PT11_llS5_llS3_PT12_llPT13_lli
; %bb.0:
	s_load_dwordx2 s[20:21], s[4:5], 0x10
	s_mov_b32 s0, s7
	v_mov_b32_e32 v21, 0
	v_mov_b32_e32 v20, 0
	;; [unrolled: 1-line block ×16, first 2 shown]
	s_ashr_i32 s7, s6, 31
	s_ashr_i32 s1, s0, 31
	s_waitcnt lgkmcnt(0)
	v_cmp_lt_i64_e64 s2, s[20:21], 1
	s_lshl_b64 s[6:7], s[6:7], 6
	s_lshl_b64 s[10:11], s[0:1], 6
	s_and_b32 vcc_lo, exec_lo, s2
	s_cbranch_vccnz .LBB420_3
; %bb.1:
	s_load_dwordx8 s[12:19], s[4:5], 0x20
	v_lshlrev_b32_e32 v2, 4, v1
	s_load_dwordx4 s[0:3], s[4:5], 0x40
	v_and_b32_e32 v9, 3, v0
	v_mov_b32_e32 v6, 0
	v_lshlrev_b32_e32 v22, 2, v0
	v_add_nc_u32_e32 v3, v2, v0
	v_add_nc_u32_e32 v23, 0x400, v2
	v_lshlrev_b32_e32 v7, 2, v9
	v_mov_b32_e32 v14, 0
	v_mov_b32_e32 v15, 0
	v_lshrrev_b32_e32 v8, 2, v3
	v_lshrrev_b32_e32 v11, 6, v3
	v_and_b32_e32 v10, 63, v3
	v_mov_b32_e32 v16, 0
	v_mov_b32_e32 v17, 0
	v_add_co_u32 v2, s9, v8, s10
	v_add_co_ci_u32_e64 v3, null, 0, s11, s9
	s_waitcnt lgkmcnt(0)
	v_mad_u64_u32 v[4:5], null, s14, v11, s[6:7]
	v_lshl_or_b32 v13, v8, 4, v7
	v_mad_u64_u32 v[2:3], null, s0, v9, v[2:3]
	s_mul_i32 s9, s17, s8
	s_mul_hi_u32 s17, s16, s8
	s_mul_i32 s16, s16, s8
	v_mad_u64_u32 v[7:8], null, s15, v11, v[5:6]
	s_add_i32 s17, s17, s9
	v_mad_u64_u32 v[8:9], null, s1, v9, v[3:4]
	v_add_co_u32 v4, vcc_lo, v4, v10
	s_lshl_b64 s[16:17], s[16:17], 1
	v_add_co_ci_u32_e64 v5, null, 0, v7, vcc_lo
	s_mul_i32 s3, s3, s8
	v_mov_b32_e32 v3, v8
	s_mul_hi_u32 s9, s2, s8
	v_lshlrev_b64 v[4:5], 1, v[4:5]
	s_add_u32 s16, s12, s16
	s_mul_i32 s2, s2, s8
	s_addc_u32 s17, s13, s17
	s_add_i32 s3, s9, s3
	v_lshlrev_b64 v[7:8], 1, v[2:3]
	s_lshl_b64 s[12:13], s[2:3], 1
	v_lshlrev_b32_e32 v12, 2, v10
	s_lshl_b64 s[2:3], s[14:15], 3
	v_add_co_u32 v2, vcc_lo, s16, v4
	s_add_u32 s9, s18, s12
	v_add_co_ci_u32_e64 v3, null, s17, v5, vcc_lo
	s_addc_u32 s12, s19, s13
	v_add_co_u32 v4, vcc_lo, s9, v7
	v_lshl_or_b32 v24, v11, 8, v12
	v_add_nc_u32_e32 v25, 0x400, v13
	v_add_co_ci_u32_e64 v5, null, s12, v8, vcc_lo
	v_mov_b32_e32 v7, 0
	v_mov_b32_e32 v8, 0
	;; [unrolled: 1-line block ×11, first 2 shown]
	s_lshl_b64 s[0:1], s[0:1], 3
	s_mov_b64 s[12:13], 0
.LBB420_2:                              ; =>This Inner Loop Header: Depth=1
	global_load_ushort v26, v[2:3], off
	global_load_ushort v27, v[4:5], off
	s_add_u32 s12, s12, 4
	s_addc_u32 s13, s13, 0
	v_add_co_u32 v2, vcc_lo, v2, s2
	v_cmp_lt_i64_e64 s9, s[12:13], s[20:21]
	v_add_co_ci_u32_e64 v3, null, s3, v3, vcc_lo
	v_add_co_u32 v4, vcc_lo, v4, s0
	v_add_co_ci_u32_e64 v5, null, s1, v5, vcc_lo
	s_and_b32 vcc_lo, exec_lo, s9
	s_waitcnt vmcnt(1)
	v_lshlrev_b32_e32 v26, 16, v26
	s_waitcnt vmcnt(0)
	v_lshlrev_b32_e32 v27, 16, v27
	ds_write_b32 v24, v26
	ds_write_b32 v25, v27
	s_waitcnt lgkmcnt(0)
	s_barrier
	buffer_gl0_inv
	ds_read_b128 v[26:29], v23
	ds_read2_b32 v[42:43], v22 offset1:16
	ds_read2_b32 v[44:45], v22 offset0:32 offset1:48
	ds_read_b128 v[30:33], v23 offset:256
	ds_read_b128 v[34:37], v23 offset:512
	ds_read_b128 v[38:41], v23 offset:768
	ds_read2_b32 v[46:47], v22 offset0:64 offset1:80
	ds_read2_b32 v[48:49], v22 offset0:96 offset1:112
	;; [unrolled: 1-line block ×6, first 2 shown]
	s_waitcnt lgkmcnt(0)
	s_barrier
	buffer_gl0_inv
	v_fmac_f32_e32 v21, v42, v26
	v_fmac_f32_e32 v20, v43, v26
	;; [unrolled: 1-line block ×64, first 2 shown]
	s_cbranch_vccnz .LBB420_2
.LBB420_3:
	s_clause 0x3
	s_load_dwordx4 s[0:3], s[4:5], 0x78
	s_load_dword s9, s[4:5], 0x50
	s_load_dwordx8 s[12:19], s[4:5], 0x58
	s_load_dword s4, s[4:5], 0x18
	v_add_co_u32 v22, s5, s10, v1
	v_add_co_ci_u32_e64 v23, null, s11, 0, s5
	s_waitcnt lgkmcnt(0)
	s_mul_i32 s3, s3, s8
	s_mul_hi_u32 s5, s2, s8
	s_mul_i32 s2, s2, s8
	s_add_i32 s3, s5, s3
	v_cmp_neq_f32_e64 s10, s9, 0
	v_add_co_u32 v0, s5, s6, v0
	s_lshl_b64 s[2:3], s[2:3], 1
	v_add_co_ci_u32_e64 v1, null, s7, 0, s5
	s_add_u32 s5, s18, s2
	s_addc_u32 s6, s19, s3
	s_and_b32 vcc_lo, exec_lo, s10
	s_cbranch_vccnz .LBB420_196
; %bb.4:
	v_mul_f32_e32 v2, s4, v21
	s_mov_b32 s2, exec_lo
                                        ; implicit-def: $vgpr26
	v_and_b32_e32 v3, 0x7f800000, v2
	v_cmpx_ne_u32_e32 0x7f800000, v3
	s_xor_b32 s2, exec_lo, s2
; %bb.5:
	v_bfe_u32 v3, v2, 16, 1
	v_add3_u32 v26, v2, v3, 0x7fff
                                        ; implicit-def: $vgpr2
; %bb.6:
	s_andn2_saveexec_b32 s2, s2
; %bb.7:
	v_mov_b32_e32 v3, 0
	v_or_b32_e32 v4, 0x10000, v2
	v_cmp_eq_u32_sdwa vcc_lo, v2, v3 src0_sel:WORD_0 src1_sel:DWORD
	v_cndmask_b32_e32 v26, v4, v2, vcc_lo
; %bb.8:
	s_or_b32 exec_lo, exec_lo, s2
	v_mul_lo_u32 v4, v23, s0
	v_mul_lo_u32 v5, v22, s1
	v_mad_u64_u32 v[2:3], null, v22, s0, 0
	v_mul_f32_e32 v27, s4, v20
	v_and_b32_e32 v28, 0x7f800000, v27
	v_add3_u32 v3, v3, v5, v4
	v_lshlrev_b64 v[4:5], 1, v[2:3]
	v_lshlrev_b64 v[2:3], 1, v[0:1]
	v_add_co_u32 v24, vcc_lo, s5, v4
	v_add_co_ci_u32_e64 v25, null, s6, v5, vcc_lo
	v_add_co_u32 v4, vcc_lo, v24, v2
	v_add_co_ci_u32_e64 v5, null, v25, v3, vcc_lo
	v_cmp_ne_u32_e32 vcc_lo, 0x7f800000, v28
                                        ; implicit-def: $vgpr28
	global_store_short_d16_hi v[4:5], v26, off
	s_and_saveexec_b32 s2, vcc_lo
	s_xor_b32 s2, exec_lo, s2
; %bb.9:
	v_bfe_u32 v26, v27, 16, 1
	v_add3_u32 v28, v27, v26, 0x7fff
                                        ; implicit-def: $vgpr27
; %bb.10:
	s_andn2_saveexec_b32 s2, s2
; %bb.11:
	v_mov_b32_e32 v26, 0
	v_or_b32_e32 v28, 0x10000, v27
	v_cmp_eq_u32_sdwa vcc_lo, v27, v26 src0_sel:WORD_0 src1_sel:DWORD
	v_cndmask_b32_e32 v28, v28, v27, vcc_lo
; %bb.12:
	s_or_b32 exec_lo, exec_lo, s2
	v_mul_f32_e32 v26, s4, v19
	global_store_short_d16_hi v[4:5], v28, off offset:32
	v_and_b32_e32 v27, 0x7f800000, v26
	v_cmp_ne_u32_e32 vcc_lo, 0x7f800000, v27
                                        ; implicit-def: $vgpr27
	s_and_saveexec_b32 s2, vcc_lo
	s_xor_b32 s2, exec_lo, s2
; %bb.13:
	v_bfe_u32 v27, v26, 16, 1
	v_add3_u32 v27, v26, v27, 0x7fff
                                        ; implicit-def: $vgpr26
; %bb.14:
	s_andn2_saveexec_b32 s2, s2
; %bb.15:
	v_mov_b32_e32 v27, 0
	v_or_b32_e32 v28, 0x10000, v26
	v_cmp_eq_u32_sdwa vcc_lo, v26, v27 src0_sel:WORD_0 src1_sel:DWORD
	v_cndmask_b32_e32 v27, v28, v26, vcc_lo
; %bb.16:
	s_or_b32 exec_lo, exec_lo, s2
	v_mul_f32_e32 v26, s4, v18
	global_store_short_d16_hi v[4:5], v27, off offset:64
	v_and_b32_e32 v28, 0x7f800000, v26
	v_cmp_ne_u32_e32 vcc_lo, 0x7f800000, v28
                                        ; implicit-def: $vgpr28
	s_and_saveexec_b32 s2, vcc_lo
	s_xor_b32 s2, exec_lo, s2
; %bb.17:
	v_bfe_u32 v27, v26, 16, 1
	v_add3_u32 v28, v26, v27, 0x7fff
                                        ; implicit-def: $vgpr26
; %bb.18:
	s_andn2_saveexec_b32 s2, s2
; %bb.19:
	v_mov_b32_e32 v27, 0
	v_or_b32_e32 v28, 0x10000, v26
	v_cmp_eq_u32_sdwa vcc_lo, v26, v27 src0_sel:WORD_0 src1_sel:DWORD
	v_cndmask_b32_e32 v28, v28, v26, vcc_lo
; %bb.20:
	s_or_b32 exec_lo, exec_lo, s2
	v_mul_f32_e32 v27, s4, v17
	global_store_short_d16_hi v[4:5], v28, off offset:96
	v_and_b32_e32 v26, 0x7f800000, v27
	v_cmp_ne_u32_e32 vcc_lo, 0x7f800000, v26
                                        ; implicit-def: $vgpr26
	s_and_saveexec_b32 s2, vcc_lo
	s_xor_b32 s2, exec_lo, s2
; %bb.21:
	v_bfe_u32 v4, v27, 16, 1
	v_add3_u32 v26, v27, v4, 0x7fff
                                        ; implicit-def: $vgpr27
; %bb.22:
	s_andn2_saveexec_b32 s2, s2
; %bb.23:
	v_mov_b32_e32 v4, 0
	v_or_b32_e32 v5, 0x10000, v27
	v_cmp_eq_u32_sdwa vcc_lo, v27, v4 src0_sel:WORD_0 src1_sel:DWORD
	v_cndmask_b32_e32 v26, v5, v27, vcc_lo
; %bb.24:
	s_or_b32 exec_lo, exec_lo, s2
	v_mul_f32_e32 v27, s4, v16
	s_lshl_b64 s[2:3], s[0:1], 5
	v_add_co_u32 v24, vcc_lo, v24, s2
	v_add_co_ci_u32_e64 v25, null, s3, v25, vcc_lo
	v_and_b32_e32 v28, 0x7f800000, v27
	v_add_co_u32 v4, vcc_lo, v24, v2
	v_add_co_ci_u32_e64 v5, null, v25, v3, vcc_lo
	v_cmp_ne_u32_e32 vcc_lo, 0x7f800000, v28
                                        ; implicit-def: $vgpr28
	global_store_short_d16_hi v[4:5], v26, off
	s_and_saveexec_b32 s2, vcc_lo
	s_xor_b32 s2, exec_lo, s2
; %bb.25:
	v_bfe_u32 v26, v27, 16, 1
	v_add3_u32 v28, v27, v26, 0x7fff
                                        ; implicit-def: $vgpr27
; %bb.26:
	s_andn2_saveexec_b32 s2, s2
; %bb.27:
	v_mov_b32_e32 v26, 0
	v_or_b32_e32 v28, 0x10000, v27
	v_cmp_eq_u32_sdwa vcc_lo, v27, v26 src0_sel:WORD_0 src1_sel:DWORD
	v_cndmask_b32_e32 v28, v28, v27, vcc_lo
; %bb.28:
	s_or_b32 exec_lo, exec_lo, s2
	v_mul_f32_e32 v26, s4, v15
	global_store_short_d16_hi v[4:5], v28, off offset:32
	v_and_b32_e32 v27, 0x7f800000, v26
	v_cmp_ne_u32_e32 vcc_lo, 0x7f800000, v27
                                        ; implicit-def: $vgpr27
	s_and_saveexec_b32 s2, vcc_lo
	s_xor_b32 s2, exec_lo, s2
; %bb.29:
	v_bfe_u32 v27, v26, 16, 1
	v_add3_u32 v27, v26, v27, 0x7fff
                                        ; implicit-def: $vgpr26
; %bb.30:
	s_andn2_saveexec_b32 s2, s2
; %bb.31:
	v_mov_b32_e32 v27, 0
	v_or_b32_e32 v28, 0x10000, v26
	v_cmp_eq_u32_sdwa vcc_lo, v26, v27 src0_sel:WORD_0 src1_sel:DWORD
	v_cndmask_b32_e32 v27, v28, v26, vcc_lo
; %bb.32:
	s_or_b32 exec_lo, exec_lo, s2
	v_mul_f32_e32 v26, s4, v14
	global_store_short_d16_hi v[4:5], v27, off offset:64
	v_and_b32_e32 v28, 0x7f800000, v26
	v_cmp_ne_u32_e32 vcc_lo, 0x7f800000, v28
                                        ; implicit-def: $vgpr28
	s_and_saveexec_b32 s2, vcc_lo
	s_xor_b32 s2, exec_lo, s2
; %bb.33:
	v_bfe_u32 v27, v26, 16, 1
	v_add3_u32 v28, v26, v27, 0x7fff
                                        ; implicit-def: $vgpr26
; %bb.34:
	s_andn2_saveexec_b32 s2, s2
; %bb.35:
	v_mov_b32_e32 v27, 0
	v_or_b32_e32 v28, 0x10000, v26
	v_cmp_eq_u32_sdwa vcc_lo, v26, v27 src0_sel:WORD_0 src1_sel:DWORD
	v_cndmask_b32_e32 v28, v28, v26, vcc_lo
; %bb.36:
	s_or_b32 exec_lo, exec_lo, s2
	v_mul_f32_e32 v27, s4, v13
	global_store_short_d16_hi v[4:5], v28, off offset:96
	v_and_b32_e32 v26, 0x7f800000, v27
	v_cmp_ne_u32_e32 vcc_lo, 0x7f800000, v26
                                        ; implicit-def: $vgpr26
	s_and_saveexec_b32 s2, vcc_lo
	s_xor_b32 s2, exec_lo, s2
; %bb.37:
	v_bfe_u32 v4, v27, 16, 1
	v_add3_u32 v26, v27, v4, 0x7fff
                                        ; implicit-def: $vgpr27
; %bb.38:
	s_or_saveexec_b32 s7, s2
	s_lshl_b64 s[2:3], s[0:1], 4
	s_xor_b32 exec_lo, exec_lo, s7
; %bb.39:
	v_mov_b32_e32 v4, 0
	v_or_b32_e32 v5, 0x10000, v27
	v_cmp_eq_u32_sdwa vcc_lo, v27, v4 src0_sel:WORD_0 src1_sel:DWORD
	v_cndmask_b32_e32 v26, v5, v27, vcc_lo
; %bb.40:
	s_or_b32 exec_lo, exec_lo, s7
	v_mul_f32_e32 v27, s4, v12
	s_lshl_b64 s[2:3], s[2:3], 1
	v_add_co_u32 v24, vcc_lo, v24, s2
	v_add_co_ci_u32_e64 v25, null, s3, v25, vcc_lo
	v_and_b32_e32 v28, 0x7f800000, v27
	v_add_co_u32 v4, vcc_lo, v24, v2
	v_add_co_ci_u32_e64 v5, null, v25, v3, vcc_lo
	v_cmp_ne_u32_e32 vcc_lo, 0x7f800000, v28
                                        ; implicit-def: $vgpr28
	global_store_short_d16_hi v[4:5], v26, off
	s_and_saveexec_b32 s7, vcc_lo
	s_xor_b32 s7, exec_lo, s7
; %bb.41:
	v_bfe_u32 v26, v27, 16, 1
	v_add3_u32 v28, v27, v26, 0x7fff
                                        ; implicit-def: $vgpr27
; %bb.42:
	s_andn2_saveexec_b32 s7, s7
; %bb.43:
	v_mov_b32_e32 v26, 0
	v_or_b32_e32 v28, 0x10000, v27
	v_cmp_eq_u32_sdwa vcc_lo, v27, v26 src0_sel:WORD_0 src1_sel:DWORD
	v_cndmask_b32_e32 v28, v28, v27, vcc_lo
; %bb.44:
	s_or_b32 exec_lo, exec_lo, s7
	v_mul_f32_e32 v26, s4, v11
	global_store_short_d16_hi v[4:5], v28, off offset:32
	v_and_b32_e32 v27, 0x7f800000, v26
	v_cmp_ne_u32_e32 vcc_lo, 0x7f800000, v27
                                        ; implicit-def: $vgpr27
	s_and_saveexec_b32 s7, vcc_lo
	s_xor_b32 s7, exec_lo, s7
; %bb.45:
	v_bfe_u32 v27, v26, 16, 1
	v_add3_u32 v27, v26, v27, 0x7fff
                                        ; implicit-def: $vgpr26
; %bb.46:
	s_andn2_saveexec_b32 s7, s7
; %bb.47:
	v_mov_b32_e32 v27, 0
	v_or_b32_e32 v28, 0x10000, v26
	v_cmp_eq_u32_sdwa vcc_lo, v26, v27 src0_sel:WORD_0 src1_sel:DWORD
	v_cndmask_b32_e32 v27, v28, v26, vcc_lo
; %bb.48:
	s_or_b32 exec_lo, exec_lo, s7
	v_mul_f32_e32 v26, s4, v10
	s_mov_b32 s7, exec_lo
	global_store_short_d16_hi v[4:5], v27, off offset:64
                                        ; implicit-def: $vgpr27
	v_and_b32_e32 v28, 0x7f800000, v26
	v_cmpx_ne_u32_e32 0x7f800000, v28
	s_xor_b32 s7, exec_lo, s7
; %bb.49:
	v_bfe_u32 v27, v26, 16, 1
	v_add3_u32 v27, v26, v27, 0x7fff
                                        ; implicit-def: $vgpr26
; %bb.50:
	s_andn2_saveexec_b32 s7, s7
; %bb.51:
	v_mov_b32_e32 v27, 0
	v_or_b32_e32 v28, 0x10000, v26
	v_cmp_eq_u32_sdwa vcc_lo, v26, v27 src0_sel:WORD_0 src1_sel:DWORD
	v_cndmask_b32_e32 v27, v28, v26, vcc_lo
; %bb.52:
	s_or_b32 exec_lo, exec_lo, s7
	v_mul_f32_e32 v26, s4, v9
	s_mov_b32 s7, exec_lo
	global_store_short_d16_hi v[4:5], v27, off offset:96
                                        ; implicit-def: $vgpr4
	v_and_b32_e32 v28, 0x7f800000, v26
	v_cmpx_ne_u32_e32 0x7f800000, v28
	s_xor_b32 s7, exec_lo, s7
; %bb.53:
	v_bfe_u32 v4, v26, 16, 1
	v_add3_u32 v4, v26, v4, 0x7fff
                                        ; implicit-def: $vgpr26
; %bb.54:
	s_andn2_saveexec_b32 s7, s7
; %bb.55:
	v_mov_b32_e32 v4, 0
	v_or_b32_e32 v5, 0x10000, v26
	v_cmp_eq_u32_sdwa vcc_lo, v26, v4 src0_sel:WORD_0 src1_sel:DWORD
	v_cndmask_b32_e32 v4, v5, v26, vcc_lo
; %bb.56:
	s_or_b32 exec_lo, exec_lo, s7
	v_add_co_u32 v24, vcc_lo, v24, s2
	v_mul_f32_e32 v5, s4, v8
	v_add_co_ci_u32_e64 v25, null, s3, v25, vcc_lo
	v_add_co_u32 v2, vcc_lo, v24, v2
	v_and_b32_e32 v26, 0x7f800000, v5
	v_add_co_ci_u32_e64 v3, null, v25, v3, vcc_lo
	s_mov_b32 s2, exec_lo
                                        ; implicit-def: $vgpr24
	global_store_short_d16_hi v[2:3], v4, off
	v_cmpx_ne_u32_e32 0x7f800000, v26
	s_xor_b32 s2, exec_lo, s2
; %bb.57:
	v_bfe_u32 v4, v5, 16, 1
	v_add3_u32 v24, v5, v4, 0x7fff
                                        ; implicit-def: $vgpr5
; %bb.58:
	s_andn2_saveexec_b32 s2, s2
; %bb.59:
	v_mov_b32_e32 v4, 0
	v_or_b32_e32 v24, 0x10000, v5
	v_cmp_eq_u32_sdwa vcc_lo, v5, v4 src0_sel:WORD_0 src1_sel:DWORD
	v_cndmask_b32_e32 v24, v24, v5, vcc_lo
; %bb.60:
	s_or_b32 exec_lo, exec_lo, s2
	v_mul_f32_e32 v4, s4, v7
	global_store_short_d16_hi v[2:3], v24, off offset:32
	v_and_b32_e32 v5, 0x7f800000, v4
	v_cmp_ne_u32_e32 vcc_lo, 0x7f800000, v5
                                        ; implicit-def: $vgpr5
	s_and_saveexec_b32 s2, vcc_lo
	s_xor_b32 s2, exec_lo, s2
; %bb.61:
	v_bfe_u32 v5, v4, 16, 1
	v_add3_u32 v5, v4, v5, 0x7fff
                                        ; implicit-def: $vgpr4
; %bb.62:
	s_andn2_saveexec_b32 s2, s2
; %bb.63:
	v_mov_b32_e32 v5, 0
	v_or_b32_e32 v24, 0x10000, v4
	v_cmp_eq_u32_sdwa vcc_lo, v4, v5 src0_sel:WORD_0 src1_sel:DWORD
	v_cndmask_b32_e32 v5, v24, v4, vcc_lo
; %bb.64:
	s_or_b32 exec_lo, exec_lo, s2
	v_mul_f32_e32 v4, s4, v6
	s_mov_b32 s2, exec_lo
	global_store_short_d16_hi v[2:3], v5, off offset:64
                                        ; implicit-def: $vgpr5
	v_and_b32_e32 v24, 0x7f800000, v4
	v_cmpx_ne_u32_e32 0x7f800000, v24
	s_xor_b32 s2, exec_lo, s2
; %bb.65:
	v_bfe_u32 v5, v4, 16, 1
	v_add3_u32 v5, v4, v5, 0x7fff
                                        ; implicit-def: $vgpr4
; %bb.66:
	s_andn2_saveexec_b32 s2, s2
; %bb.67:
	v_mov_b32_e32 v5, 0
	v_or_b32_e32 v24, 0x10000, v4
	v_cmp_eq_u32_sdwa vcc_lo, v4, v5 src0_sel:WORD_0 src1_sel:DWORD
	v_cndmask_b32_e32 v5, v24, v4, vcc_lo
; %bb.68:
	s_or_b32 exec_lo, exec_lo, s2
	global_store_short_d16_hi v[2:3], v5, off offset:96
	s_branch .LBB420_197
.LBB420_69:
	v_mul_lo_u32 v4, v23, s14
	v_mul_lo_u32 v5, v22, s15
	v_mad_u64_u32 v[2:3], null, v22, s14, 0
	s_mul_i32 s3, s17, s8
	s_mul_hi_u32 s7, s16, s8
	s_mul_i32 s2, s16, s8
	s_add_i32 s3, s7, s3
	v_lshlrev_b64 v[0:1], 1, v[0:1]
	s_lshl_b64 s[2:3], s[2:3], 1
	v_add3_u32 v3, v3, v5, v4
	s_add_u32 s2, s12, s2
	s_addc_u32 s3, s13, s3
	v_lshlrev_b64 v[2:3], 1, v[2:3]
	v_add_co_u32 v24, vcc_lo, s2, v2
	v_add_co_ci_u32_e64 v25, null, s3, v3, vcc_lo
	v_add_co_u32 v2, vcc_lo, v24, v0
	v_add_co_ci_u32_e64 v3, null, v25, v1, vcc_lo
	global_load_ushort v4, v[2:3], off
	s_waitcnt vmcnt(0)
	v_lshlrev_b32_e32 v4, 16, v4
	v_mul_f32_e32 v4, s9, v4
	v_and_b32_e32 v5, 0x7f800000, v4
	v_cmp_ne_u32_e32 vcc_lo, 0x7f800000, v5
                                        ; implicit-def: $vgpr5
	s_and_saveexec_b32 s2, vcc_lo
	s_xor_b32 s2, exec_lo, s2
; %bb.70:
	v_bfe_u32 v5, v4, 16, 1
	v_add3_u32 v5, v4, v5, 0x7fff
                                        ; implicit-def: $vgpr4
; %bb.71:
	s_andn2_saveexec_b32 s2, s2
; %bb.72:
	v_mov_b32_e32 v5, 0
	v_or_b32_e32 v26, 0x10000, v4
	v_cmp_eq_u32_sdwa vcc_lo, v4, v5 src0_sel:WORD_0 src1_sel:DWORD
	v_cndmask_b32_e32 v5, v26, v4, vcc_lo
; %bb.73:
	s_or_b32 exec_lo, exec_lo, s2
	v_and_b32_e32 v4, 0xffff0000, v5
	s_mov_b32 s2, exec_lo
                                        ; implicit-def: $vgpr26
	v_fmac_f32_e32 v4, s4, v21
	v_and_b32_e32 v5, 0x7f800000, v4
	v_cmpx_ne_u32_e32 0x7f800000, v5
	s_xor_b32 s2, exec_lo, s2
; %bb.74:
	v_bfe_u32 v5, v4, 16, 1
	v_add3_u32 v26, v4, v5, 0x7fff
                                        ; implicit-def: $vgpr4
; %bb.75:
	s_andn2_saveexec_b32 s2, s2
; %bb.76:
	v_mov_b32_e32 v5, 0
	v_or_b32_e32 v21, 0x10000, v4
	v_cmp_eq_u32_sdwa vcc_lo, v4, v5 src0_sel:WORD_0 src1_sel:DWORD
	v_cndmask_b32_e32 v26, v21, v4, vcc_lo
; %bb.77:
	s_or_b32 exec_lo, exec_lo, s2
	v_mul_lo_u32 v21, v23, s0
	v_mul_lo_u32 v23, v22, s1
	v_mad_u64_u32 v[4:5], null, v22, s0, 0
	v_add3_u32 v5, v5, v23, v21
	v_lshlrev_b64 v[4:5], 1, v[4:5]
	v_add_co_u32 v21, vcc_lo, s5, v4
	v_add_co_ci_u32_e64 v22, null, s6, v5, vcc_lo
	v_add_co_u32 v4, vcc_lo, v21, v0
	v_add_co_ci_u32_e64 v5, null, v22, v1, vcc_lo
	global_store_short_d16_hi v[4:5], v26, off
	global_load_ushort v23, v[2:3], off offset:32
	s_waitcnt vmcnt(0)
	v_lshlrev_b32_e32 v23, 16, v23
	v_mul_f32_e32 v23, s9, v23
	v_and_b32_e32 v26, 0x7f800000, v23
	v_cmp_ne_u32_e32 vcc_lo, 0x7f800000, v26
                                        ; implicit-def: $vgpr26
	s_and_saveexec_b32 s2, vcc_lo
	s_xor_b32 s2, exec_lo, s2
; %bb.78:
	v_bfe_u32 v26, v23, 16, 1
	v_add3_u32 v26, v23, v26, 0x7fff
                                        ; implicit-def: $vgpr23
; %bb.79:
	s_andn2_saveexec_b32 s2, s2
; %bb.80:
	v_mov_b32_e32 v26, 0
	v_or_b32_e32 v27, 0x10000, v23
	v_cmp_eq_u32_sdwa vcc_lo, v23, v26 src0_sel:WORD_0 src1_sel:DWORD
	v_cndmask_b32_e32 v26, v27, v23, vcc_lo
; %bb.81:
	s_or_b32 exec_lo, exec_lo, s2
	v_and_b32_e32 v23, 0xffff0000, v26
	v_fmac_f32_e32 v23, s4, v20
	v_and_b32_e32 v20, 0x7f800000, v23
	v_cmp_ne_u32_e32 vcc_lo, 0x7f800000, v20
                                        ; implicit-def: $vgpr20
	s_and_saveexec_b32 s2, vcc_lo
	s_xor_b32 s2, exec_lo, s2
; %bb.82:
	v_bfe_u32 v20, v23, 16, 1
	v_add3_u32 v20, v23, v20, 0x7fff
                                        ; implicit-def: $vgpr23
; %bb.83:
	s_andn2_saveexec_b32 s2, s2
; %bb.84:
	v_mov_b32_e32 v20, 0
	v_or_b32_e32 v26, 0x10000, v23
	v_cmp_eq_u32_sdwa vcc_lo, v23, v20 src0_sel:WORD_0 src1_sel:DWORD
	v_cndmask_b32_e32 v20, v26, v23, vcc_lo
; %bb.85:
	s_or_b32 exec_lo, exec_lo, s2
	global_store_short_d16_hi v[4:5], v20, off offset:32
	global_load_ushort v20, v[2:3], off offset:64
	s_waitcnt vmcnt(0)
	v_lshlrev_b32_e32 v20, 16, v20
	v_mul_f32_e32 v20, s9, v20
	v_and_b32_e32 v23, 0x7f800000, v20
	v_cmp_ne_u32_e32 vcc_lo, 0x7f800000, v23
                                        ; implicit-def: $vgpr23
	s_and_saveexec_b32 s2, vcc_lo
	s_xor_b32 s2, exec_lo, s2
; %bb.86:
	v_bfe_u32 v23, v20, 16, 1
	v_add3_u32 v23, v20, v23, 0x7fff
                                        ; implicit-def: $vgpr20
; %bb.87:
	s_andn2_saveexec_b32 s2, s2
; %bb.88:
	v_mov_b32_e32 v23, 0
	v_or_b32_e32 v26, 0x10000, v20
	v_cmp_eq_u32_sdwa vcc_lo, v20, v23 src0_sel:WORD_0 src1_sel:DWORD
	v_cndmask_b32_e32 v23, v26, v20, vcc_lo
; %bb.89:
	s_or_b32 exec_lo, exec_lo, s2
	v_and_b32_e32 v20, 0xffff0000, v23
	v_fmac_f32_e32 v20, s4, v19
	v_and_b32_e32 v19, 0x7f800000, v20
	v_cmp_ne_u32_e32 vcc_lo, 0x7f800000, v19
                                        ; implicit-def: $vgpr19
	s_and_saveexec_b32 s2, vcc_lo
	s_xor_b32 s2, exec_lo, s2
; %bb.90:
	v_bfe_u32 v19, v20, 16, 1
	v_add3_u32 v19, v20, v19, 0x7fff
                                        ; implicit-def: $vgpr20
; %bb.91:
	s_andn2_saveexec_b32 s2, s2
; %bb.92:
	v_mov_b32_e32 v19, 0
	v_or_b32_e32 v23, 0x10000, v20
	v_cmp_eq_u32_sdwa vcc_lo, v20, v19 src0_sel:WORD_0 src1_sel:DWORD
	v_cndmask_b32_e32 v19, v23, v20, vcc_lo
; %bb.93:
	s_or_b32 exec_lo, exec_lo, s2
	global_store_short_d16_hi v[4:5], v19, off offset:64
	global_load_ushort v2, v[2:3], off offset:96
	s_waitcnt vmcnt(0)
	v_lshlrev_b32_e32 v2, 16, v2
	v_mul_f32_e32 v2, s9, v2
	v_and_b32_e32 v3, 0x7f800000, v2
	v_cmp_ne_u32_e32 vcc_lo, 0x7f800000, v3
                                        ; implicit-def: $vgpr3
	s_and_saveexec_b32 s2, vcc_lo
	s_xor_b32 s2, exec_lo, s2
; %bb.94:
	v_bfe_u32 v3, v2, 16, 1
	v_add3_u32 v3, v2, v3, 0x7fff
                                        ; implicit-def: $vgpr2
; %bb.95:
	s_andn2_saveexec_b32 s2, s2
; %bb.96:
	v_mov_b32_e32 v3, 0
	v_or_b32_e32 v19, 0x10000, v2
	v_cmp_eq_u32_sdwa vcc_lo, v2, v3 src0_sel:WORD_0 src1_sel:DWORD
	v_cndmask_b32_e32 v3, v19, v2, vcc_lo
; %bb.97:
	s_or_b32 exec_lo, exec_lo, s2
	v_and_b32_e32 v2, 0xffff0000, v3
	s_mov_b32 s2, exec_lo
	v_fmac_f32_e32 v2, s4, v18
                                        ; implicit-def: $vgpr18
	v_and_b32_e32 v3, 0x7f800000, v2
	v_cmpx_ne_u32_e32 0x7f800000, v3
	s_xor_b32 s2, exec_lo, s2
; %bb.98:
	v_bfe_u32 v3, v2, 16, 1
	v_add3_u32 v18, v2, v3, 0x7fff
                                        ; implicit-def: $vgpr2
; %bb.99:
	s_andn2_saveexec_b32 s2, s2
; %bb.100:
	v_mov_b32_e32 v3, 0
	v_or_b32_e32 v18, 0x10000, v2
	v_cmp_eq_u32_sdwa vcc_lo, v2, v3 src0_sel:WORD_0 src1_sel:DWORD
	v_cndmask_b32_e32 v18, v18, v2, vcc_lo
; %bb.101:
	s_or_b32 exec_lo, exec_lo, s2
	s_lshl_b64 s[2:3], s[14:15], 5
	global_store_short_d16_hi v[4:5], v18, off offset:96
	v_add_co_u32 v19, vcc_lo, v24, s2
	v_add_co_ci_u32_e64 v20, null, s3, v25, vcc_lo
	v_add_co_u32 v2, vcc_lo, v19, v0
	v_add_co_ci_u32_e64 v3, null, v20, v1, vcc_lo
	global_load_ushort v4, v[2:3], off
	s_waitcnt vmcnt(0)
	v_lshlrev_b32_e32 v4, 16, v4
	v_mul_f32_e32 v4, s9, v4
	v_and_b32_e32 v5, 0x7f800000, v4
	v_cmp_ne_u32_e32 vcc_lo, 0x7f800000, v5
                                        ; implicit-def: $vgpr5
	s_and_saveexec_b32 s2, vcc_lo
	s_xor_b32 s2, exec_lo, s2
; %bb.102:
	v_bfe_u32 v5, v4, 16, 1
	v_add3_u32 v5, v4, v5, 0x7fff
                                        ; implicit-def: $vgpr4
; %bb.103:
	s_andn2_saveexec_b32 s2, s2
; %bb.104:
	v_mov_b32_e32 v5, 0
	v_or_b32_e32 v18, 0x10000, v4
	v_cmp_eq_u32_sdwa vcc_lo, v4, v5 src0_sel:WORD_0 src1_sel:DWORD
	v_cndmask_b32_e32 v5, v18, v4, vcc_lo
; %bb.105:
	s_or_b32 exec_lo, exec_lo, s2
	v_and_b32_e32 v4, 0xffff0000, v5
	s_mov_b32 s2, exec_lo
                                        ; implicit-def: $vgpr23
	v_fmac_f32_e32 v4, s4, v17
	v_and_b32_e32 v5, 0x7f800000, v4
	v_cmpx_ne_u32_e32 0x7f800000, v5
	s_xor_b32 s2, exec_lo, s2
; %bb.106:
	v_bfe_u32 v5, v4, 16, 1
	v_add3_u32 v23, v4, v5, 0x7fff
                                        ; implicit-def: $vgpr4
; %bb.107:
	s_andn2_saveexec_b32 s2, s2
; %bb.108:
	v_mov_b32_e32 v5, 0
	v_or_b32_e32 v17, 0x10000, v4
	v_cmp_eq_u32_sdwa vcc_lo, v4, v5 src0_sel:WORD_0 src1_sel:DWORD
	v_cndmask_b32_e32 v23, v17, v4, vcc_lo
; %bb.109:
	s_or_b32 exec_lo, exec_lo, s2
	s_lshl_b64 s[2:3], s[0:1], 5
	v_add_co_u32 v17, vcc_lo, v21, s2
	v_add_co_ci_u32_e64 v18, null, s3, v22, vcc_lo
	v_add_co_u32 v4, vcc_lo, v17, v0
	v_add_co_ci_u32_e64 v5, null, v18, v1, vcc_lo
	global_store_short_d16_hi v[4:5], v23, off
	global_load_ushort v21, v[2:3], off offset:32
	s_waitcnt vmcnt(0)
	v_lshlrev_b32_e32 v21, 16, v21
	v_mul_f32_e32 v21, s9, v21
	v_and_b32_e32 v22, 0x7f800000, v21
	v_cmp_ne_u32_e32 vcc_lo, 0x7f800000, v22
                                        ; implicit-def: $vgpr22
	s_and_saveexec_b32 s2, vcc_lo
	s_xor_b32 s2, exec_lo, s2
; %bb.110:
	v_bfe_u32 v22, v21, 16, 1
	v_add3_u32 v22, v21, v22, 0x7fff
                                        ; implicit-def: $vgpr21
; %bb.111:
	s_andn2_saveexec_b32 s2, s2
; %bb.112:
	v_mov_b32_e32 v22, 0
	v_or_b32_e32 v23, 0x10000, v21
	v_cmp_eq_u32_sdwa vcc_lo, v21, v22 src0_sel:WORD_0 src1_sel:DWORD
	v_cndmask_b32_e32 v22, v23, v21, vcc_lo
; %bb.113:
	s_or_b32 exec_lo, exec_lo, s2
	v_and_b32_e32 v21, 0xffff0000, v22
	v_fmac_f32_e32 v21, s4, v16
	v_and_b32_e32 v16, 0x7f800000, v21
	v_cmp_ne_u32_e32 vcc_lo, 0x7f800000, v16
                                        ; implicit-def: $vgpr16
	s_and_saveexec_b32 s2, vcc_lo
	s_xor_b32 s2, exec_lo, s2
; %bb.114:
	v_bfe_u32 v16, v21, 16, 1
	v_add3_u32 v16, v21, v16, 0x7fff
                                        ; implicit-def: $vgpr21
; %bb.115:
	s_andn2_saveexec_b32 s2, s2
; %bb.116:
	v_mov_b32_e32 v16, 0
	v_or_b32_e32 v22, 0x10000, v21
	v_cmp_eq_u32_sdwa vcc_lo, v21, v16 src0_sel:WORD_0 src1_sel:DWORD
	v_cndmask_b32_e32 v16, v22, v21, vcc_lo
; %bb.117:
	s_or_b32 exec_lo, exec_lo, s2
	global_store_short_d16_hi v[4:5], v16, off offset:32
	global_load_ushort v16, v[2:3], off offset:64
	s_waitcnt vmcnt(0)
	v_lshlrev_b32_e32 v16, 16, v16
	v_mul_f32_e32 v16, s9, v16
	v_and_b32_e32 v21, 0x7f800000, v16
	v_cmp_ne_u32_e32 vcc_lo, 0x7f800000, v21
                                        ; implicit-def: $vgpr21
	s_and_saveexec_b32 s2, vcc_lo
	s_xor_b32 s2, exec_lo, s2
; %bb.118:
	v_bfe_u32 v21, v16, 16, 1
	v_add3_u32 v21, v16, v21, 0x7fff
                                        ; implicit-def: $vgpr16
; %bb.119:
	s_andn2_saveexec_b32 s2, s2
; %bb.120:
	v_mov_b32_e32 v21, 0
	v_or_b32_e32 v22, 0x10000, v16
	v_cmp_eq_u32_sdwa vcc_lo, v16, v21 src0_sel:WORD_0 src1_sel:DWORD
	v_cndmask_b32_e32 v21, v22, v16, vcc_lo
; %bb.121:
	s_or_b32 exec_lo, exec_lo, s2
	v_and_b32_e32 v16, 0xffff0000, v21
	v_fmac_f32_e32 v16, s4, v15
	v_and_b32_e32 v15, 0x7f800000, v16
	v_cmp_ne_u32_e32 vcc_lo, 0x7f800000, v15
                                        ; implicit-def: $vgpr15
	s_and_saveexec_b32 s2, vcc_lo
	s_xor_b32 s2, exec_lo, s2
; %bb.122:
	v_bfe_u32 v15, v16, 16, 1
	v_add3_u32 v15, v16, v15, 0x7fff
                                        ; implicit-def: $vgpr16
; %bb.123:
	s_andn2_saveexec_b32 s2, s2
; %bb.124:
	v_mov_b32_e32 v15, 0
	v_or_b32_e32 v21, 0x10000, v16
	v_cmp_eq_u32_sdwa vcc_lo, v16, v15 src0_sel:WORD_0 src1_sel:DWORD
	v_cndmask_b32_e32 v15, v21, v16, vcc_lo
; %bb.125:
	s_or_b32 exec_lo, exec_lo, s2
	global_store_short_d16_hi v[4:5], v15, off offset:64
	global_load_ushort v2, v[2:3], off offset:96
	s_waitcnt vmcnt(0)
	v_lshlrev_b32_e32 v2, 16, v2
	v_mul_f32_e32 v2, s9, v2
	v_and_b32_e32 v3, 0x7f800000, v2
	v_cmp_ne_u32_e32 vcc_lo, 0x7f800000, v3
                                        ; implicit-def: $vgpr3
	s_and_saveexec_b32 s2, vcc_lo
	s_xor_b32 s2, exec_lo, s2
; %bb.126:
	v_bfe_u32 v3, v2, 16, 1
	v_add3_u32 v3, v2, v3, 0x7fff
                                        ; implicit-def: $vgpr2
; %bb.127:
	s_andn2_saveexec_b32 s2, s2
; %bb.128:
	v_mov_b32_e32 v3, 0
	v_or_b32_e32 v15, 0x10000, v2
	v_cmp_eq_u32_sdwa vcc_lo, v2, v3 src0_sel:WORD_0 src1_sel:DWORD
	v_cndmask_b32_e32 v3, v15, v2, vcc_lo
; %bb.129:
	s_or_b32 exec_lo, exec_lo, s2
	v_and_b32_e32 v2, 0xffff0000, v3
	s_mov_b32 s2, exec_lo
                                        ; implicit-def: $vgpr16
	v_fmac_f32_e32 v2, s4, v14
	v_and_b32_e32 v3, 0x7f800000, v2
	v_cmpx_ne_u32_e32 0x7f800000, v3
	s_xor_b32 s2, exec_lo, s2
; %bb.130:
	v_bfe_u32 v3, v2, 16, 1
	v_add3_u32 v16, v2, v3, 0x7fff
                                        ; implicit-def: $vgpr2
; %bb.131:
	s_or_saveexec_b32 s5, s2
	s_lshl_b64 s[2:3], s[14:15], 4
	s_xor_b32 exec_lo, exec_lo, s5
; %bb.132:
	v_mov_b32_e32 v3, 0
	v_or_b32_e32 v14, 0x10000, v2
	v_cmp_eq_u32_sdwa vcc_lo, v2, v3 src0_sel:WORD_0 src1_sel:DWORD
	v_cndmask_b32_e32 v16, v14, v2, vcc_lo
; %bb.133:
	s_or_b32 exec_lo, exec_lo, s5
	s_lshl_b64 s[2:3], s[2:3], 1
	global_store_short_d16_hi v[4:5], v16, off offset:96
	v_add_co_u32 v14, vcc_lo, v19, s2
	v_add_co_ci_u32_e64 v15, null, s3, v20, vcc_lo
	v_add_co_u32 v2, vcc_lo, v14, v0
	v_add_co_ci_u32_e64 v3, null, v15, v1, vcc_lo
	global_load_ushort v4, v[2:3], off
	s_waitcnt vmcnt(0)
	v_lshlrev_b32_e32 v4, 16, v4
	v_mul_f32_e32 v4, s9, v4
	v_and_b32_e32 v5, 0x7f800000, v4
	v_cmp_ne_u32_e32 vcc_lo, 0x7f800000, v5
                                        ; implicit-def: $vgpr5
	s_and_saveexec_b32 s5, vcc_lo
	s_xor_b32 s5, exec_lo, s5
; %bb.134:
	v_bfe_u32 v5, v4, 16, 1
	v_add3_u32 v5, v4, v5, 0x7fff
                                        ; implicit-def: $vgpr4
; %bb.135:
	s_andn2_saveexec_b32 s5, s5
; %bb.136:
	v_mov_b32_e32 v5, 0
	v_or_b32_e32 v16, 0x10000, v4
	v_cmp_eq_u32_sdwa vcc_lo, v4, v5 src0_sel:WORD_0 src1_sel:DWORD
	v_cndmask_b32_e32 v5, v16, v4, vcc_lo
; %bb.137:
	s_or_b32 exec_lo, exec_lo, s5
	v_and_b32_e32 v4, 0xffff0000, v5
	s_mov_b32 s5, exec_lo
                                        ; implicit-def: $vgpr19
	v_fmac_f32_e32 v4, s4, v13
	v_and_b32_e32 v5, 0x7f800000, v4
	v_cmpx_ne_u32_e32 0x7f800000, v5
	s_xor_b32 s5, exec_lo, s5
; %bb.138:
	v_bfe_u32 v5, v4, 16, 1
	v_add3_u32 v19, v4, v5, 0x7fff
                                        ; implicit-def: $vgpr4
; %bb.139:
	s_or_saveexec_b32 s5, s5
	s_lshl_b64 s[0:1], s[0:1], 4
	s_xor_b32 exec_lo, exec_lo, s5
; %bb.140:
	v_mov_b32_e32 v5, 0
	v_or_b32_e32 v13, 0x10000, v4
	v_cmp_eq_u32_sdwa vcc_lo, v4, v5 src0_sel:WORD_0 src1_sel:DWORD
	v_cndmask_b32_e32 v19, v13, v4, vcc_lo
; %bb.141:
	s_or_b32 exec_lo, exec_lo, s5
	s_lshl_b64 s[0:1], s[0:1], 1
	v_add_co_u32 v13, vcc_lo, v17, s0
	v_add_co_ci_u32_e64 v16, null, s1, v18, vcc_lo
	v_add_co_u32 v4, vcc_lo, v13, v0
	v_add_co_ci_u32_e64 v5, null, v16, v1, vcc_lo
	global_store_short_d16_hi v[4:5], v19, off
	global_load_ushort v17, v[2:3], off offset:32
	s_waitcnt vmcnt(0)
	v_lshlrev_b32_e32 v17, 16, v17
	v_mul_f32_e32 v17, s9, v17
	v_and_b32_e32 v18, 0x7f800000, v17
	v_cmp_ne_u32_e32 vcc_lo, 0x7f800000, v18
                                        ; implicit-def: $vgpr18
	s_and_saveexec_b32 s5, vcc_lo
	s_xor_b32 s5, exec_lo, s5
; %bb.142:
	v_bfe_u32 v18, v17, 16, 1
	v_add3_u32 v18, v17, v18, 0x7fff
                                        ; implicit-def: $vgpr17
; %bb.143:
	s_andn2_saveexec_b32 s5, s5
; %bb.144:
	v_mov_b32_e32 v18, 0
	v_or_b32_e32 v19, 0x10000, v17
	v_cmp_eq_u32_sdwa vcc_lo, v17, v18 src0_sel:WORD_0 src1_sel:DWORD
	v_cndmask_b32_e32 v18, v19, v17, vcc_lo
; %bb.145:
	s_or_b32 exec_lo, exec_lo, s5
	v_and_b32_e32 v17, 0xffff0000, v18
	v_fmac_f32_e32 v17, s4, v12
	v_and_b32_e32 v12, 0x7f800000, v17
	v_cmp_ne_u32_e32 vcc_lo, 0x7f800000, v12
                                        ; implicit-def: $vgpr12
	s_and_saveexec_b32 s5, vcc_lo
	s_xor_b32 s5, exec_lo, s5
; %bb.146:
	v_bfe_u32 v12, v17, 16, 1
	v_add3_u32 v12, v17, v12, 0x7fff
                                        ; implicit-def: $vgpr17
; %bb.147:
	s_andn2_saveexec_b32 s5, s5
; %bb.148:
	v_mov_b32_e32 v12, 0
	v_or_b32_e32 v18, 0x10000, v17
	v_cmp_eq_u32_sdwa vcc_lo, v17, v12 src0_sel:WORD_0 src1_sel:DWORD
	v_cndmask_b32_e32 v12, v18, v17, vcc_lo
; %bb.149:
	s_or_b32 exec_lo, exec_lo, s5
	global_store_short_d16_hi v[4:5], v12, off offset:32
	global_load_ushort v12, v[2:3], off offset:64
	s_waitcnt vmcnt(0)
	v_lshlrev_b32_e32 v12, 16, v12
	v_mul_f32_e32 v12, s9, v12
	v_and_b32_e32 v17, 0x7f800000, v12
	v_cmp_ne_u32_e32 vcc_lo, 0x7f800000, v17
                                        ; implicit-def: $vgpr17
	s_and_saveexec_b32 s5, vcc_lo
	s_xor_b32 s5, exec_lo, s5
; %bb.150:
	v_bfe_u32 v17, v12, 16, 1
	v_add3_u32 v17, v12, v17, 0x7fff
                                        ; implicit-def: $vgpr12
; %bb.151:
	s_andn2_saveexec_b32 s5, s5
; %bb.152:
	v_mov_b32_e32 v17, 0
	v_or_b32_e32 v18, 0x10000, v12
	v_cmp_eq_u32_sdwa vcc_lo, v12, v17 src0_sel:WORD_0 src1_sel:DWORD
	v_cndmask_b32_e32 v17, v18, v12, vcc_lo
; %bb.153:
	s_or_b32 exec_lo, exec_lo, s5
	v_and_b32_e32 v12, 0xffff0000, v17
	v_fmac_f32_e32 v12, s4, v11
	v_and_b32_e32 v11, 0x7f800000, v12
	v_cmp_ne_u32_e32 vcc_lo, 0x7f800000, v11
                                        ; implicit-def: $vgpr11
	s_and_saveexec_b32 s5, vcc_lo
	s_xor_b32 s5, exec_lo, s5
; %bb.154:
	v_bfe_u32 v11, v12, 16, 1
	v_add3_u32 v11, v12, v11, 0x7fff
                                        ; implicit-def: $vgpr12
; %bb.155:
	s_andn2_saveexec_b32 s5, s5
; %bb.156:
	v_mov_b32_e32 v11, 0
	v_or_b32_e32 v17, 0x10000, v12
	v_cmp_eq_u32_sdwa vcc_lo, v12, v11 src0_sel:WORD_0 src1_sel:DWORD
	v_cndmask_b32_e32 v11, v17, v12, vcc_lo
; %bb.157:
	s_or_b32 exec_lo, exec_lo, s5
	global_store_short_d16_hi v[4:5], v11, off offset:64
	global_load_ushort v2, v[2:3], off offset:96
	s_waitcnt vmcnt(0)
	v_lshlrev_b32_e32 v2, 16, v2
	v_mul_f32_e32 v2, s9, v2
	v_and_b32_e32 v3, 0x7f800000, v2
	v_cmp_ne_u32_e32 vcc_lo, 0x7f800000, v3
                                        ; implicit-def: $vgpr3
	s_and_saveexec_b32 s5, vcc_lo
	s_xor_b32 s5, exec_lo, s5
; %bb.158:
	v_bfe_u32 v3, v2, 16, 1
	v_add3_u32 v3, v2, v3, 0x7fff
                                        ; implicit-def: $vgpr2
; %bb.159:
	s_andn2_saveexec_b32 s5, s5
; %bb.160:
	v_mov_b32_e32 v3, 0
	v_or_b32_e32 v11, 0x10000, v2
	v_cmp_eq_u32_sdwa vcc_lo, v2, v3 src0_sel:WORD_0 src1_sel:DWORD
	v_cndmask_b32_e32 v3, v11, v2, vcc_lo
; %bb.161:
	s_or_b32 exec_lo, exec_lo, s5
	v_and_b32_e32 v2, 0xffff0000, v3
	s_mov_b32 s5, exec_lo
	v_fmac_f32_e32 v2, s4, v10
                                        ; implicit-def: $vgpr10
	v_and_b32_e32 v3, 0x7f800000, v2
	v_cmpx_ne_u32_e32 0x7f800000, v3
	s_xor_b32 s5, exec_lo, s5
; %bb.162:
	v_bfe_u32 v3, v2, 16, 1
	v_add3_u32 v10, v2, v3, 0x7fff
                                        ; implicit-def: $vgpr2
; %bb.163:
	s_andn2_saveexec_b32 s5, s5
; %bb.164:
	v_mov_b32_e32 v3, 0
	v_or_b32_e32 v10, 0x10000, v2
	v_cmp_eq_u32_sdwa vcc_lo, v2, v3 src0_sel:WORD_0 src1_sel:DWORD
	v_cndmask_b32_e32 v10, v10, v2, vcc_lo
; %bb.165:
	s_or_b32 exec_lo, exec_lo, s5
	v_add_co_u32 v2, vcc_lo, v14, s2
	v_add_co_ci_u32_e64 v3, null, s3, v15, vcc_lo
	global_store_short_d16_hi v[4:5], v10, off offset:96
	v_add_co_u32 v2, vcc_lo, v2, v0
	v_add_co_ci_u32_e64 v3, null, v3, v1, vcc_lo
	global_load_ushort v4, v[2:3], off
	s_waitcnt vmcnt(0)
	v_lshlrev_b32_e32 v4, 16, v4
	v_mul_f32_e32 v4, s9, v4
	v_and_b32_e32 v5, 0x7f800000, v4
	v_cmp_ne_u32_e32 vcc_lo, 0x7f800000, v5
                                        ; implicit-def: $vgpr5
	s_and_saveexec_b32 s2, vcc_lo
	s_xor_b32 s2, exec_lo, s2
; %bb.166:
	v_bfe_u32 v5, v4, 16, 1
	v_add3_u32 v5, v4, v5, 0x7fff
                                        ; implicit-def: $vgpr4
; %bb.167:
	s_andn2_saveexec_b32 s2, s2
; %bb.168:
	v_mov_b32_e32 v5, 0
	v_or_b32_e32 v10, 0x10000, v4
	v_cmp_eq_u32_sdwa vcc_lo, v4, v5 src0_sel:WORD_0 src1_sel:DWORD
	v_cndmask_b32_e32 v5, v10, v4, vcc_lo
; %bb.169:
	s_or_b32 exec_lo, exec_lo, s2
	v_and_b32_e32 v5, 0xffff0000, v5
	v_fmac_f32_e32 v5, s4, v9
	v_and_b32_e32 v4, 0x7f800000, v5
	v_cmp_ne_u32_e32 vcc_lo, 0x7f800000, v4
                                        ; implicit-def: $vgpr4
	s_and_saveexec_b32 s2, vcc_lo
	s_xor_b32 s2, exec_lo, s2
; %bb.170:
	v_bfe_u32 v4, v5, 16, 1
	v_add3_u32 v4, v5, v4, 0x7fff
                                        ; implicit-def: $vgpr5
; %bb.171:
	s_andn2_saveexec_b32 s2, s2
; %bb.172:
	v_mov_b32_e32 v4, 0
	v_or_b32_e32 v9, 0x10000, v5
	v_cmp_eq_u32_sdwa vcc_lo, v5, v4 src0_sel:WORD_0 src1_sel:DWORD
	v_cndmask_b32_e32 v4, v9, v5, vcc_lo
; %bb.173:
	s_or_b32 exec_lo, exec_lo, s2
	v_add_co_u32 v5, vcc_lo, v13, s0
	v_add_co_ci_u32_e64 v9, null, s1, v16, vcc_lo
	v_add_co_u32 v0, vcc_lo, v5, v0
	v_add_co_ci_u32_e64 v1, null, v9, v1, vcc_lo
	global_store_short_d16_hi v[0:1], v4, off
	global_load_ushort v4, v[2:3], off offset:32
	s_waitcnt vmcnt(0)
	v_lshlrev_b32_e32 v4, 16, v4
	v_mul_f32_e32 v4, s9, v4
	v_and_b32_e32 v5, 0x7f800000, v4
	v_cmp_ne_u32_e32 vcc_lo, 0x7f800000, v5
                                        ; implicit-def: $vgpr5
	s_and_saveexec_b32 s0, vcc_lo
	s_xor_b32 s0, exec_lo, s0
; %bb.174:
	v_bfe_u32 v5, v4, 16, 1
	v_add3_u32 v5, v4, v5, 0x7fff
                                        ; implicit-def: $vgpr4
; %bb.175:
	s_andn2_saveexec_b32 s0, s0
; %bb.176:
	v_mov_b32_e32 v5, 0
	v_or_b32_e32 v9, 0x10000, v4
	v_cmp_eq_u32_sdwa vcc_lo, v4, v5 src0_sel:WORD_0 src1_sel:DWORD
	v_cndmask_b32_e32 v5, v9, v4, vcc_lo
; %bb.177:
	s_or_b32 exec_lo, exec_lo, s0
	v_and_b32_e32 v4, 0xffff0000, v5
	v_fmac_f32_e32 v4, s4, v8
	v_and_b32_e32 v5, 0x7f800000, v4
	v_cmp_ne_u32_e32 vcc_lo, 0x7f800000, v5
                                        ; implicit-def: $vgpr5
	s_and_saveexec_b32 s0, vcc_lo
	s_xor_b32 s0, exec_lo, s0
; %bb.178:
	v_bfe_u32 v5, v4, 16, 1
	v_add3_u32 v5, v4, v5, 0x7fff
                                        ; implicit-def: $vgpr4
; %bb.179:
	s_andn2_saveexec_b32 s0, s0
; %bb.180:
	v_mov_b32_e32 v5, 0
	v_or_b32_e32 v8, 0x10000, v4
	v_cmp_eq_u32_sdwa vcc_lo, v4, v5 src0_sel:WORD_0 src1_sel:DWORD
	v_cndmask_b32_e32 v5, v8, v4, vcc_lo
; %bb.181:
	s_or_b32 exec_lo, exec_lo, s0
	global_store_short_d16_hi v[0:1], v5, off offset:32
	global_load_ushort v4, v[2:3], off offset:64
	s_waitcnt vmcnt(0)
	v_lshlrev_b32_e32 v4, 16, v4
	v_mul_f32_e32 v4, s9, v4
	v_and_b32_e32 v5, 0x7f800000, v4
	v_cmp_ne_u32_e32 vcc_lo, 0x7f800000, v5
                                        ; implicit-def: $vgpr5
	s_and_saveexec_b32 s0, vcc_lo
	s_xor_b32 s0, exec_lo, s0
; %bb.182:
	v_bfe_u32 v5, v4, 16, 1
	v_add3_u32 v5, v4, v5, 0x7fff
                                        ; implicit-def: $vgpr4
; %bb.183:
	s_andn2_saveexec_b32 s0, s0
; %bb.184:
	v_mov_b32_e32 v5, 0
	v_or_b32_e32 v8, 0x10000, v4
	v_cmp_eq_u32_sdwa vcc_lo, v4, v5 src0_sel:WORD_0 src1_sel:DWORD
	v_cndmask_b32_e32 v5, v8, v4, vcc_lo
; %bb.185:
	s_or_b32 exec_lo, exec_lo, s0
	v_and_b32_e32 v4, 0xffff0000, v5
	v_fmac_f32_e32 v4, s4, v7
	v_and_b32_e32 v5, 0x7f800000, v4
	v_cmp_ne_u32_e32 vcc_lo, 0x7f800000, v5
                                        ; implicit-def: $vgpr5
	s_and_saveexec_b32 s0, vcc_lo
	s_xor_b32 s0, exec_lo, s0
; %bb.186:
	v_bfe_u32 v5, v4, 16, 1
	v_add3_u32 v5, v4, v5, 0x7fff
                                        ; implicit-def: $vgpr4
; %bb.187:
	s_andn2_saveexec_b32 s0, s0
; %bb.188:
	v_mov_b32_e32 v5, 0
	v_or_b32_e32 v7, 0x10000, v4
	v_cmp_eq_u32_sdwa vcc_lo, v4, v5 src0_sel:WORD_0 src1_sel:DWORD
	v_cndmask_b32_e32 v5, v7, v4, vcc_lo
; %bb.189:
	s_or_b32 exec_lo, exec_lo, s0
	global_store_short_d16_hi v[0:1], v5, off offset:64
	global_load_ushort v2, v[2:3], off offset:96
	s_waitcnt vmcnt(0)
	v_lshlrev_b32_e32 v2, 16, v2
	v_mul_f32_e32 v2, s9, v2
	v_and_b32_e32 v3, 0x7f800000, v2
	v_cmp_ne_u32_e32 vcc_lo, 0x7f800000, v3
                                        ; implicit-def: $vgpr3
	s_and_saveexec_b32 s0, vcc_lo
	s_xor_b32 s0, exec_lo, s0
; %bb.190:
	v_bfe_u32 v3, v2, 16, 1
	v_add3_u32 v3, v2, v3, 0x7fff
                                        ; implicit-def: $vgpr2
; %bb.191:
	s_andn2_saveexec_b32 s0, s0
; %bb.192:
	v_mov_b32_e32 v3, 0
	v_or_b32_e32 v4, 0x10000, v2
	v_cmp_eq_u32_sdwa vcc_lo, v2, v3 src0_sel:WORD_0 src1_sel:DWORD
	v_cndmask_b32_e32 v3, v4, v2, vcc_lo
; %bb.193:
	s_or_b32 exec_lo, exec_lo, s0
	v_and_b32_e32 v2, 0xffff0000, v3
	v_fmac_f32_e32 v2, s4, v6
	v_and_b32_e32 v3, 0x7f800000, v2
	v_cmp_ne_u32_e32 vcc_lo, 0x7f800000, v3
                                        ; implicit-def: $vgpr3
	s_and_saveexec_b32 s0, vcc_lo
	s_xor_b32 s0, exec_lo, s0
	s_cbranch_execnz .LBB420_198
; %bb.194:
	s_andn2_saveexec_b32 s0, s0
	s_cbranch_execnz .LBB420_199
.LBB420_195:
	s_or_b32 exec_lo, exec_lo, s0
	global_store_short_d16_hi v[0:1], v3, off offset:96
	s_endpgm
.LBB420_196:
	s_cbranch_execnz .LBB420_69
.LBB420_197:
	s_endpgm
.LBB420_198:
	v_bfe_u32 v3, v2, 16, 1
	v_add3_u32 v3, v2, v3, 0x7fff
                                        ; implicit-def: $vgpr2
	s_andn2_saveexec_b32 s0, s0
	s_cbranch_execz .LBB420_195
.LBB420_199:
	v_mov_b32_e32 v3, 0
	v_or_b32_e32 v4, 0x10000, v2
	v_cmp_eq_u32_sdwa vcc_lo, v2, v3 src0_sel:WORD_0 src1_sel:DWORD
	v_cndmask_b32_e32 v3, v4, v2, vcc_lo
	s_or_b32 exec_lo, exec_lo, s0
	global_store_short_d16_hi v[0:1], v3, off offset:96
	s_endpgm
	.section	.rodata,"a",@progbits
	.p2align	6, 0x0
	.amdhsa_kernel _ZN12_GLOBAL__N_127rocblas_gemm_batched_kernelIfLi16ELi16ELi64ELi64ELi4ELi64ELi4ELi4ELi64ELc78ELc84EK16rocblas_bfloat16S2_S1_EEvlllT_PT11_llS5_llS3_PT12_llPT13_lli
		.amdhsa_group_segment_fixed_size 2048
		.amdhsa_private_segment_fixed_size 0
		.amdhsa_kernarg_size 140
		.amdhsa_user_sgpr_count 6
		.amdhsa_user_sgpr_private_segment_buffer 1
		.amdhsa_user_sgpr_dispatch_ptr 0
		.amdhsa_user_sgpr_queue_ptr 0
		.amdhsa_user_sgpr_kernarg_segment_ptr 1
		.amdhsa_user_sgpr_dispatch_id 0
		.amdhsa_user_sgpr_flat_scratch_init 0
		.amdhsa_user_sgpr_private_segment_size 0
		.amdhsa_wavefront_size32 1
		.amdhsa_uses_dynamic_stack 0
		.amdhsa_system_sgpr_private_segment_wavefront_offset 0
		.amdhsa_system_sgpr_workgroup_id_x 1
		.amdhsa_system_sgpr_workgroup_id_y 1
		.amdhsa_system_sgpr_workgroup_id_z 1
		.amdhsa_system_sgpr_workgroup_info 0
		.amdhsa_system_vgpr_workitem_id 1
		.amdhsa_next_free_vgpr 58
		.amdhsa_next_free_sgpr 22
		.amdhsa_reserve_vcc 1
		.amdhsa_reserve_flat_scratch 0
		.amdhsa_float_round_mode_32 0
		.amdhsa_float_round_mode_16_64 0
		.amdhsa_float_denorm_mode_32 3
		.amdhsa_float_denorm_mode_16_64 3
		.amdhsa_dx10_clamp 1
		.amdhsa_ieee_mode 1
		.amdhsa_fp16_overflow 0
		.amdhsa_workgroup_processor_mode 1
		.amdhsa_memory_ordered 1
		.amdhsa_forward_progress 1
		.amdhsa_shared_vgpr_count 0
		.amdhsa_exception_fp_ieee_invalid_op 0
		.amdhsa_exception_fp_denorm_src 0
		.amdhsa_exception_fp_ieee_div_zero 0
		.amdhsa_exception_fp_ieee_overflow 0
		.amdhsa_exception_fp_ieee_underflow 0
		.amdhsa_exception_fp_ieee_inexact 0
		.amdhsa_exception_int_div_zero 0
	.end_amdhsa_kernel
	.section	.text._ZN12_GLOBAL__N_127rocblas_gemm_batched_kernelIfLi16ELi16ELi64ELi64ELi4ELi64ELi4ELi4ELi64ELc78ELc84EK16rocblas_bfloat16S2_S1_EEvlllT_PT11_llS5_llS3_PT12_llPT13_lli,"axG",@progbits,_ZN12_GLOBAL__N_127rocblas_gemm_batched_kernelIfLi16ELi16ELi64ELi64ELi4ELi64ELi4ELi4ELi64ELc78ELc84EK16rocblas_bfloat16S2_S1_EEvlllT_PT11_llS5_llS3_PT12_llPT13_lli,comdat
.Lfunc_end420:
	.size	_ZN12_GLOBAL__N_127rocblas_gemm_batched_kernelIfLi16ELi16ELi64ELi64ELi4ELi64ELi4ELi4ELi64ELc78ELc84EK16rocblas_bfloat16S2_S1_EEvlllT_PT11_llS5_llS3_PT12_llPT13_lli, .Lfunc_end420-_ZN12_GLOBAL__N_127rocblas_gemm_batched_kernelIfLi16ELi16ELi64ELi64ELi4ELi64ELi4ELi4ELi64ELc78ELc84EK16rocblas_bfloat16S2_S1_EEvlllT_PT11_llS5_llS3_PT12_llPT13_lli
                                        ; -- End function
	.set _ZN12_GLOBAL__N_127rocblas_gemm_batched_kernelIfLi16ELi16ELi64ELi64ELi4ELi64ELi4ELi4ELi64ELc78ELc84EK16rocblas_bfloat16S2_S1_EEvlllT_PT11_llS5_llS3_PT12_llPT13_lli.num_vgpr, 58
	.set _ZN12_GLOBAL__N_127rocblas_gemm_batched_kernelIfLi16ELi16ELi64ELi64ELi4ELi64ELi4ELi4ELi64ELc78ELc84EK16rocblas_bfloat16S2_S1_EEvlllT_PT11_llS5_llS3_PT12_llPT13_lli.num_agpr, 0
	.set _ZN12_GLOBAL__N_127rocblas_gemm_batched_kernelIfLi16ELi16ELi64ELi64ELi4ELi64ELi4ELi4ELi64ELc78ELc84EK16rocblas_bfloat16S2_S1_EEvlllT_PT11_llS5_llS3_PT12_llPT13_lli.numbered_sgpr, 22
	.set _ZN12_GLOBAL__N_127rocblas_gemm_batched_kernelIfLi16ELi16ELi64ELi64ELi4ELi64ELi4ELi4ELi64ELc78ELc84EK16rocblas_bfloat16S2_S1_EEvlllT_PT11_llS5_llS3_PT12_llPT13_lli.num_named_barrier, 0
	.set _ZN12_GLOBAL__N_127rocblas_gemm_batched_kernelIfLi16ELi16ELi64ELi64ELi4ELi64ELi4ELi4ELi64ELc78ELc84EK16rocblas_bfloat16S2_S1_EEvlllT_PT11_llS5_llS3_PT12_llPT13_lli.private_seg_size, 0
	.set _ZN12_GLOBAL__N_127rocblas_gemm_batched_kernelIfLi16ELi16ELi64ELi64ELi4ELi64ELi4ELi4ELi64ELc78ELc84EK16rocblas_bfloat16S2_S1_EEvlllT_PT11_llS5_llS3_PT12_llPT13_lli.uses_vcc, 1
	.set _ZN12_GLOBAL__N_127rocblas_gemm_batched_kernelIfLi16ELi16ELi64ELi64ELi4ELi64ELi4ELi4ELi64ELc78ELc84EK16rocblas_bfloat16S2_S1_EEvlllT_PT11_llS5_llS3_PT12_llPT13_lli.uses_flat_scratch, 0
	.set _ZN12_GLOBAL__N_127rocblas_gemm_batched_kernelIfLi16ELi16ELi64ELi64ELi4ELi64ELi4ELi4ELi64ELc78ELc84EK16rocblas_bfloat16S2_S1_EEvlllT_PT11_llS5_llS3_PT12_llPT13_lli.has_dyn_sized_stack, 0
	.set _ZN12_GLOBAL__N_127rocblas_gemm_batched_kernelIfLi16ELi16ELi64ELi64ELi4ELi64ELi4ELi4ELi64ELc78ELc84EK16rocblas_bfloat16S2_S1_EEvlllT_PT11_llS5_llS3_PT12_llPT13_lli.has_recursion, 0
	.set _ZN12_GLOBAL__N_127rocblas_gemm_batched_kernelIfLi16ELi16ELi64ELi64ELi4ELi64ELi4ELi4ELi64ELc78ELc84EK16rocblas_bfloat16S2_S1_EEvlllT_PT11_llS5_llS3_PT12_llPT13_lli.has_indirect_call, 0
	.section	.AMDGPU.csdata,"",@progbits
; Kernel info:
; codeLenInByte = 6176
; TotalNumSgprs: 24
; NumVgprs: 58
; ScratchSize: 0
; MemoryBound: 0
; FloatMode: 240
; IeeeMode: 1
; LDSByteSize: 2048 bytes/workgroup (compile time only)
; SGPRBlocks: 0
; VGPRBlocks: 7
; NumSGPRsForWavesPerEU: 24
; NumVGPRsForWavesPerEU: 58
; Occupancy: 16
; WaveLimiterHint : 0
; COMPUTE_PGM_RSRC2:SCRATCH_EN: 0
; COMPUTE_PGM_RSRC2:USER_SGPR: 6
; COMPUTE_PGM_RSRC2:TRAP_HANDLER: 0
; COMPUTE_PGM_RSRC2:TGID_X_EN: 1
; COMPUTE_PGM_RSRC2:TGID_Y_EN: 1
; COMPUTE_PGM_RSRC2:TGID_Z_EN: 1
; COMPUTE_PGM_RSRC2:TIDIG_COMP_CNT: 1
	.section	.text._ZN12_GLOBAL__N_127rocblas_gemm_batched_kernelIfLi16ELi16ELi64ELi64ELi4ELi64ELi4ELi4ELi64ELc84ELc84EK16rocblas_bfloat16S2_S1_EEvlllT_PT11_llS5_llS3_PT12_llPT13_lli,"axG",@progbits,_ZN12_GLOBAL__N_127rocblas_gemm_batched_kernelIfLi16ELi16ELi64ELi64ELi4ELi64ELi4ELi4ELi64ELc84ELc84EK16rocblas_bfloat16S2_S1_EEvlllT_PT11_llS5_llS3_PT12_llPT13_lli,comdat
	.globl	_ZN12_GLOBAL__N_127rocblas_gemm_batched_kernelIfLi16ELi16ELi64ELi64ELi4ELi64ELi4ELi4ELi64ELc84ELc84EK16rocblas_bfloat16S2_S1_EEvlllT_PT11_llS5_llS3_PT12_llPT13_lli ; -- Begin function _ZN12_GLOBAL__N_127rocblas_gemm_batched_kernelIfLi16ELi16ELi64ELi64ELi4ELi64ELi4ELi4ELi64ELc84ELc84EK16rocblas_bfloat16S2_S1_EEvlllT_PT11_llS5_llS3_PT12_llPT13_lli
	.p2align	8
	.type	_ZN12_GLOBAL__N_127rocblas_gemm_batched_kernelIfLi16ELi16ELi64ELi64ELi4ELi64ELi4ELi4ELi64ELc84ELc84EK16rocblas_bfloat16S2_S1_EEvlllT_PT11_llS5_llS3_PT12_llPT13_lli,@function
_ZN12_GLOBAL__N_127rocblas_gemm_batched_kernelIfLi16ELi16ELi64ELi64ELi4ELi64ELi4ELi4ELi64ELc84ELc84EK16rocblas_bfloat16S2_S1_EEvlllT_PT11_llS5_llS3_PT12_llPT13_lli: ; @_ZN12_GLOBAL__N_127rocblas_gemm_batched_kernelIfLi16ELi16ELi64ELi64ELi4ELi64ELi4ELi4ELi64ELc84ELc84EK16rocblas_bfloat16S2_S1_EEvlllT_PT11_llS5_llS3_PT12_llPT13_lli
; %bb.0:
	s_load_dwordx2 s[20:21], s[4:5], 0x10
	s_mov_b32 s0, s7
	v_mov_b32_e32 v21, 0
	v_mov_b32_e32 v20, 0
	v_mov_b32_e32 v19, 0
	v_mov_b32_e32 v18, 0
	v_mov_b32_e32 v17, 0
	v_mov_b32_e32 v16, 0
	v_mov_b32_e32 v15, 0
	v_mov_b32_e32 v14, 0
	v_mov_b32_e32 v13, 0
	v_mov_b32_e32 v12, 0
	v_mov_b32_e32 v11, 0
	v_mov_b32_e32 v10, 0
	v_mov_b32_e32 v9, 0
	v_mov_b32_e32 v8, 0
	v_mov_b32_e32 v7, 0
	v_mov_b32_e32 v6, 0
	s_ashr_i32 s7, s6, 31
	s_ashr_i32 s1, s0, 31
	s_waitcnt lgkmcnt(0)
	v_cmp_lt_i64_e64 s2, s[20:21], 1
	s_lshl_b64 s[6:7], s[6:7], 6
	s_lshl_b64 s[10:11], s[0:1], 6
	s_and_b32 vcc_lo, exec_lo, s2
	s_cbranch_vccnz .LBB421_3
; %bb.1:
	v_lshlrev_b32_e32 v7, 4, v1
	s_clause 0x1
	s_load_dwordx4 s[0:3], s[4:5], 0x40
	s_load_dwordx8 s[12:19], s[4:5], 0x20
	v_and_b32_e32 v8, 3, v0
	v_mov_b32_e32 v6, 0
	v_lshlrev_b32_e32 v22, 2, v0
	v_add_nc_u32_e32 v2, v7, v0
	v_add_nc_u32_e32 v23, 0x400, v7
	v_lshlrev_b32_e32 v5, 2, v8
	v_mov_b32_e32 v15, 0
	v_mov_b32_e32 v16, 0
	v_lshrrev_b32_e32 v4, 2, v2
	v_and_b32_e32 v9, 63, v2
	v_lshrrev_b32_e32 v10, 6, v2
	v_mov_b32_e32 v17, 0
	v_mov_b32_e32 v18, 0
	v_add_co_u32 v2, s9, v4, s10
	v_add_co_ci_u32_e64 v3, null, 0, s11, s9
	v_add_co_u32 v11, s9, s6, v9
	v_add_co_ci_u32_e64 v12, null, s7, 0, s9
	v_lshl_or_b32 v13, v4, 4, v5
	s_waitcnt lgkmcnt(0)
	v_mul_lo_u32 v14, s15, v11
	v_mad_u64_u32 v[4:5], null, s14, v11, 0
	v_mul_lo_u32 v12, s14, v12
	v_mad_u64_u32 v[2:3], null, s0, v8, v[2:3]
	s_mul_i32 s9, s17, s8
	s_mul_hi_u32 s15, s16, s8
	s_mul_i32 s14, s16, s8
	s_add_i32 s15, s15, s9
	v_lshlrev_b32_e32 v11, 1, v10
	v_add3_u32 v5, v5, v12, v14
	v_mad_u64_u32 v[7:8], null, s1, v8, v[3:4]
	s_lshl_b64 s[14:15], s[14:15], 1
	s_mul_i32 s3, s3, s8
	v_lshlrev_b64 v[4:5], 1, v[4:5]
	s_mul_hi_u32 s9, s2, s8
	s_mul_i32 s2, s2, s8
	s_add_i32 s3, s9, s3
	v_mov_b32_e32 v3, v7
	s_lshl_b64 s[2:3], s[2:3], 1
	v_add_co_u32 v4, vcc_lo, v4, s14
	v_add_co_ci_u32_e64 v5, null, s15, v5, vcc_lo
	v_lshlrev_b32_e32 v9, 2, v9
	v_add_co_u32 v7, vcc_lo, v4, v11
	v_add_co_ci_u32_e64 v8, null, 0, v5, vcc_lo
	v_lshlrev_b64 v[4:5], 1, v[2:3]
	v_add_co_u32 v2, vcc_lo, s12, v7
	s_add_u32 s2, s18, s2
	v_add_co_ci_u32_e64 v3, null, s13, v8, vcc_lo
	s_addc_u32 s3, s19, s3
	v_add_co_u32 v4, vcc_lo, s2, v4
	v_lshl_or_b32 v24, v10, 8, v9
	v_add_nc_u32_e32 v25, 0x400, v13
	v_add_co_ci_u32_e64 v5, null, s3, v5, vcc_lo
	v_mov_b32_e32 v7, 0
	v_mov_b32_e32 v8, 0
	v_mov_b32_e32 v9, 0
	v_mov_b32_e32 v10, 0
	v_mov_b32_e32 v11, 0
	v_mov_b32_e32 v12, 0
	v_mov_b32_e32 v13, 0
	v_mov_b32_e32 v14, 0
	v_mov_b32_e32 v19, 0
	v_mov_b32_e32 v20, 0
	v_mov_b32_e32 v21, 0
	s_lshl_b64 s[0:1], s[0:1], 3
	s_mov_b64 s[2:3], 0
.LBB421_2:                              ; =>This Inner Loop Header: Depth=1
	global_load_ushort v26, v[2:3], off
	global_load_ushort v27, v[4:5], off
	s_add_u32 s2, s2, 4
	s_addc_u32 s3, s3, 0
	v_add_co_u32 v2, vcc_lo, v2, 8
	v_cmp_lt_i64_e64 s9, s[2:3], s[20:21]
	v_add_co_ci_u32_e64 v3, null, 0, v3, vcc_lo
	v_add_co_u32 v4, vcc_lo, v4, s0
	v_add_co_ci_u32_e64 v5, null, s1, v5, vcc_lo
	s_and_b32 vcc_lo, exec_lo, s9
	s_waitcnt vmcnt(1)
	v_lshlrev_b32_e32 v26, 16, v26
	s_waitcnt vmcnt(0)
	v_lshlrev_b32_e32 v27, 16, v27
	ds_write_b32 v24, v26
	ds_write_b32 v25, v27
	s_waitcnt lgkmcnt(0)
	s_barrier
	buffer_gl0_inv
	ds_read_b128 v[26:29], v23
	ds_read2_b32 v[42:43], v22 offset1:16
	ds_read2_b32 v[44:45], v22 offset0:32 offset1:48
	ds_read_b128 v[30:33], v23 offset:256
	ds_read_b128 v[34:37], v23 offset:512
	;; [unrolled: 1-line block ×3, first 2 shown]
	ds_read2_b32 v[46:47], v22 offset0:64 offset1:80
	ds_read2_b32 v[48:49], v22 offset0:96 offset1:112
	;; [unrolled: 1-line block ×6, first 2 shown]
	s_waitcnt lgkmcnt(0)
	s_barrier
	buffer_gl0_inv
	v_fmac_f32_e32 v21, v42, v26
	v_fmac_f32_e32 v20, v43, v26
	;; [unrolled: 1-line block ×64, first 2 shown]
	s_cbranch_vccnz .LBB421_2
.LBB421_3:
	s_clause 0x3
	s_load_dwordx4 s[0:3], s[4:5], 0x78
	s_load_dword s9, s[4:5], 0x50
	s_load_dwordx8 s[12:19], s[4:5], 0x58
	s_load_dword s4, s[4:5], 0x18
	v_add_co_u32 v22, s5, s10, v1
	v_add_co_ci_u32_e64 v23, null, s11, 0, s5
	s_waitcnt lgkmcnt(0)
	s_mul_i32 s3, s3, s8
	s_mul_hi_u32 s5, s2, s8
	s_mul_i32 s2, s2, s8
	s_add_i32 s3, s5, s3
	v_cmp_neq_f32_e64 s10, s9, 0
	v_add_co_u32 v0, s5, s6, v0
	s_lshl_b64 s[2:3], s[2:3], 1
	v_add_co_ci_u32_e64 v1, null, s7, 0, s5
	s_add_u32 s5, s18, s2
	s_addc_u32 s6, s19, s3
	s_and_b32 vcc_lo, exec_lo, s10
	s_cbranch_vccnz .LBB421_196
; %bb.4:
	v_mul_f32_e32 v2, s4, v21
	s_mov_b32 s2, exec_lo
                                        ; implicit-def: $vgpr26
	v_and_b32_e32 v3, 0x7f800000, v2
	v_cmpx_ne_u32_e32 0x7f800000, v3
	s_xor_b32 s2, exec_lo, s2
; %bb.5:
	v_bfe_u32 v3, v2, 16, 1
	v_add3_u32 v26, v2, v3, 0x7fff
                                        ; implicit-def: $vgpr2
; %bb.6:
	s_andn2_saveexec_b32 s2, s2
; %bb.7:
	v_mov_b32_e32 v3, 0
	v_or_b32_e32 v4, 0x10000, v2
	v_cmp_eq_u32_sdwa vcc_lo, v2, v3 src0_sel:WORD_0 src1_sel:DWORD
	v_cndmask_b32_e32 v26, v4, v2, vcc_lo
; %bb.8:
	s_or_b32 exec_lo, exec_lo, s2
	v_mul_lo_u32 v4, v23, s0
	v_mul_lo_u32 v5, v22, s1
	v_mad_u64_u32 v[2:3], null, v22, s0, 0
	v_mul_f32_e32 v27, s4, v20
	v_and_b32_e32 v28, 0x7f800000, v27
	v_add3_u32 v3, v3, v5, v4
	v_lshlrev_b64 v[4:5], 1, v[2:3]
	v_lshlrev_b64 v[2:3], 1, v[0:1]
	v_add_co_u32 v24, vcc_lo, s5, v4
	v_add_co_ci_u32_e64 v25, null, s6, v5, vcc_lo
	v_add_co_u32 v4, vcc_lo, v24, v2
	v_add_co_ci_u32_e64 v5, null, v25, v3, vcc_lo
	v_cmp_ne_u32_e32 vcc_lo, 0x7f800000, v28
                                        ; implicit-def: $vgpr28
	global_store_short_d16_hi v[4:5], v26, off
	s_and_saveexec_b32 s2, vcc_lo
	s_xor_b32 s2, exec_lo, s2
; %bb.9:
	v_bfe_u32 v26, v27, 16, 1
	v_add3_u32 v28, v27, v26, 0x7fff
                                        ; implicit-def: $vgpr27
; %bb.10:
	s_andn2_saveexec_b32 s2, s2
; %bb.11:
	v_mov_b32_e32 v26, 0
	v_or_b32_e32 v28, 0x10000, v27
	v_cmp_eq_u32_sdwa vcc_lo, v27, v26 src0_sel:WORD_0 src1_sel:DWORD
	v_cndmask_b32_e32 v28, v28, v27, vcc_lo
; %bb.12:
	s_or_b32 exec_lo, exec_lo, s2
	v_mul_f32_e32 v26, s4, v19
	global_store_short_d16_hi v[4:5], v28, off offset:32
	v_and_b32_e32 v27, 0x7f800000, v26
	v_cmp_ne_u32_e32 vcc_lo, 0x7f800000, v27
                                        ; implicit-def: $vgpr27
	s_and_saveexec_b32 s2, vcc_lo
	s_xor_b32 s2, exec_lo, s2
; %bb.13:
	v_bfe_u32 v27, v26, 16, 1
	v_add3_u32 v27, v26, v27, 0x7fff
                                        ; implicit-def: $vgpr26
; %bb.14:
	s_andn2_saveexec_b32 s2, s2
; %bb.15:
	v_mov_b32_e32 v27, 0
	v_or_b32_e32 v28, 0x10000, v26
	v_cmp_eq_u32_sdwa vcc_lo, v26, v27 src0_sel:WORD_0 src1_sel:DWORD
	v_cndmask_b32_e32 v27, v28, v26, vcc_lo
; %bb.16:
	s_or_b32 exec_lo, exec_lo, s2
	v_mul_f32_e32 v26, s4, v18
	global_store_short_d16_hi v[4:5], v27, off offset:64
	v_and_b32_e32 v28, 0x7f800000, v26
	v_cmp_ne_u32_e32 vcc_lo, 0x7f800000, v28
                                        ; implicit-def: $vgpr28
	s_and_saveexec_b32 s2, vcc_lo
	s_xor_b32 s2, exec_lo, s2
; %bb.17:
	v_bfe_u32 v27, v26, 16, 1
	v_add3_u32 v28, v26, v27, 0x7fff
                                        ; implicit-def: $vgpr26
; %bb.18:
	s_andn2_saveexec_b32 s2, s2
; %bb.19:
	v_mov_b32_e32 v27, 0
	v_or_b32_e32 v28, 0x10000, v26
	v_cmp_eq_u32_sdwa vcc_lo, v26, v27 src0_sel:WORD_0 src1_sel:DWORD
	v_cndmask_b32_e32 v28, v28, v26, vcc_lo
; %bb.20:
	s_or_b32 exec_lo, exec_lo, s2
	v_mul_f32_e32 v27, s4, v17
	global_store_short_d16_hi v[4:5], v28, off offset:96
	v_and_b32_e32 v26, 0x7f800000, v27
	v_cmp_ne_u32_e32 vcc_lo, 0x7f800000, v26
                                        ; implicit-def: $vgpr26
	s_and_saveexec_b32 s2, vcc_lo
	s_xor_b32 s2, exec_lo, s2
; %bb.21:
	v_bfe_u32 v4, v27, 16, 1
	v_add3_u32 v26, v27, v4, 0x7fff
                                        ; implicit-def: $vgpr27
; %bb.22:
	s_andn2_saveexec_b32 s2, s2
; %bb.23:
	v_mov_b32_e32 v4, 0
	v_or_b32_e32 v5, 0x10000, v27
	v_cmp_eq_u32_sdwa vcc_lo, v27, v4 src0_sel:WORD_0 src1_sel:DWORD
	v_cndmask_b32_e32 v26, v5, v27, vcc_lo
; %bb.24:
	s_or_b32 exec_lo, exec_lo, s2
	v_mul_f32_e32 v27, s4, v16
	s_lshl_b64 s[2:3], s[0:1], 5
	v_add_co_u32 v24, vcc_lo, v24, s2
	v_add_co_ci_u32_e64 v25, null, s3, v25, vcc_lo
	v_and_b32_e32 v28, 0x7f800000, v27
	v_add_co_u32 v4, vcc_lo, v24, v2
	v_add_co_ci_u32_e64 v5, null, v25, v3, vcc_lo
	v_cmp_ne_u32_e32 vcc_lo, 0x7f800000, v28
                                        ; implicit-def: $vgpr28
	global_store_short_d16_hi v[4:5], v26, off
	s_and_saveexec_b32 s2, vcc_lo
	s_xor_b32 s2, exec_lo, s2
; %bb.25:
	v_bfe_u32 v26, v27, 16, 1
	v_add3_u32 v28, v27, v26, 0x7fff
                                        ; implicit-def: $vgpr27
; %bb.26:
	s_andn2_saveexec_b32 s2, s2
; %bb.27:
	v_mov_b32_e32 v26, 0
	v_or_b32_e32 v28, 0x10000, v27
	v_cmp_eq_u32_sdwa vcc_lo, v27, v26 src0_sel:WORD_0 src1_sel:DWORD
	v_cndmask_b32_e32 v28, v28, v27, vcc_lo
; %bb.28:
	s_or_b32 exec_lo, exec_lo, s2
	v_mul_f32_e32 v26, s4, v15
	global_store_short_d16_hi v[4:5], v28, off offset:32
	v_and_b32_e32 v27, 0x7f800000, v26
	v_cmp_ne_u32_e32 vcc_lo, 0x7f800000, v27
                                        ; implicit-def: $vgpr27
	s_and_saveexec_b32 s2, vcc_lo
	s_xor_b32 s2, exec_lo, s2
; %bb.29:
	v_bfe_u32 v27, v26, 16, 1
	v_add3_u32 v27, v26, v27, 0x7fff
                                        ; implicit-def: $vgpr26
; %bb.30:
	s_andn2_saveexec_b32 s2, s2
; %bb.31:
	v_mov_b32_e32 v27, 0
	v_or_b32_e32 v28, 0x10000, v26
	v_cmp_eq_u32_sdwa vcc_lo, v26, v27 src0_sel:WORD_0 src1_sel:DWORD
	v_cndmask_b32_e32 v27, v28, v26, vcc_lo
; %bb.32:
	s_or_b32 exec_lo, exec_lo, s2
	v_mul_f32_e32 v26, s4, v14
	global_store_short_d16_hi v[4:5], v27, off offset:64
	v_and_b32_e32 v28, 0x7f800000, v26
	v_cmp_ne_u32_e32 vcc_lo, 0x7f800000, v28
                                        ; implicit-def: $vgpr28
	s_and_saveexec_b32 s2, vcc_lo
	s_xor_b32 s2, exec_lo, s2
; %bb.33:
	v_bfe_u32 v27, v26, 16, 1
	v_add3_u32 v28, v26, v27, 0x7fff
                                        ; implicit-def: $vgpr26
; %bb.34:
	s_andn2_saveexec_b32 s2, s2
; %bb.35:
	v_mov_b32_e32 v27, 0
	v_or_b32_e32 v28, 0x10000, v26
	v_cmp_eq_u32_sdwa vcc_lo, v26, v27 src0_sel:WORD_0 src1_sel:DWORD
	v_cndmask_b32_e32 v28, v28, v26, vcc_lo
; %bb.36:
	s_or_b32 exec_lo, exec_lo, s2
	v_mul_f32_e32 v27, s4, v13
	global_store_short_d16_hi v[4:5], v28, off offset:96
	v_and_b32_e32 v26, 0x7f800000, v27
	v_cmp_ne_u32_e32 vcc_lo, 0x7f800000, v26
                                        ; implicit-def: $vgpr26
	s_and_saveexec_b32 s2, vcc_lo
	s_xor_b32 s2, exec_lo, s2
; %bb.37:
	v_bfe_u32 v4, v27, 16, 1
	v_add3_u32 v26, v27, v4, 0x7fff
                                        ; implicit-def: $vgpr27
; %bb.38:
	s_or_saveexec_b32 s7, s2
	s_lshl_b64 s[2:3], s[0:1], 4
	s_xor_b32 exec_lo, exec_lo, s7
; %bb.39:
	v_mov_b32_e32 v4, 0
	v_or_b32_e32 v5, 0x10000, v27
	v_cmp_eq_u32_sdwa vcc_lo, v27, v4 src0_sel:WORD_0 src1_sel:DWORD
	v_cndmask_b32_e32 v26, v5, v27, vcc_lo
; %bb.40:
	s_or_b32 exec_lo, exec_lo, s7
	v_mul_f32_e32 v27, s4, v12
	s_lshl_b64 s[2:3], s[2:3], 1
	v_add_co_u32 v24, vcc_lo, v24, s2
	v_add_co_ci_u32_e64 v25, null, s3, v25, vcc_lo
	v_and_b32_e32 v28, 0x7f800000, v27
	v_add_co_u32 v4, vcc_lo, v24, v2
	v_add_co_ci_u32_e64 v5, null, v25, v3, vcc_lo
	v_cmp_ne_u32_e32 vcc_lo, 0x7f800000, v28
                                        ; implicit-def: $vgpr28
	global_store_short_d16_hi v[4:5], v26, off
	s_and_saveexec_b32 s7, vcc_lo
	s_xor_b32 s7, exec_lo, s7
; %bb.41:
	v_bfe_u32 v26, v27, 16, 1
	v_add3_u32 v28, v27, v26, 0x7fff
                                        ; implicit-def: $vgpr27
; %bb.42:
	s_andn2_saveexec_b32 s7, s7
; %bb.43:
	v_mov_b32_e32 v26, 0
	v_or_b32_e32 v28, 0x10000, v27
	v_cmp_eq_u32_sdwa vcc_lo, v27, v26 src0_sel:WORD_0 src1_sel:DWORD
	v_cndmask_b32_e32 v28, v28, v27, vcc_lo
; %bb.44:
	s_or_b32 exec_lo, exec_lo, s7
	v_mul_f32_e32 v26, s4, v11
	global_store_short_d16_hi v[4:5], v28, off offset:32
	v_and_b32_e32 v27, 0x7f800000, v26
	v_cmp_ne_u32_e32 vcc_lo, 0x7f800000, v27
                                        ; implicit-def: $vgpr27
	s_and_saveexec_b32 s7, vcc_lo
	s_xor_b32 s7, exec_lo, s7
; %bb.45:
	v_bfe_u32 v27, v26, 16, 1
	v_add3_u32 v27, v26, v27, 0x7fff
                                        ; implicit-def: $vgpr26
; %bb.46:
	s_andn2_saveexec_b32 s7, s7
; %bb.47:
	v_mov_b32_e32 v27, 0
	v_or_b32_e32 v28, 0x10000, v26
	v_cmp_eq_u32_sdwa vcc_lo, v26, v27 src0_sel:WORD_0 src1_sel:DWORD
	v_cndmask_b32_e32 v27, v28, v26, vcc_lo
; %bb.48:
	s_or_b32 exec_lo, exec_lo, s7
	v_mul_f32_e32 v26, s4, v10
	s_mov_b32 s7, exec_lo
	global_store_short_d16_hi v[4:5], v27, off offset:64
                                        ; implicit-def: $vgpr27
	v_and_b32_e32 v28, 0x7f800000, v26
	v_cmpx_ne_u32_e32 0x7f800000, v28
	s_xor_b32 s7, exec_lo, s7
; %bb.49:
	v_bfe_u32 v27, v26, 16, 1
	v_add3_u32 v27, v26, v27, 0x7fff
                                        ; implicit-def: $vgpr26
; %bb.50:
	s_andn2_saveexec_b32 s7, s7
; %bb.51:
	v_mov_b32_e32 v27, 0
	v_or_b32_e32 v28, 0x10000, v26
	v_cmp_eq_u32_sdwa vcc_lo, v26, v27 src0_sel:WORD_0 src1_sel:DWORD
	v_cndmask_b32_e32 v27, v28, v26, vcc_lo
; %bb.52:
	s_or_b32 exec_lo, exec_lo, s7
	v_mul_f32_e32 v26, s4, v9
	s_mov_b32 s7, exec_lo
	global_store_short_d16_hi v[4:5], v27, off offset:96
                                        ; implicit-def: $vgpr4
	v_and_b32_e32 v28, 0x7f800000, v26
	v_cmpx_ne_u32_e32 0x7f800000, v28
	s_xor_b32 s7, exec_lo, s7
; %bb.53:
	v_bfe_u32 v4, v26, 16, 1
	v_add3_u32 v4, v26, v4, 0x7fff
                                        ; implicit-def: $vgpr26
; %bb.54:
	s_andn2_saveexec_b32 s7, s7
; %bb.55:
	v_mov_b32_e32 v4, 0
	v_or_b32_e32 v5, 0x10000, v26
	v_cmp_eq_u32_sdwa vcc_lo, v26, v4 src0_sel:WORD_0 src1_sel:DWORD
	v_cndmask_b32_e32 v4, v5, v26, vcc_lo
; %bb.56:
	s_or_b32 exec_lo, exec_lo, s7
	v_add_co_u32 v24, vcc_lo, v24, s2
	v_mul_f32_e32 v5, s4, v8
	v_add_co_ci_u32_e64 v25, null, s3, v25, vcc_lo
	v_add_co_u32 v2, vcc_lo, v24, v2
	v_and_b32_e32 v26, 0x7f800000, v5
	v_add_co_ci_u32_e64 v3, null, v25, v3, vcc_lo
	s_mov_b32 s2, exec_lo
                                        ; implicit-def: $vgpr24
	global_store_short_d16_hi v[2:3], v4, off
	v_cmpx_ne_u32_e32 0x7f800000, v26
	s_xor_b32 s2, exec_lo, s2
; %bb.57:
	v_bfe_u32 v4, v5, 16, 1
	v_add3_u32 v24, v5, v4, 0x7fff
                                        ; implicit-def: $vgpr5
; %bb.58:
	s_andn2_saveexec_b32 s2, s2
; %bb.59:
	v_mov_b32_e32 v4, 0
	v_or_b32_e32 v24, 0x10000, v5
	v_cmp_eq_u32_sdwa vcc_lo, v5, v4 src0_sel:WORD_0 src1_sel:DWORD
	v_cndmask_b32_e32 v24, v24, v5, vcc_lo
; %bb.60:
	s_or_b32 exec_lo, exec_lo, s2
	v_mul_f32_e32 v4, s4, v7
	global_store_short_d16_hi v[2:3], v24, off offset:32
	v_and_b32_e32 v5, 0x7f800000, v4
	v_cmp_ne_u32_e32 vcc_lo, 0x7f800000, v5
                                        ; implicit-def: $vgpr5
	s_and_saveexec_b32 s2, vcc_lo
	s_xor_b32 s2, exec_lo, s2
; %bb.61:
	v_bfe_u32 v5, v4, 16, 1
	v_add3_u32 v5, v4, v5, 0x7fff
                                        ; implicit-def: $vgpr4
; %bb.62:
	s_andn2_saveexec_b32 s2, s2
; %bb.63:
	v_mov_b32_e32 v5, 0
	v_or_b32_e32 v24, 0x10000, v4
	v_cmp_eq_u32_sdwa vcc_lo, v4, v5 src0_sel:WORD_0 src1_sel:DWORD
	v_cndmask_b32_e32 v5, v24, v4, vcc_lo
; %bb.64:
	s_or_b32 exec_lo, exec_lo, s2
	v_mul_f32_e32 v4, s4, v6
	s_mov_b32 s2, exec_lo
	global_store_short_d16_hi v[2:3], v5, off offset:64
                                        ; implicit-def: $vgpr5
	v_and_b32_e32 v24, 0x7f800000, v4
	v_cmpx_ne_u32_e32 0x7f800000, v24
	s_xor_b32 s2, exec_lo, s2
; %bb.65:
	v_bfe_u32 v5, v4, 16, 1
	v_add3_u32 v5, v4, v5, 0x7fff
                                        ; implicit-def: $vgpr4
; %bb.66:
	s_andn2_saveexec_b32 s2, s2
; %bb.67:
	v_mov_b32_e32 v5, 0
	v_or_b32_e32 v24, 0x10000, v4
	v_cmp_eq_u32_sdwa vcc_lo, v4, v5 src0_sel:WORD_0 src1_sel:DWORD
	v_cndmask_b32_e32 v5, v24, v4, vcc_lo
; %bb.68:
	s_or_b32 exec_lo, exec_lo, s2
	global_store_short_d16_hi v[2:3], v5, off offset:96
	s_branch .LBB421_197
.LBB421_69:
	v_mul_lo_u32 v4, v23, s14
	v_mul_lo_u32 v5, v22, s15
	v_mad_u64_u32 v[2:3], null, v22, s14, 0
	s_mul_i32 s3, s17, s8
	s_mul_hi_u32 s7, s16, s8
	s_mul_i32 s2, s16, s8
	s_add_i32 s3, s7, s3
	v_lshlrev_b64 v[0:1], 1, v[0:1]
	s_lshl_b64 s[2:3], s[2:3], 1
	v_add3_u32 v3, v3, v5, v4
	s_add_u32 s2, s12, s2
	s_addc_u32 s3, s13, s3
	v_lshlrev_b64 v[2:3], 1, v[2:3]
	v_add_co_u32 v24, vcc_lo, s2, v2
	v_add_co_ci_u32_e64 v25, null, s3, v3, vcc_lo
	v_add_co_u32 v2, vcc_lo, v24, v0
	v_add_co_ci_u32_e64 v3, null, v25, v1, vcc_lo
	global_load_ushort v4, v[2:3], off
	s_waitcnt vmcnt(0)
	v_lshlrev_b32_e32 v4, 16, v4
	v_mul_f32_e32 v4, s9, v4
	v_and_b32_e32 v5, 0x7f800000, v4
	v_cmp_ne_u32_e32 vcc_lo, 0x7f800000, v5
                                        ; implicit-def: $vgpr5
	s_and_saveexec_b32 s2, vcc_lo
	s_xor_b32 s2, exec_lo, s2
; %bb.70:
	v_bfe_u32 v5, v4, 16, 1
	v_add3_u32 v5, v4, v5, 0x7fff
                                        ; implicit-def: $vgpr4
; %bb.71:
	s_andn2_saveexec_b32 s2, s2
; %bb.72:
	v_mov_b32_e32 v5, 0
	v_or_b32_e32 v26, 0x10000, v4
	v_cmp_eq_u32_sdwa vcc_lo, v4, v5 src0_sel:WORD_0 src1_sel:DWORD
	v_cndmask_b32_e32 v5, v26, v4, vcc_lo
; %bb.73:
	s_or_b32 exec_lo, exec_lo, s2
	v_and_b32_e32 v4, 0xffff0000, v5
	s_mov_b32 s2, exec_lo
                                        ; implicit-def: $vgpr26
	v_fmac_f32_e32 v4, s4, v21
	v_and_b32_e32 v5, 0x7f800000, v4
	v_cmpx_ne_u32_e32 0x7f800000, v5
	s_xor_b32 s2, exec_lo, s2
; %bb.74:
	v_bfe_u32 v5, v4, 16, 1
	v_add3_u32 v26, v4, v5, 0x7fff
                                        ; implicit-def: $vgpr4
; %bb.75:
	s_andn2_saveexec_b32 s2, s2
; %bb.76:
	v_mov_b32_e32 v5, 0
	v_or_b32_e32 v21, 0x10000, v4
	v_cmp_eq_u32_sdwa vcc_lo, v4, v5 src0_sel:WORD_0 src1_sel:DWORD
	v_cndmask_b32_e32 v26, v21, v4, vcc_lo
; %bb.77:
	s_or_b32 exec_lo, exec_lo, s2
	v_mul_lo_u32 v21, v23, s0
	v_mul_lo_u32 v23, v22, s1
	v_mad_u64_u32 v[4:5], null, v22, s0, 0
	v_add3_u32 v5, v5, v23, v21
	v_lshlrev_b64 v[4:5], 1, v[4:5]
	v_add_co_u32 v21, vcc_lo, s5, v4
	v_add_co_ci_u32_e64 v22, null, s6, v5, vcc_lo
	v_add_co_u32 v4, vcc_lo, v21, v0
	v_add_co_ci_u32_e64 v5, null, v22, v1, vcc_lo
	global_store_short_d16_hi v[4:5], v26, off
	global_load_ushort v23, v[2:3], off offset:32
	s_waitcnt vmcnt(0)
	v_lshlrev_b32_e32 v23, 16, v23
	v_mul_f32_e32 v23, s9, v23
	v_and_b32_e32 v26, 0x7f800000, v23
	v_cmp_ne_u32_e32 vcc_lo, 0x7f800000, v26
                                        ; implicit-def: $vgpr26
	s_and_saveexec_b32 s2, vcc_lo
	s_xor_b32 s2, exec_lo, s2
; %bb.78:
	v_bfe_u32 v26, v23, 16, 1
	v_add3_u32 v26, v23, v26, 0x7fff
                                        ; implicit-def: $vgpr23
; %bb.79:
	s_andn2_saveexec_b32 s2, s2
; %bb.80:
	v_mov_b32_e32 v26, 0
	v_or_b32_e32 v27, 0x10000, v23
	v_cmp_eq_u32_sdwa vcc_lo, v23, v26 src0_sel:WORD_0 src1_sel:DWORD
	v_cndmask_b32_e32 v26, v27, v23, vcc_lo
; %bb.81:
	s_or_b32 exec_lo, exec_lo, s2
	v_and_b32_e32 v23, 0xffff0000, v26
	v_fmac_f32_e32 v23, s4, v20
	v_and_b32_e32 v20, 0x7f800000, v23
	v_cmp_ne_u32_e32 vcc_lo, 0x7f800000, v20
                                        ; implicit-def: $vgpr20
	s_and_saveexec_b32 s2, vcc_lo
	s_xor_b32 s2, exec_lo, s2
; %bb.82:
	v_bfe_u32 v20, v23, 16, 1
	v_add3_u32 v20, v23, v20, 0x7fff
                                        ; implicit-def: $vgpr23
; %bb.83:
	s_andn2_saveexec_b32 s2, s2
; %bb.84:
	v_mov_b32_e32 v20, 0
	v_or_b32_e32 v26, 0x10000, v23
	v_cmp_eq_u32_sdwa vcc_lo, v23, v20 src0_sel:WORD_0 src1_sel:DWORD
	v_cndmask_b32_e32 v20, v26, v23, vcc_lo
; %bb.85:
	s_or_b32 exec_lo, exec_lo, s2
	global_store_short_d16_hi v[4:5], v20, off offset:32
	global_load_ushort v20, v[2:3], off offset:64
	s_waitcnt vmcnt(0)
	v_lshlrev_b32_e32 v20, 16, v20
	v_mul_f32_e32 v20, s9, v20
	v_and_b32_e32 v23, 0x7f800000, v20
	v_cmp_ne_u32_e32 vcc_lo, 0x7f800000, v23
                                        ; implicit-def: $vgpr23
	s_and_saveexec_b32 s2, vcc_lo
	s_xor_b32 s2, exec_lo, s2
; %bb.86:
	v_bfe_u32 v23, v20, 16, 1
	v_add3_u32 v23, v20, v23, 0x7fff
                                        ; implicit-def: $vgpr20
; %bb.87:
	s_andn2_saveexec_b32 s2, s2
; %bb.88:
	v_mov_b32_e32 v23, 0
	v_or_b32_e32 v26, 0x10000, v20
	v_cmp_eq_u32_sdwa vcc_lo, v20, v23 src0_sel:WORD_0 src1_sel:DWORD
	v_cndmask_b32_e32 v23, v26, v20, vcc_lo
; %bb.89:
	s_or_b32 exec_lo, exec_lo, s2
	v_and_b32_e32 v20, 0xffff0000, v23
	v_fmac_f32_e32 v20, s4, v19
	v_and_b32_e32 v19, 0x7f800000, v20
	v_cmp_ne_u32_e32 vcc_lo, 0x7f800000, v19
                                        ; implicit-def: $vgpr19
	s_and_saveexec_b32 s2, vcc_lo
	s_xor_b32 s2, exec_lo, s2
; %bb.90:
	v_bfe_u32 v19, v20, 16, 1
	v_add3_u32 v19, v20, v19, 0x7fff
                                        ; implicit-def: $vgpr20
; %bb.91:
	s_andn2_saveexec_b32 s2, s2
; %bb.92:
	v_mov_b32_e32 v19, 0
	v_or_b32_e32 v23, 0x10000, v20
	v_cmp_eq_u32_sdwa vcc_lo, v20, v19 src0_sel:WORD_0 src1_sel:DWORD
	v_cndmask_b32_e32 v19, v23, v20, vcc_lo
; %bb.93:
	s_or_b32 exec_lo, exec_lo, s2
	global_store_short_d16_hi v[4:5], v19, off offset:64
	global_load_ushort v2, v[2:3], off offset:96
	s_waitcnt vmcnt(0)
	v_lshlrev_b32_e32 v2, 16, v2
	v_mul_f32_e32 v2, s9, v2
	v_and_b32_e32 v3, 0x7f800000, v2
	v_cmp_ne_u32_e32 vcc_lo, 0x7f800000, v3
                                        ; implicit-def: $vgpr3
	s_and_saveexec_b32 s2, vcc_lo
	s_xor_b32 s2, exec_lo, s2
; %bb.94:
	v_bfe_u32 v3, v2, 16, 1
	v_add3_u32 v3, v2, v3, 0x7fff
                                        ; implicit-def: $vgpr2
; %bb.95:
	s_andn2_saveexec_b32 s2, s2
; %bb.96:
	v_mov_b32_e32 v3, 0
	v_or_b32_e32 v19, 0x10000, v2
	v_cmp_eq_u32_sdwa vcc_lo, v2, v3 src0_sel:WORD_0 src1_sel:DWORD
	v_cndmask_b32_e32 v3, v19, v2, vcc_lo
; %bb.97:
	s_or_b32 exec_lo, exec_lo, s2
	v_and_b32_e32 v2, 0xffff0000, v3
	s_mov_b32 s2, exec_lo
	v_fmac_f32_e32 v2, s4, v18
                                        ; implicit-def: $vgpr18
	v_and_b32_e32 v3, 0x7f800000, v2
	v_cmpx_ne_u32_e32 0x7f800000, v3
	s_xor_b32 s2, exec_lo, s2
; %bb.98:
	v_bfe_u32 v3, v2, 16, 1
	v_add3_u32 v18, v2, v3, 0x7fff
                                        ; implicit-def: $vgpr2
; %bb.99:
	s_andn2_saveexec_b32 s2, s2
; %bb.100:
	v_mov_b32_e32 v3, 0
	v_or_b32_e32 v18, 0x10000, v2
	v_cmp_eq_u32_sdwa vcc_lo, v2, v3 src0_sel:WORD_0 src1_sel:DWORD
	v_cndmask_b32_e32 v18, v18, v2, vcc_lo
; %bb.101:
	s_or_b32 exec_lo, exec_lo, s2
	s_lshl_b64 s[2:3], s[14:15], 5
	global_store_short_d16_hi v[4:5], v18, off offset:96
	v_add_co_u32 v19, vcc_lo, v24, s2
	v_add_co_ci_u32_e64 v20, null, s3, v25, vcc_lo
	v_add_co_u32 v2, vcc_lo, v19, v0
	v_add_co_ci_u32_e64 v3, null, v20, v1, vcc_lo
	global_load_ushort v4, v[2:3], off
	s_waitcnt vmcnt(0)
	v_lshlrev_b32_e32 v4, 16, v4
	v_mul_f32_e32 v4, s9, v4
	v_and_b32_e32 v5, 0x7f800000, v4
	v_cmp_ne_u32_e32 vcc_lo, 0x7f800000, v5
                                        ; implicit-def: $vgpr5
	s_and_saveexec_b32 s2, vcc_lo
	s_xor_b32 s2, exec_lo, s2
; %bb.102:
	v_bfe_u32 v5, v4, 16, 1
	v_add3_u32 v5, v4, v5, 0x7fff
                                        ; implicit-def: $vgpr4
; %bb.103:
	s_andn2_saveexec_b32 s2, s2
; %bb.104:
	v_mov_b32_e32 v5, 0
	v_or_b32_e32 v18, 0x10000, v4
	v_cmp_eq_u32_sdwa vcc_lo, v4, v5 src0_sel:WORD_0 src1_sel:DWORD
	v_cndmask_b32_e32 v5, v18, v4, vcc_lo
; %bb.105:
	s_or_b32 exec_lo, exec_lo, s2
	v_and_b32_e32 v4, 0xffff0000, v5
	s_mov_b32 s2, exec_lo
                                        ; implicit-def: $vgpr23
	v_fmac_f32_e32 v4, s4, v17
	v_and_b32_e32 v5, 0x7f800000, v4
	v_cmpx_ne_u32_e32 0x7f800000, v5
	s_xor_b32 s2, exec_lo, s2
; %bb.106:
	v_bfe_u32 v5, v4, 16, 1
	v_add3_u32 v23, v4, v5, 0x7fff
                                        ; implicit-def: $vgpr4
; %bb.107:
	s_andn2_saveexec_b32 s2, s2
; %bb.108:
	v_mov_b32_e32 v5, 0
	v_or_b32_e32 v17, 0x10000, v4
	v_cmp_eq_u32_sdwa vcc_lo, v4, v5 src0_sel:WORD_0 src1_sel:DWORD
	v_cndmask_b32_e32 v23, v17, v4, vcc_lo
; %bb.109:
	s_or_b32 exec_lo, exec_lo, s2
	s_lshl_b64 s[2:3], s[0:1], 5
	v_add_co_u32 v17, vcc_lo, v21, s2
	v_add_co_ci_u32_e64 v18, null, s3, v22, vcc_lo
	v_add_co_u32 v4, vcc_lo, v17, v0
	v_add_co_ci_u32_e64 v5, null, v18, v1, vcc_lo
	global_store_short_d16_hi v[4:5], v23, off
	global_load_ushort v21, v[2:3], off offset:32
	s_waitcnt vmcnt(0)
	v_lshlrev_b32_e32 v21, 16, v21
	v_mul_f32_e32 v21, s9, v21
	v_and_b32_e32 v22, 0x7f800000, v21
	v_cmp_ne_u32_e32 vcc_lo, 0x7f800000, v22
                                        ; implicit-def: $vgpr22
	s_and_saveexec_b32 s2, vcc_lo
	s_xor_b32 s2, exec_lo, s2
; %bb.110:
	v_bfe_u32 v22, v21, 16, 1
	v_add3_u32 v22, v21, v22, 0x7fff
                                        ; implicit-def: $vgpr21
; %bb.111:
	s_andn2_saveexec_b32 s2, s2
; %bb.112:
	v_mov_b32_e32 v22, 0
	v_or_b32_e32 v23, 0x10000, v21
	v_cmp_eq_u32_sdwa vcc_lo, v21, v22 src0_sel:WORD_0 src1_sel:DWORD
	v_cndmask_b32_e32 v22, v23, v21, vcc_lo
; %bb.113:
	s_or_b32 exec_lo, exec_lo, s2
	v_and_b32_e32 v21, 0xffff0000, v22
	v_fmac_f32_e32 v21, s4, v16
	v_and_b32_e32 v16, 0x7f800000, v21
	v_cmp_ne_u32_e32 vcc_lo, 0x7f800000, v16
                                        ; implicit-def: $vgpr16
	s_and_saveexec_b32 s2, vcc_lo
	s_xor_b32 s2, exec_lo, s2
; %bb.114:
	v_bfe_u32 v16, v21, 16, 1
	v_add3_u32 v16, v21, v16, 0x7fff
                                        ; implicit-def: $vgpr21
; %bb.115:
	s_andn2_saveexec_b32 s2, s2
; %bb.116:
	v_mov_b32_e32 v16, 0
	v_or_b32_e32 v22, 0x10000, v21
	v_cmp_eq_u32_sdwa vcc_lo, v21, v16 src0_sel:WORD_0 src1_sel:DWORD
	v_cndmask_b32_e32 v16, v22, v21, vcc_lo
; %bb.117:
	s_or_b32 exec_lo, exec_lo, s2
	global_store_short_d16_hi v[4:5], v16, off offset:32
	global_load_ushort v16, v[2:3], off offset:64
	s_waitcnt vmcnt(0)
	v_lshlrev_b32_e32 v16, 16, v16
	v_mul_f32_e32 v16, s9, v16
	v_and_b32_e32 v21, 0x7f800000, v16
	v_cmp_ne_u32_e32 vcc_lo, 0x7f800000, v21
                                        ; implicit-def: $vgpr21
	s_and_saveexec_b32 s2, vcc_lo
	s_xor_b32 s2, exec_lo, s2
; %bb.118:
	v_bfe_u32 v21, v16, 16, 1
	v_add3_u32 v21, v16, v21, 0x7fff
                                        ; implicit-def: $vgpr16
; %bb.119:
	s_andn2_saveexec_b32 s2, s2
; %bb.120:
	v_mov_b32_e32 v21, 0
	v_or_b32_e32 v22, 0x10000, v16
	v_cmp_eq_u32_sdwa vcc_lo, v16, v21 src0_sel:WORD_0 src1_sel:DWORD
	v_cndmask_b32_e32 v21, v22, v16, vcc_lo
; %bb.121:
	s_or_b32 exec_lo, exec_lo, s2
	v_and_b32_e32 v16, 0xffff0000, v21
	v_fmac_f32_e32 v16, s4, v15
	v_and_b32_e32 v15, 0x7f800000, v16
	v_cmp_ne_u32_e32 vcc_lo, 0x7f800000, v15
                                        ; implicit-def: $vgpr15
	s_and_saveexec_b32 s2, vcc_lo
	s_xor_b32 s2, exec_lo, s2
; %bb.122:
	v_bfe_u32 v15, v16, 16, 1
	v_add3_u32 v15, v16, v15, 0x7fff
                                        ; implicit-def: $vgpr16
; %bb.123:
	s_andn2_saveexec_b32 s2, s2
; %bb.124:
	v_mov_b32_e32 v15, 0
	v_or_b32_e32 v21, 0x10000, v16
	v_cmp_eq_u32_sdwa vcc_lo, v16, v15 src0_sel:WORD_0 src1_sel:DWORD
	v_cndmask_b32_e32 v15, v21, v16, vcc_lo
; %bb.125:
	s_or_b32 exec_lo, exec_lo, s2
	global_store_short_d16_hi v[4:5], v15, off offset:64
	global_load_ushort v2, v[2:3], off offset:96
	s_waitcnt vmcnt(0)
	v_lshlrev_b32_e32 v2, 16, v2
	v_mul_f32_e32 v2, s9, v2
	v_and_b32_e32 v3, 0x7f800000, v2
	v_cmp_ne_u32_e32 vcc_lo, 0x7f800000, v3
                                        ; implicit-def: $vgpr3
	s_and_saveexec_b32 s2, vcc_lo
	s_xor_b32 s2, exec_lo, s2
; %bb.126:
	v_bfe_u32 v3, v2, 16, 1
	v_add3_u32 v3, v2, v3, 0x7fff
                                        ; implicit-def: $vgpr2
; %bb.127:
	s_andn2_saveexec_b32 s2, s2
; %bb.128:
	v_mov_b32_e32 v3, 0
	v_or_b32_e32 v15, 0x10000, v2
	v_cmp_eq_u32_sdwa vcc_lo, v2, v3 src0_sel:WORD_0 src1_sel:DWORD
	v_cndmask_b32_e32 v3, v15, v2, vcc_lo
; %bb.129:
	s_or_b32 exec_lo, exec_lo, s2
	v_and_b32_e32 v2, 0xffff0000, v3
	s_mov_b32 s2, exec_lo
                                        ; implicit-def: $vgpr16
	v_fmac_f32_e32 v2, s4, v14
	v_and_b32_e32 v3, 0x7f800000, v2
	v_cmpx_ne_u32_e32 0x7f800000, v3
	s_xor_b32 s2, exec_lo, s2
; %bb.130:
	v_bfe_u32 v3, v2, 16, 1
	v_add3_u32 v16, v2, v3, 0x7fff
                                        ; implicit-def: $vgpr2
; %bb.131:
	s_or_saveexec_b32 s5, s2
	s_lshl_b64 s[2:3], s[14:15], 4
	s_xor_b32 exec_lo, exec_lo, s5
; %bb.132:
	v_mov_b32_e32 v3, 0
	v_or_b32_e32 v14, 0x10000, v2
	v_cmp_eq_u32_sdwa vcc_lo, v2, v3 src0_sel:WORD_0 src1_sel:DWORD
	v_cndmask_b32_e32 v16, v14, v2, vcc_lo
; %bb.133:
	s_or_b32 exec_lo, exec_lo, s5
	s_lshl_b64 s[2:3], s[2:3], 1
	global_store_short_d16_hi v[4:5], v16, off offset:96
	v_add_co_u32 v14, vcc_lo, v19, s2
	v_add_co_ci_u32_e64 v15, null, s3, v20, vcc_lo
	v_add_co_u32 v2, vcc_lo, v14, v0
	v_add_co_ci_u32_e64 v3, null, v15, v1, vcc_lo
	global_load_ushort v4, v[2:3], off
	s_waitcnt vmcnt(0)
	v_lshlrev_b32_e32 v4, 16, v4
	v_mul_f32_e32 v4, s9, v4
	v_and_b32_e32 v5, 0x7f800000, v4
	v_cmp_ne_u32_e32 vcc_lo, 0x7f800000, v5
                                        ; implicit-def: $vgpr5
	s_and_saveexec_b32 s5, vcc_lo
	s_xor_b32 s5, exec_lo, s5
; %bb.134:
	v_bfe_u32 v5, v4, 16, 1
	v_add3_u32 v5, v4, v5, 0x7fff
                                        ; implicit-def: $vgpr4
; %bb.135:
	s_andn2_saveexec_b32 s5, s5
; %bb.136:
	v_mov_b32_e32 v5, 0
	v_or_b32_e32 v16, 0x10000, v4
	v_cmp_eq_u32_sdwa vcc_lo, v4, v5 src0_sel:WORD_0 src1_sel:DWORD
	v_cndmask_b32_e32 v5, v16, v4, vcc_lo
; %bb.137:
	s_or_b32 exec_lo, exec_lo, s5
	v_and_b32_e32 v4, 0xffff0000, v5
	s_mov_b32 s5, exec_lo
                                        ; implicit-def: $vgpr19
	v_fmac_f32_e32 v4, s4, v13
	v_and_b32_e32 v5, 0x7f800000, v4
	v_cmpx_ne_u32_e32 0x7f800000, v5
	s_xor_b32 s5, exec_lo, s5
; %bb.138:
	v_bfe_u32 v5, v4, 16, 1
	v_add3_u32 v19, v4, v5, 0x7fff
                                        ; implicit-def: $vgpr4
; %bb.139:
	s_or_saveexec_b32 s5, s5
	s_lshl_b64 s[0:1], s[0:1], 4
	s_xor_b32 exec_lo, exec_lo, s5
; %bb.140:
	v_mov_b32_e32 v5, 0
	v_or_b32_e32 v13, 0x10000, v4
	v_cmp_eq_u32_sdwa vcc_lo, v4, v5 src0_sel:WORD_0 src1_sel:DWORD
	v_cndmask_b32_e32 v19, v13, v4, vcc_lo
; %bb.141:
	s_or_b32 exec_lo, exec_lo, s5
	s_lshl_b64 s[0:1], s[0:1], 1
	v_add_co_u32 v13, vcc_lo, v17, s0
	v_add_co_ci_u32_e64 v16, null, s1, v18, vcc_lo
	v_add_co_u32 v4, vcc_lo, v13, v0
	v_add_co_ci_u32_e64 v5, null, v16, v1, vcc_lo
	global_store_short_d16_hi v[4:5], v19, off
	global_load_ushort v17, v[2:3], off offset:32
	s_waitcnt vmcnt(0)
	v_lshlrev_b32_e32 v17, 16, v17
	v_mul_f32_e32 v17, s9, v17
	v_and_b32_e32 v18, 0x7f800000, v17
	v_cmp_ne_u32_e32 vcc_lo, 0x7f800000, v18
                                        ; implicit-def: $vgpr18
	s_and_saveexec_b32 s5, vcc_lo
	s_xor_b32 s5, exec_lo, s5
; %bb.142:
	v_bfe_u32 v18, v17, 16, 1
	v_add3_u32 v18, v17, v18, 0x7fff
                                        ; implicit-def: $vgpr17
; %bb.143:
	s_andn2_saveexec_b32 s5, s5
; %bb.144:
	v_mov_b32_e32 v18, 0
	v_or_b32_e32 v19, 0x10000, v17
	v_cmp_eq_u32_sdwa vcc_lo, v17, v18 src0_sel:WORD_0 src1_sel:DWORD
	v_cndmask_b32_e32 v18, v19, v17, vcc_lo
; %bb.145:
	s_or_b32 exec_lo, exec_lo, s5
	v_and_b32_e32 v17, 0xffff0000, v18
	v_fmac_f32_e32 v17, s4, v12
	v_and_b32_e32 v12, 0x7f800000, v17
	v_cmp_ne_u32_e32 vcc_lo, 0x7f800000, v12
                                        ; implicit-def: $vgpr12
	s_and_saveexec_b32 s5, vcc_lo
	s_xor_b32 s5, exec_lo, s5
; %bb.146:
	v_bfe_u32 v12, v17, 16, 1
	v_add3_u32 v12, v17, v12, 0x7fff
                                        ; implicit-def: $vgpr17
; %bb.147:
	s_andn2_saveexec_b32 s5, s5
; %bb.148:
	v_mov_b32_e32 v12, 0
	v_or_b32_e32 v18, 0x10000, v17
	v_cmp_eq_u32_sdwa vcc_lo, v17, v12 src0_sel:WORD_0 src1_sel:DWORD
	v_cndmask_b32_e32 v12, v18, v17, vcc_lo
; %bb.149:
	s_or_b32 exec_lo, exec_lo, s5
	global_store_short_d16_hi v[4:5], v12, off offset:32
	global_load_ushort v12, v[2:3], off offset:64
	s_waitcnt vmcnt(0)
	v_lshlrev_b32_e32 v12, 16, v12
	v_mul_f32_e32 v12, s9, v12
	v_and_b32_e32 v17, 0x7f800000, v12
	v_cmp_ne_u32_e32 vcc_lo, 0x7f800000, v17
                                        ; implicit-def: $vgpr17
	s_and_saveexec_b32 s5, vcc_lo
	s_xor_b32 s5, exec_lo, s5
; %bb.150:
	v_bfe_u32 v17, v12, 16, 1
	v_add3_u32 v17, v12, v17, 0x7fff
                                        ; implicit-def: $vgpr12
; %bb.151:
	s_andn2_saveexec_b32 s5, s5
; %bb.152:
	v_mov_b32_e32 v17, 0
	v_or_b32_e32 v18, 0x10000, v12
	v_cmp_eq_u32_sdwa vcc_lo, v12, v17 src0_sel:WORD_0 src1_sel:DWORD
	v_cndmask_b32_e32 v17, v18, v12, vcc_lo
; %bb.153:
	s_or_b32 exec_lo, exec_lo, s5
	v_and_b32_e32 v12, 0xffff0000, v17
	v_fmac_f32_e32 v12, s4, v11
	v_and_b32_e32 v11, 0x7f800000, v12
	v_cmp_ne_u32_e32 vcc_lo, 0x7f800000, v11
                                        ; implicit-def: $vgpr11
	s_and_saveexec_b32 s5, vcc_lo
	s_xor_b32 s5, exec_lo, s5
; %bb.154:
	v_bfe_u32 v11, v12, 16, 1
	v_add3_u32 v11, v12, v11, 0x7fff
                                        ; implicit-def: $vgpr12
; %bb.155:
	s_andn2_saveexec_b32 s5, s5
; %bb.156:
	v_mov_b32_e32 v11, 0
	v_or_b32_e32 v17, 0x10000, v12
	v_cmp_eq_u32_sdwa vcc_lo, v12, v11 src0_sel:WORD_0 src1_sel:DWORD
	v_cndmask_b32_e32 v11, v17, v12, vcc_lo
; %bb.157:
	s_or_b32 exec_lo, exec_lo, s5
	global_store_short_d16_hi v[4:5], v11, off offset:64
	global_load_ushort v2, v[2:3], off offset:96
	s_waitcnt vmcnt(0)
	v_lshlrev_b32_e32 v2, 16, v2
	v_mul_f32_e32 v2, s9, v2
	v_and_b32_e32 v3, 0x7f800000, v2
	v_cmp_ne_u32_e32 vcc_lo, 0x7f800000, v3
                                        ; implicit-def: $vgpr3
	s_and_saveexec_b32 s5, vcc_lo
	s_xor_b32 s5, exec_lo, s5
; %bb.158:
	v_bfe_u32 v3, v2, 16, 1
	v_add3_u32 v3, v2, v3, 0x7fff
                                        ; implicit-def: $vgpr2
; %bb.159:
	s_andn2_saveexec_b32 s5, s5
; %bb.160:
	v_mov_b32_e32 v3, 0
	v_or_b32_e32 v11, 0x10000, v2
	v_cmp_eq_u32_sdwa vcc_lo, v2, v3 src0_sel:WORD_0 src1_sel:DWORD
	v_cndmask_b32_e32 v3, v11, v2, vcc_lo
; %bb.161:
	s_or_b32 exec_lo, exec_lo, s5
	v_and_b32_e32 v2, 0xffff0000, v3
	s_mov_b32 s5, exec_lo
	v_fmac_f32_e32 v2, s4, v10
                                        ; implicit-def: $vgpr10
	v_and_b32_e32 v3, 0x7f800000, v2
	v_cmpx_ne_u32_e32 0x7f800000, v3
	s_xor_b32 s5, exec_lo, s5
; %bb.162:
	v_bfe_u32 v3, v2, 16, 1
	v_add3_u32 v10, v2, v3, 0x7fff
                                        ; implicit-def: $vgpr2
; %bb.163:
	s_andn2_saveexec_b32 s5, s5
; %bb.164:
	v_mov_b32_e32 v3, 0
	v_or_b32_e32 v10, 0x10000, v2
	v_cmp_eq_u32_sdwa vcc_lo, v2, v3 src0_sel:WORD_0 src1_sel:DWORD
	v_cndmask_b32_e32 v10, v10, v2, vcc_lo
; %bb.165:
	s_or_b32 exec_lo, exec_lo, s5
	v_add_co_u32 v2, vcc_lo, v14, s2
	v_add_co_ci_u32_e64 v3, null, s3, v15, vcc_lo
	global_store_short_d16_hi v[4:5], v10, off offset:96
	v_add_co_u32 v2, vcc_lo, v2, v0
	v_add_co_ci_u32_e64 v3, null, v3, v1, vcc_lo
	global_load_ushort v4, v[2:3], off
	s_waitcnt vmcnt(0)
	v_lshlrev_b32_e32 v4, 16, v4
	v_mul_f32_e32 v4, s9, v4
	v_and_b32_e32 v5, 0x7f800000, v4
	v_cmp_ne_u32_e32 vcc_lo, 0x7f800000, v5
                                        ; implicit-def: $vgpr5
	s_and_saveexec_b32 s2, vcc_lo
	s_xor_b32 s2, exec_lo, s2
; %bb.166:
	v_bfe_u32 v5, v4, 16, 1
	v_add3_u32 v5, v4, v5, 0x7fff
                                        ; implicit-def: $vgpr4
; %bb.167:
	s_andn2_saveexec_b32 s2, s2
; %bb.168:
	v_mov_b32_e32 v5, 0
	v_or_b32_e32 v10, 0x10000, v4
	v_cmp_eq_u32_sdwa vcc_lo, v4, v5 src0_sel:WORD_0 src1_sel:DWORD
	v_cndmask_b32_e32 v5, v10, v4, vcc_lo
; %bb.169:
	s_or_b32 exec_lo, exec_lo, s2
	v_and_b32_e32 v5, 0xffff0000, v5
	v_fmac_f32_e32 v5, s4, v9
	v_and_b32_e32 v4, 0x7f800000, v5
	v_cmp_ne_u32_e32 vcc_lo, 0x7f800000, v4
                                        ; implicit-def: $vgpr4
	s_and_saveexec_b32 s2, vcc_lo
	s_xor_b32 s2, exec_lo, s2
; %bb.170:
	v_bfe_u32 v4, v5, 16, 1
	v_add3_u32 v4, v5, v4, 0x7fff
                                        ; implicit-def: $vgpr5
; %bb.171:
	s_andn2_saveexec_b32 s2, s2
; %bb.172:
	v_mov_b32_e32 v4, 0
	v_or_b32_e32 v9, 0x10000, v5
	v_cmp_eq_u32_sdwa vcc_lo, v5, v4 src0_sel:WORD_0 src1_sel:DWORD
	v_cndmask_b32_e32 v4, v9, v5, vcc_lo
; %bb.173:
	s_or_b32 exec_lo, exec_lo, s2
	v_add_co_u32 v5, vcc_lo, v13, s0
	v_add_co_ci_u32_e64 v9, null, s1, v16, vcc_lo
	v_add_co_u32 v0, vcc_lo, v5, v0
	v_add_co_ci_u32_e64 v1, null, v9, v1, vcc_lo
	global_store_short_d16_hi v[0:1], v4, off
	global_load_ushort v4, v[2:3], off offset:32
	s_waitcnt vmcnt(0)
	v_lshlrev_b32_e32 v4, 16, v4
	v_mul_f32_e32 v4, s9, v4
	v_and_b32_e32 v5, 0x7f800000, v4
	v_cmp_ne_u32_e32 vcc_lo, 0x7f800000, v5
                                        ; implicit-def: $vgpr5
	s_and_saveexec_b32 s0, vcc_lo
	s_xor_b32 s0, exec_lo, s0
; %bb.174:
	v_bfe_u32 v5, v4, 16, 1
	v_add3_u32 v5, v4, v5, 0x7fff
                                        ; implicit-def: $vgpr4
; %bb.175:
	s_andn2_saveexec_b32 s0, s0
; %bb.176:
	v_mov_b32_e32 v5, 0
	v_or_b32_e32 v9, 0x10000, v4
	v_cmp_eq_u32_sdwa vcc_lo, v4, v5 src0_sel:WORD_0 src1_sel:DWORD
	v_cndmask_b32_e32 v5, v9, v4, vcc_lo
; %bb.177:
	s_or_b32 exec_lo, exec_lo, s0
	v_and_b32_e32 v4, 0xffff0000, v5
	v_fmac_f32_e32 v4, s4, v8
	v_and_b32_e32 v5, 0x7f800000, v4
	v_cmp_ne_u32_e32 vcc_lo, 0x7f800000, v5
                                        ; implicit-def: $vgpr5
	s_and_saveexec_b32 s0, vcc_lo
	s_xor_b32 s0, exec_lo, s0
; %bb.178:
	v_bfe_u32 v5, v4, 16, 1
	v_add3_u32 v5, v4, v5, 0x7fff
                                        ; implicit-def: $vgpr4
; %bb.179:
	s_andn2_saveexec_b32 s0, s0
; %bb.180:
	v_mov_b32_e32 v5, 0
	v_or_b32_e32 v8, 0x10000, v4
	v_cmp_eq_u32_sdwa vcc_lo, v4, v5 src0_sel:WORD_0 src1_sel:DWORD
	v_cndmask_b32_e32 v5, v8, v4, vcc_lo
; %bb.181:
	s_or_b32 exec_lo, exec_lo, s0
	global_store_short_d16_hi v[0:1], v5, off offset:32
	global_load_ushort v4, v[2:3], off offset:64
	s_waitcnt vmcnt(0)
	v_lshlrev_b32_e32 v4, 16, v4
	v_mul_f32_e32 v4, s9, v4
	v_and_b32_e32 v5, 0x7f800000, v4
	v_cmp_ne_u32_e32 vcc_lo, 0x7f800000, v5
                                        ; implicit-def: $vgpr5
	s_and_saveexec_b32 s0, vcc_lo
	s_xor_b32 s0, exec_lo, s0
; %bb.182:
	v_bfe_u32 v5, v4, 16, 1
	v_add3_u32 v5, v4, v5, 0x7fff
                                        ; implicit-def: $vgpr4
; %bb.183:
	s_andn2_saveexec_b32 s0, s0
; %bb.184:
	v_mov_b32_e32 v5, 0
	v_or_b32_e32 v8, 0x10000, v4
	v_cmp_eq_u32_sdwa vcc_lo, v4, v5 src0_sel:WORD_0 src1_sel:DWORD
	v_cndmask_b32_e32 v5, v8, v4, vcc_lo
; %bb.185:
	s_or_b32 exec_lo, exec_lo, s0
	v_and_b32_e32 v4, 0xffff0000, v5
	v_fmac_f32_e32 v4, s4, v7
	v_and_b32_e32 v5, 0x7f800000, v4
	v_cmp_ne_u32_e32 vcc_lo, 0x7f800000, v5
                                        ; implicit-def: $vgpr5
	s_and_saveexec_b32 s0, vcc_lo
	s_xor_b32 s0, exec_lo, s0
; %bb.186:
	v_bfe_u32 v5, v4, 16, 1
	v_add3_u32 v5, v4, v5, 0x7fff
                                        ; implicit-def: $vgpr4
; %bb.187:
	s_andn2_saveexec_b32 s0, s0
; %bb.188:
	v_mov_b32_e32 v5, 0
	v_or_b32_e32 v7, 0x10000, v4
	v_cmp_eq_u32_sdwa vcc_lo, v4, v5 src0_sel:WORD_0 src1_sel:DWORD
	v_cndmask_b32_e32 v5, v7, v4, vcc_lo
; %bb.189:
	s_or_b32 exec_lo, exec_lo, s0
	global_store_short_d16_hi v[0:1], v5, off offset:64
	global_load_ushort v2, v[2:3], off offset:96
	s_waitcnt vmcnt(0)
	v_lshlrev_b32_e32 v2, 16, v2
	v_mul_f32_e32 v2, s9, v2
	v_and_b32_e32 v3, 0x7f800000, v2
	v_cmp_ne_u32_e32 vcc_lo, 0x7f800000, v3
                                        ; implicit-def: $vgpr3
	s_and_saveexec_b32 s0, vcc_lo
	s_xor_b32 s0, exec_lo, s0
; %bb.190:
	v_bfe_u32 v3, v2, 16, 1
	v_add3_u32 v3, v2, v3, 0x7fff
                                        ; implicit-def: $vgpr2
; %bb.191:
	s_andn2_saveexec_b32 s0, s0
; %bb.192:
	v_mov_b32_e32 v3, 0
	v_or_b32_e32 v4, 0x10000, v2
	v_cmp_eq_u32_sdwa vcc_lo, v2, v3 src0_sel:WORD_0 src1_sel:DWORD
	v_cndmask_b32_e32 v3, v4, v2, vcc_lo
; %bb.193:
	s_or_b32 exec_lo, exec_lo, s0
	v_and_b32_e32 v2, 0xffff0000, v3
	v_fmac_f32_e32 v2, s4, v6
	v_and_b32_e32 v3, 0x7f800000, v2
	v_cmp_ne_u32_e32 vcc_lo, 0x7f800000, v3
                                        ; implicit-def: $vgpr3
	s_and_saveexec_b32 s0, vcc_lo
	s_xor_b32 s0, exec_lo, s0
	s_cbranch_execnz .LBB421_198
; %bb.194:
	s_andn2_saveexec_b32 s0, s0
	s_cbranch_execnz .LBB421_199
.LBB421_195:
	s_or_b32 exec_lo, exec_lo, s0
	global_store_short_d16_hi v[0:1], v3, off offset:96
	s_endpgm
.LBB421_196:
	s_cbranch_execnz .LBB421_69
.LBB421_197:
	s_endpgm
.LBB421_198:
	v_bfe_u32 v3, v2, 16, 1
	v_add3_u32 v3, v2, v3, 0x7fff
                                        ; implicit-def: $vgpr2
	s_andn2_saveexec_b32 s0, s0
	s_cbranch_execz .LBB421_195
.LBB421_199:
	v_mov_b32_e32 v3, 0
	v_or_b32_e32 v4, 0x10000, v2
	v_cmp_eq_u32_sdwa vcc_lo, v2, v3 src0_sel:WORD_0 src1_sel:DWORD
	v_cndmask_b32_e32 v3, v4, v2, vcc_lo
	s_or_b32 exec_lo, exec_lo, s0
	global_store_short_d16_hi v[0:1], v3, off offset:96
	s_endpgm
	.section	.rodata,"a",@progbits
	.p2align	6, 0x0
	.amdhsa_kernel _ZN12_GLOBAL__N_127rocblas_gemm_batched_kernelIfLi16ELi16ELi64ELi64ELi4ELi64ELi4ELi4ELi64ELc84ELc84EK16rocblas_bfloat16S2_S1_EEvlllT_PT11_llS5_llS3_PT12_llPT13_lli
		.amdhsa_group_segment_fixed_size 2048
		.amdhsa_private_segment_fixed_size 0
		.amdhsa_kernarg_size 140
		.amdhsa_user_sgpr_count 6
		.amdhsa_user_sgpr_private_segment_buffer 1
		.amdhsa_user_sgpr_dispatch_ptr 0
		.amdhsa_user_sgpr_queue_ptr 0
		.amdhsa_user_sgpr_kernarg_segment_ptr 1
		.amdhsa_user_sgpr_dispatch_id 0
		.amdhsa_user_sgpr_flat_scratch_init 0
		.amdhsa_user_sgpr_private_segment_size 0
		.amdhsa_wavefront_size32 1
		.amdhsa_uses_dynamic_stack 0
		.amdhsa_system_sgpr_private_segment_wavefront_offset 0
		.amdhsa_system_sgpr_workgroup_id_x 1
		.amdhsa_system_sgpr_workgroup_id_y 1
		.amdhsa_system_sgpr_workgroup_id_z 1
		.amdhsa_system_sgpr_workgroup_info 0
		.amdhsa_system_vgpr_workitem_id 1
		.amdhsa_next_free_vgpr 58
		.amdhsa_next_free_sgpr 22
		.amdhsa_reserve_vcc 1
		.amdhsa_reserve_flat_scratch 0
		.amdhsa_float_round_mode_32 0
		.amdhsa_float_round_mode_16_64 0
		.amdhsa_float_denorm_mode_32 3
		.amdhsa_float_denorm_mode_16_64 3
		.amdhsa_dx10_clamp 1
		.amdhsa_ieee_mode 1
		.amdhsa_fp16_overflow 0
		.amdhsa_workgroup_processor_mode 1
		.amdhsa_memory_ordered 1
		.amdhsa_forward_progress 1
		.amdhsa_shared_vgpr_count 0
		.amdhsa_exception_fp_ieee_invalid_op 0
		.amdhsa_exception_fp_denorm_src 0
		.amdhsa_exception_fp_ieee_div_zero 0
		.amdhsa_exception_fp_ieee_overflow 0
		.amdhsa_exception_fp_ieee_underflow 0
		.amdhsa_exception_fp_ieee_inexact 0
		.amdhsa_exception_int_div_zero 0
	.end_amdhsa_kernel
	.section	.text._ZN12_GLOBAL__N_127rocblas_gemm_batched_kernelIfLi16ELi16ELi64ELi64ELi4ELi64ELi4ELi4ELi64ELc84ELc84EK16rocblas_bfloat16S2_S1_EEvlllT_PT11_llS5_llS3_PT12_llPT13_lli,"axG",@progbits,_ZN12_GLOBAL__N_127rocblas_gemm_batched_kernelIfLi16ELi16ELi64ELi64ELi4ELi64ELi4ELi4ELi64ELc84ELc84EK16rocblas_bfloat16S2_S1_EEvlllT_PT11_llS5_llS3_PT12_llPT13_lli,comdat
.Lfunc_end421:
	.size	_ZN12_GLOBAL__N_127rocblas_gemm_batched_kernelIfLi16ELi16ELi64ELi64ELi4ELi64ELi4ELi4ELi64ELc84ELc84EK16rocblas_bfloat16S2_S1_EEvlllT_PT11_llS5_llS3_PT12_llPT13_lli, .Lfunc_end421-_ZN12_GLOBAL__N_127rocblas_gemm_batched_kernelIfLi16ELi16ELi64ELi64ELi4ELi64ELi4ELi4ELi64ELc84ELc84EK16rocblas_bfloat16S2_S1_EEvlllT_PT11_llS5_llS3_PT12_llPT13_lli
                                        ; -- End function
	.set _ZN12_GLOBAL__N_127rocblas_gemm_batched_kernelIfLi16ELi16ELi64ELi64ELi4ELi64ELi4ELi4ELi64ELc84ELc84EK16rocblas_bfloat16S2_S1_EEvlllT_PT11_llS5_llS3_PT12_llPT13_lli.num_vgpr, 58
	.set _ZN12_GLOBAL__N_127rocblas_gemm_batched_kernelIfLi16ELi16ELi64ELi64ELi4ELi64ELi4ELi4ELi64ELc84ELc84EK16rocblas_bfloat16S2_S1_EEvlllT_PT11_llS5_llS3_PT12_llPT13_lli.num_agpr, 0
	.set _ZN12_GLOBAL__N_127rocblas_gemm_batched_kernelIfLi16ELi16ELi64ELi64ELi4ELi64ELi4ELi4ELi64ELc84ELc84EK16rocblas_bfloat16S2_S1_EEvlllT_PT11_llS5_llS3_PT12_llPT13_lli.numbered_sgpr, 22
	.set _ZN12_GLOBAL__N_127rocblas_gemm_batched_kernelIfLi16ELi16ELi64ELi64ELi4ELi64ELi4ELi4ELi64ELc84ELc84EK16rocblas_bfloat16S2_S1_EEvlllT_PT11_llS5_llS3_PT12_llPT13_lli.num_named_barrier, 0
	.set _ZN12_GLOBAL__N_127rocblas_gemm_batched_kernelIfLi16ELi16ELi64ELi64ELi4ELi64ELi4ELi4ELi64ELc84ELc84EK16rocblas_bfloat16S2_S1_EEvlllT_PT11_llS5_llS3_PT12_llPT13_lli.private_seg_size, 0
	.set _ZN12_GLOBAL__N_127rocblas_gemm_batched_kernelIfLi16ELi16ELi64ELi64ELi4ELi64ELi4ELi4ELi64ELc84ELc84EK16rocblas_bfloat16S2_S1_EEvlllT_PT11_llS5_llS3_PT12_llPT13_lli.uses_vcc, 1
	.set _ZN12_GLOBAL__N_127rocblas_gemm_batched_kernelIfLi16ELi16ELi64ELi64ELi4ELi64ELi4ELi4ELi64ELc84ELc84EK16rocblas_bfloat16S2_S1_EEvlllT_PT11_llS5_llS3_PT12_llPT13_lli.uses_flat_scratch, 0
	.set _ZN12_GLOBAL__N_127rocblas_gemm_batched_kernelIfLi16ELi16ELi64ELi64ELi4ELi64ELi4ELi4ELi64ELc84ELc84EK16rocblas_bfloat16S2_S1_EEvlllT_PT11_llS5_llS3_PT12_llPT13_lli.has_dyn_sized_stack, 0
	.set _ZN12_GLOBAL__N_127rocblas_gemm_batched_kernelIfLi16ELi16ELi64ELi64ELi4ELi64ELi4ELi4ELi64ELc84ELc84EK16rocblas_bfloat16S2_S1_EEvlllT_PT11_llS5_llS3_PT12_llPT13_lli.has_recursion, 0
	.set _ZN12_GLOBAL__N_127rocblas_gemm_batched_kernelIfLi16ELi16ELi64ELi64ELi4ELi64ELi4ELi4ELi64ELc84ELc84EK16rocblas_bfloat16S2_S1_EEvlllT_PT11_llS5_llS3_PT12_llPT13_lli.has_indirect_call, 0
	.section	.AMDGPU.csdata,"",@progbits
; Kernel info:
; codeLenInByte = 6220
; TotalNumSgprs: 24
; NumVgprs: 58
; ScratchSize: 0
; MemoryBound: 0
; FloatMode: 240
; IeeeMode: 1
; LDSByteSize: 2048 bytes/workgroup (compile time only)
; SGPRBlocks: 0
; VGPRBlocks: 7
; NumSGPRsForWavesPerEU: 24
; NumVGPRsForWavesPerEU: 58
; Occupancy: 16
; WaveLimiterHint : 0
; COMPUTE_PGM_RSRC2:SCRATCH_EN: 0
; COMPUTE_PGM_RSRC2:USER_SGPR: 6
; COMPUTE_PGM_RSRC2:TRAP_HANDLER: 0
; COMPUTE_PGM_RSRC2:TGID_X_EN: 1
; COMPUTE_PGM_RSRC2:TGID_Y_EN: 1
; COMPUTE_PGM_RSRC2:TGID_Z_EN: 1
; COMPUTE_PGM_RSRC2:TIDIG_COMP_CNT: 1
	.section	.text._ZN12_GLOBAL__N_127rocblas_gemm_batched_kernelIfLi16ELi16ELi64ELi64ELi4ELi64ELi4ELi4ELi64ELc67ELc67EK16rocblas_bfloat16S2_S1_EEvlllT_PT11_llS5_llS3_PT12_llPT13_lli,"axG",@progbits,_ZN12_GLOBAL__N_127rocblas_gemm_batched_kernelIfLi16ELi16ELi64ELi64ELi4ELi64ELi4ELi4ELi64ELc67ELc67EK16rocblas_bfloat16S2_S1_EEvlllT_PT11_llS5_llS3_PT12_llPT13_lli,comdat
	.globl	_ZN12_GLOBAL__N_127rocblas_gemm_batched_kernelIfLi16ELi16ELi64ELi64ELi4ELi64ELi4ELi4ELi64ELc67ELc67EK16rocblas_bfloat16S2_S1_EEvlllT_PT11_llS5_llS3_PT12_llPT13_lli ; -- Begin function _ZN12_GLOBAL__N_127rocblas_gemm_batched_kernelIfLi16ELi16ELi64ELi64ELi4ELi64ELi4ELi4ELi64ELc67ELc67EK16rocblas_bfloat16S2_S1_EEvlllT_PT11_llS5_llS3_PT12_llPT13_lli
	.p2align	8
	.type	_ZN12_GLOBAL__N_127rocblas_gemm_batched_kernelIfLi16ELi16ELi64ELi64ELi4ELi64ELi4ELi4ELi64ELc67ELc67EK16rocblas_bfloat16S2_S1_EEvlllT_PT11_llS5_llS3_PT12_llPT13_lli,@function
_ZN12_GLOBAL__N_127rocblas_gemm_batched_kernelIfLi16ELi16ELi64ELi64ELi4ELi64ELi4ELi4ELi64ELc67ELc67EK16rocblas_bfloat16S2_S1_EEvlllT_PT11_llS5_llS3_PT12_llPT13_lli: ; @_ZN12_GLOBAL__N_127rocblas_gemm_batched_kernelIfLi16ELi16ELi64ELi64ELi4ELi64ELi4ELi4ELi64ELc67ELc67EK16rocblas_bfloat16S2_S1_EEvlllT_PT11_llS5_llS3_PT12_llPT13_lli
; %bb.0:
	s_load_dwordx2 s[20:21], s[4:5], 0x10
	s_mov_b32 s0, s7
	v_mov_b32_e32 v21, 0
	v_mov_b32_e32 v20, 0
	;; [unrolled: 1-line block ×16, first 2 shown]
	s_ashr_i32 s7, s6, 31
	s_ashr_i32 s1, s0, 31
	s_waitcnt lgkmcnt(0)
	v_cmp_lt_i64_e64 s2, s[20:21], 1
	s_lshl_b64 s[6:7], s[6:7], 6
	s_lshl_b64 s[10:11], s[0:1], 6
	s_and_b32 vcc_lo, exec_lo, s2
	s_cbranch_vccnz .LBB422_3
; %bb.1:
	v_lshlrev_b32_e32 v7, 4, v1
	s_clause 0x1
	s_load_dwordx4 s[0:3], s[4:5], 0x40
	s_load_dwordx8 s[12:19], s[4:5], 0x20
	v_and_b32_e32 v8, 3, v0
	v_mov_b32_e32 v6, 0
	v_lshlrev_b32_e32 v22, 2, v0
	v_add_nc_u32_e32 v2, v7, v0
	v_add_nc_u32_e32 v23, 0x400, v7
	v_lshlrev_b32_e32 v5, 2, v8
	v_mov_b32_e32 v15, 0
	v_mov_b32_e32 v16, 0
	v_lshrrev_b32_e32 v4, 2, v2
	v_and_b32_e32 v9, 63, v2
	v_lshrrev_b32_e32 v10, 6, v2
	v_mov_b32_e32 v17, 0
	v_mov_b32_e32 v18, 0
	v_add_co_u32 v2, s9, v4, s10
	v_add_co_ci_u32_e64 v3, null, 0, s11, s9
	v_add_co_u32 v11, s9, s6, v9
	v_add_co_ci_u32_e64 v12, null, s7, 0, s9
	v_lshl_or_b32 v13, v4, 4, v5
	s_waitcnt lgkmcnt(0)
	v_mul_lo_u32 v14, s15, v11
	v_mad_u64_u32 v[4:5], null, s14, v11, 0
	v_mul_lo_u32 v12, s14, v12
	v_mad_u64_u32 v[2:3], null, s0, v8, v[2:3]
	s_mul_i32 s9, s17, s8
	s_mul_hi_u32 s15, s16, s8
	s_mul_i32 s14, s16, s8
	s_add_i32 s15, s15, s9
	v_lshlrev_b32_e32 v11, 1, v10
	v_add3_u32 v5, v5, v12, v14
	v_mad_u64_u32 v[7:8], null, s1, v8, v[3:4]
	s_lshl_b64 s[14:15], s[14:15], 1
	s_mul_i32 s3, s3, s8
	v_lshlrev_b64 v[4:5], 1, v[4:5]
	s_mul_hi_u32 s9, s2, s8
	s_mul_i32 s2, s2, s8
	s_add_i32 s3, s9, s3
	v_mov_b32_e32 v3, v7
	s_lshl_b64 s[2:3], s[2:3], 1
	v_add_co_u32 v4, vcc_lo, v4, s14
	v_add_co_ci_u32_e64 v5, null, s15, v5, vcc_lo
	v_lshlrev_b32_e32 v9, 2, v9
	v_add_co_u32 v7, vcc_lo, v4, v11
	v_add_co_ci_u32_e64 v8, null, 0, v5, vcc_lo
	v_lshlrev_b64 v[4:5], 1, v[2:3]
	v_add_co_u32 v2, vcc_lo, s12, v7
	s_add_u32 s2, s18, s2
	v_add_co_ci_u32_e64 v3, null, s13, v8, vcc_lo
	s_addc_u32 s3, s19, s3
	v_add_co_u32 v4, vcc_lo, s2, v4
	v_lshl_or_b32 v24, v10, 8, v9
	v_add_nc_u32_e32 v25, 0x400, v13
	v_add_co_ci_u32_e64 v5, null, s3, v5, vcc_lo
	v_mov_b32_e32 v7, 0
	v_mov_b32_e32 v8, 0
	;; [unrolled: 1-line block ×11, first 2 shown]
	s_lshl_b64 s[0:1], s[0:1], 3
	s_mov_b64 s[2:3], 0
.LBB422_2:                              ; =>This Inner Loop Header: Depth=1
	global_load_ushort v26, v[2:3], off
	global_load_ushort v27, v[4:5], off
	s_add_u32 s2, s2, 4
	s_addc_u32 s3, s3, 0
	v_add_co_u32 v2, vcc_lo, v2, 8
	v_cmp_lt_i64_e64 s9, s[2:3], s[20:21]
	v_add_co_ci_u32_e64 v3, null, 0, v3, vcc_lo
	v_add_co_u32 v4, vcc_lo, v4, s0
	v_add_co_ci_u32_e64 v5, null, s1, v5, vcc_lo
	s_and_b32 vcc_lo, exec_lo, s9
	s_waitcnt vmcnt(1)
	v_lshlrev_b32_e32 v26, 16, v26
	s_waitcnt vmcnt(0)
	v_lshlrev_b32_e32 v27, 16, v27
	ds_write_b32 v24, v26
	ds_write_b32 v25, v27
	s_waitcnt lgkmcnt(0)
	s_barrier
	buffer_gl0_inv
	ds_read_b128 v[26:29], v23
	ds_read2_b32 v[42:43], v22 offset1:16
	ds_read2_b32 v[44:45], v22 offset0:32 offset1:48
	ds_read_b128 v[30:33], v23 offset:256
	ds_read_b128 v[34:37], v23 offset:512
	;; [unrolled: 1-line block ×3, first 2 shown]
	ds_read2_b32 v[46:47], v22 offset0:64 offset1:80
	ds_read2_b32 v[48:49], v22 offset0:96 offset1:112
	;; [unrolled: 1-line block ×6, first 2 shown]
	s_waitcnt lgkmcnt(0)
	s_barrier
	buffer_gl0_inv
	v_fmac_f32_e32 v21, v42, v26
	v_fmac_f32_e32 v20, v43, v26
	;; [unrolled: 1-line block ×64, first 2 shown]
	s_cbranch_vccnz .LBB422_2
.LBB422_3:
	s_clause 0x3
	s_load_dwordx4 s[0:3], s[4:5], 0x78
	s_load_dword s9, s[4:5], 0x50
	s_load_dwordx8 s[12:19], s[4:5], 0x58
	s_load_dword s4, s[4:5], 0x18
	v_add_co_u32 v22, s5, s10, v1
	v_add_co_ci_u32_e64 v23, null, s11, 0, s5
	s_waitcnt lgkmcnt(0)
	s_mul_i32 s3, s3, s8
	s_mul_hi_u32 s5, s2, s8
	s_mul_i32 s2, s2, s8
	s_add_i32 s3, s5, s3
	v_cmp_neq_f32_e64 s10, s9, 0
	v_add_co_u32 v0, s5, s6, v0
	s_lshl_b64 s[2:3], s[2:3], 1
	v_add_co_ci_u32_e64 v1, null, s7, 0, s5
	s_add_u32 s5, s18, s2
	s_addc_u32 s6, s19, s3
	s_and_b32 vcc_lo, exec_lo, s10
	s_cbranch_vccnz .LBB422_196
; %bb.4:
	v_mul_f32_e32 v2, s4, v21
	s_mov_b32 s2, exec_lo
                                        ; implicit-def: $vgpr26
	v_and_b32_e32 v3, 0x7f800000, v2
	v_cmpx_ne_u32_e32 0x7f800000, v3
	s_xor_b32 s2, exec_lo, s2
; %bb.5:
	v_bfe_u32 v3, v2, 16, 1
	v_add3_u32 v26, v2, v3, 0x7fff
                                        ; implicit-def: $vgpr2
; %bb.6:
	s_andn2_saveexec_b32 s2, s2
; %bb.7:
	v_mov_b32_e32 v3, 0
	v_or_b32_e32 v4, 0x10000, v2
	v_cmp_eq_u32_sdwa vcc_lo, v2, v3 src0_sel:WORD_0 src1_sel:DWORD
	v_cndmask_b32_e32 v26, v4, v2, vcc_lo
; %bb.8:
	s_or_b32 exec_lo, exec_lo, s2
	v_mul_lo_u32 v4, v23, s0
	v_mul_lo_u32 v5, v22, s1
	v_mad_u64_u32 v[2:3], null, v22, s0, 0
	v_mul_f32_e32 v27, s4, v20
	v_and_b32_e32 v28, 0x7f800000, v27
	v_add3_u32 v3, v3, v5, v4
	v_lshlrev_b64 v[4:5], 1, v[2:3]
	v_lshlrev_b64 v[2:3], 1, v[0:1]
	v_add_co_u32 v24, vcc_lo, s5, v4
	v_add_co_ci_u32_e64 v25, null, s6, v5, vcc_lo
	v_add_co_u32 v4, vcc_lo, v24, v2
	v_add_co_ci_u32_e64 v5, null, v25, v3, vcc_lo
	v_cmp_ne_u32_e32 vcc_lo, 0x7f800000, v28
                                        ; implicit-def: $vgpr28
	global_store_short_d16_hi v[4:5], v26, off
	s_and_saveexec_b32 s2, vcc_lo
	s_xor_b32 s2, exec_lo, s2
; %bb.9:
	v_bfe_u32 v26, v27, 16, 1
	v_add3_u32 v28, v27, v26, 0x7fff
                                        ; implicit-def: $vgpr27
; %bb.10:
	s_andn2_saveexec_b32 s2, s2
; %bb.11:
	v_mov_b32_e32 v26, 0
	v_or_b32_e32 v28, 0x10000, v27
	v_cmp_eq_u32_sdwa vcc_lo, v27, v26 src0_sel:WORD_0 src1_sel:DWORD
	v_cndmask_b32_e32 v28, v28, v27, vcc_lo
; %bb.12:
	s_or_b32 exec_lo, exec_lo, s2
	v_mul_f32_e32 v26, s4, v19
	global_store_short_d16_hi v[4:5], v28, off offset:32
	v_and_b32_e32 v27, 0x7f800000, v26
	v_cmp_ne_u32_e32 vcc_lo, 0x7f800000, v27
                                        ; implicit-def: $vgpr27
	s_and_saveexec_b32 s2, vcc_lo
	s_xor_b32 s2, exec_lo, s2
; %bb.13:
	v_bfe_u32 v27, v26, 16, 1
	v_add3_u32 v27, v26, v27, 0x7fff
                                        ; implicit-def: $vgpr26
; %bb.14:
	s_andn2_saveexec_b32 s2, s2
; %bb.15:
	v_mov_b32_e32 v27, 0
	v_or_b32_e32 v28, 0x10000, v26
	v_cmp_eq_u32_sdwa vcc_lo, v26, v27 src0_sel:WORD_0 src1_sel:DWORD
	v_cndmask_b32_e32 v27, v28, v26, vcc_lo
; %bb.16:
	s_or_b32 exec_lo, exec_lo, s2
	v_mul_f32_e32 v26, s4, v18
	global_store_short_d16_hi v[4:5], v27, off offset:64
	v_and_b32_e32 v28, 0x7f800000, v26
	v_cmp_ne_u32_e32 vcc_lo, 0x7f800000, v28
                                        ; implicit-def: $vgpr28
	s_and_saveexec_b32 s2, vcc_lo
	s_xor_b32 s2, exec_lo, s2
; %bb.17:
	v_bfe_u32 v27, v26, 16, 1
	v_add3_u32 v28, v26, v27, 0x7fff
                                        ; implicit-def: $vgpr26
; %bb.18:
	s_andn2_saveexec_b32 s2, s2
; %bb.19:
	v_mov_b32_e32 v27, 0
	v_or_b32_e32 v28, 0x10000, v26
	v_cmp_eq_u32_sdwa vcc_lo, v26, v27 src0_sel:WORD_0 src1_sel:DWORD
	v_cndmask_b32_e32 v28, v28, v26, vcc_lo
; %bb.20:
	s_or_b32 exec_lo, exec_lo, s2
	v_mul_f32_e32 v27, s4, v17
	global_store_short_d16_hi v[4:5], v28, off offset:96
	v_and_b32_e32 v26, 0x7f800000, v27
	v_cmp_ne_u32_e32 vcc_lo, 0x7f800000, v26
                                        ; implicit-def: $vgpr26
	s_and_saveexec_b32 s2, vcc_lo
	s_xor_b32 s2, exec_lo, s2
; %bb.21:
	v_bfe_u32 v4, v27, 16, 1
	v_add3_u32 v26, v27, v4, 0x7fff
                                        ; implicit-def: $vgpr27
; %bb.22:
	s_andn2_saveexec_b32 s2, s2
; %bb.23:
	v_mov_b32_e32 v4, 0
	v_or_b32_e32 v5, 0x10000, v27
	v_cmp_eq_u32_sdwa vcc_lo, v27, v4 src0_sel:WORD_0 src1_sel:DWORD
	v_cndmask_b32_e32 v26, v5, v27, vcc_lo
; %bb.24:
	s_or_b32 exec_lo, exec_lo, s2
	v_mul_f32_e32 v27, s4, v16
	s_lshl_b64 s[2:3], s[0:1], 5
	v_add_co_u32 v24, vcc_lo, v24, s2
	v_add_co_ci_u32_e64 v25, null, s3, v25, vcc_lo
	v_and_b32_e32 v28, 0x7f800000, v27
	v_add_co_u32 v4, vcc_lo, v24, v2
	v_add_co_ci_u32_e64 v5, null, v25, v3, vcc_lo
	v_cmp_ne_u32_e32 vcc_lo, 0x7f800000, v28
                                        ; implicit-def: $vgpr28
	global_store_short_d16_hi v[4:5], v26, off
	s_and_saveexec_b32 s2, vcc_lo
	s_xor_b32 s2, exec_lo, s2
; %bb.25:
	v_bfe_u32 v26, v27, 16, 1
	v_add3_u32 v28, v27, v26, 0x7fff
                                        ; implicit-def: $vgpr27
; %bb.26:
	s_andn2_saveexec_b32 s2, s2
; %bb.27:
	v_mov_b32_e32 v26, 0
	v_or_b32_e32 v28, 0x10000, v27
	v_cmp_eq_u32_sdwa vcc_lo, v27, v26 src0_sel:WORD_0 src1_sel:DWORD
	v_cndmask_b32_e32 v28, v28, v27, vcc_lo
; %bb.28:
	s_or_b32 exec_lo, exec_lo, s2
	v_mul_f32_e32 v26, s4, v15
	global_store_short_d16_hi v[4:5], v28, off offset:32
	v_and_b32_e32 v27, 0x7f800000, v26
	v_cmp_ne_u32_e32 vcc_lo, 0x7f800000, v27
                                        ; implicit-def: $vgpr27
	s_and_saveexec_b32 s2, vcc_lo
	s_xor_b32 s2, exec_lo, s2
; %bb.29:
	v_bfe_u32 v27, v26, 16, 1
	v_add3_u32 v27, v26, v27, 0x7fff
                                        ; implicit-def: $vgpr26
; %bb.30:
	s_andn2_saveexec_b32 s2, s2
; %bb.31:
	v_mov_b32_e32 v27, 0
	v_or_b32_e32 v28, 0x10000, v26
	v_cmp_eq_u32_sdwa vcc_lo, v26, v27 src0_sel:WORD_0 src1_sel:DWORD
	v_cndmask_b32_e32 v27, v28, v26, vcc_lo
; %bb.32:
	s_or_b32 exec_lo, exec_lo, s2
	v_mul_f32_e32 v26, s4, v14
	global_store_short_d16_hi v[4:5], v27, off offset:64
	v_and_b32_e32 v28, 0x7f800000, v26
	v_cmp_ne_u32_e32 vcc_lo, 0x7f800000, v28
                                        ; implicit-def: $vgpr28
	s_and_saveexec_b32 s2, vcc_lo
	s_xor_b32 s2, exec_lo, s2
; %bb.33:
	v_bfe_u32 v27, v26, 16, 1
	v_add3_u32 v28, v26, v27, 0x7fff
                                        ; implicit-def: $vgpr26
; %bb.34:
	s_andn2_saveexec_b32 s2, s2
; %bb.35:
	v_mov_b32_e32 v27, 0
	v_or_b32_e32 v28, 0x10000, v26
	v_cmp_eq_u32_sdwa vcc_lo, v26, v27 src0_sel:WORD_0 src1_sel:DWORD
	v_cndmask_b32_e32 v28, v28, v26, vcc_lo
; %bb.36:
	s_or_b32 exec_lo, exec_lo, s2
	v_mul_f32_e32 v27, s4, v13
	global_store_short_d16_hi v[4:5], v28, off offset:96
	v_and_b32_e32 v26, 0x7f800000, v27
	v_cmp_ne_u32_e32 vcc_lo, 0x7f800000, v26
                                        ; implicit-def: $vgpr26
	s_and_saveexec_b32 s2, vcc_lo
	s_xor_b32 s2, exec_lo, s2
; %bb.37:
	v_bfe_u32 v4, v27, 16, 1
	v_add3_u32 v26, v27, v4, 0x7fff
                                        ; implicit-def: $vgpr27
; %bb.38:
	s_or_saveexec_b32 s7, s2
	s_lshl_b64 s[2:3], s[0:1], 4
	s_xor_b32 exec_lo, exec_lo, s7
; %bb.39:
	v_mov_b32_e32 v4, 0
	v_or_b32_e32 v5, 0x10000, v27
	v_cmp_eq_u32_sdwa vcc_lo, v27, v4 src0_sel:WORD_0 src1_sel:DWORD
	v_cndmask_b32_e32 v26, v5, v27, vcc_lo
; %bb.40:
	s_or_b32 exec_lo, exec_lo, s7
	v_mul_f32_e32 v27, s4, v12
	s_lshl_b64 s[2:3], s[2:3], 1
	v_add_co_u32 v24, vcc_lo, v24, s2
	v_add_co_ci_u32_e64 v25, null, s3, v25, vcc_lo
	v_and_b32_e32 v28, 0x7f800000, v27
	v_add_co_u32 v4, vcc_lo, v24, v2
	v_add_co_ci_u32_e64 v5, null, v25, v3, vcc_lo
	v_cmp_ne_u32_e32 vcc_lo, 0x7f800000, v28
                                        ; implicit-def: $vgpr28
	global_store_short_d16_hi v[4:5], v26, off
	s_and_saveexec_b32 s7, vcc_lo
	s_xor_b32 s7, exec_lo, s7
; %bb.41:
	v_bfe_u32 v26, v27, 16, 1
	v_add3_u32 v28, v27, v26, 0x7fff
                                        ; implicit-def: $vgpr27
; %bb.42:
	s_andn2_saveexec_b32 s7, s7
; %bb.43:
	v_mov_b32_e32 v26, 0
	v_or_b32_e32 v28, 0x10000, v27
	v_cmp_eq_u32_sdwa vcc_lo, v27, v26 src0_sel:WORD_0 src1_sel:DWORD
	v_cndmask_b32_e32 v28, v28, v27, vcc_lo
; %bb.44:
	s_or_b32 exec_lo, exec_lo, s7
	v_mul_f32_e32 v26, s4, v11
	global_store_short_d16_hi v[4:5], v28, off offset:32
	v_and_b32_e32 v27, 0x7f800000, v26
	v_cmp_ne_u32_e32 vcc_lo, 0x7f800000, v27
                                        ; implicit-def: $vgpr27
	s_and_saveexec_b32 s7, vcc_lo
	s_xor_b32 s7, exec_lo, s7
; %bb.45:
	v_bfe_u32 v27, v26, 16, 1
	v_add3_u32 v27, v26, v27, 0x7fff
                                        ; implicit-def: $vgpr26
; %bb.46:
	s_andn2_saveexec_b32 s7, s7
; %bb.47:
	v_mov_b32_e32 v27, 0
	v_or_b32_e32 v28, 0x10000, v26
	v_cmp_eq_u32_sdwa vcc_lo, v26, v27 src0_sel:WORD_0 src1_sel:DWORD
	v_cndmask_b32_e32 v27, v28, v26, vcc_lo
; %bb.48:
	s_or_b32 exec_lo, exec_lo, s7
	v_mul_f32_e32 v26, s4, v10
	s_mov_b32 s7, exec_lo
	global_store_short_d16_hi v[4:5], v27, off offset:64
                                        ; implicit-def: $vgpr27
	v_and_b32_e32 v28, 0x7f800000, v26
	v_cmpx_ne_u32_e32 0x7f800000, v28
	s_xor_b32 s7, exec_lo, s7
; %bb.49:
	v_bfe_u32 v27, v26, 16, 1
	v_add3_u32 v27, v26, v27, 0x7fff
                                        ; implicit-def: $vgpr26
; %bb.50:
	s_andn2_saveexec_b32 s7, s7
; %bb.51:
	v_mov_b32_e32 v27, 0
	v_or_b32_e32 v28, 0x10000, v26
	v_cmp_eq_u32_sdwa vcc_lo, v26, v27 src0_sel:WORD_0 src1_sel:DWORD
	v_cndmask_b32_e32 v27, v28, v26, vcc_lo
; %bb.52:
	s_or_b32 exec_lo, exec_lo, s7
	v_mul_f32_e32 v26, s4, v9
	s_mov_b32 s7, exec_lo
	global_store_short_d16_hi v[4:5], v27, off offset:96
                                        ; implicit-def: $vgpr4
	v_and_b32_e32 v28, 0x7f800000, v26
	v_cmpx_ne_u32_e32 0x7f800000, v28
	s_xor_b32 s7, exec_lo, s7
; %bb.53:
	v_bfe_u32 v4, v26, 16, 1
	v_add3_u32 v4, v26, v4, 0x7fff
                                        ; implicit-def: $vgpr26
; %bb.54:
	s_andn2_saveexec_b32 s7, s7
; %bb.55:
	v_mov_b32_e32 v4, 0
	v_or_b32_e32 v5, 0x10000, v26
	v_cmp_eq_u32_sdwa vcc_lo, v26, v4 src0_sel:WORD_0 src1_sel:DWORD
	v_cndmask_b32_e32 v4, v5, v26, vcc_lo
; %bb.56:
	s_or_b32 exec_lo, exec_lo, s7
	v_add_co_u32 v24, vcc_lo, v24, s2
	v_mul_f32_e32 v5, s4, v8
	v_add_co_ci_u32_e64 v25, null, s3, v25, vcc_lo
	v_add_co_u32 v2, vcc_lo, v24, v2
	v_and_b32_e32 v26, 0x7f800000, v5
	v_add_co_ci_u32_e64 v3, null, v25, v3, vcc_lo
	s_mov_b32 s2, exec_lo
                                        ; implicit-def: $vgpr24
	global_store_short_d16_hi v[2:3], v4, off
	v_cmpx_ne_u32_e32 0x7f800000, v26
	s_xor_b32 s2, exec_lo, s2
; %bb.57:
	v_bfe_u32 v4, v5, 16, 1
	v_add3_u32 v24, v5, v4, 0x7fff
                                        ; implicit-def: $vgpr5
; %bb.58:
	s_andn2_saveexec_b32 s2, s2
; %bb.59:
	v_mov_b32_e32 v4, 0
	v_or_b32_e32 v24, 0x10000, v5
	v_cmp_eq_u32_sdwa vcc_lo, v5, v4 src0_sel:WORD_0 src1_sel:DWORD
	v_cndmask_b32_e32 v24, v24, v5, vcc_lo
; %bb.60:
	s_or_b32 exec_lo, exec_lo, s2
	v_mul_f32_e32 v4, s4, v7
	global_store_short_d16_hi v[2:3], v24, off offset:32
	v_and_b32_e32 v5, 0x7f800000, v4
	v_cmp_ne_u32_e32 vcc_lo, 0x7f800000, v5
                                        ; implicit-def: $vgpr5
	s_and_saveexec_b32 s2, vcc_lo
	s_xor_b32 s2, exec_lo, s2
; %bb.61:
	v_bfe_u32 v5, v4, 16, 1
	v_add3_u32 v5, v4, v5, 0x7fff
                                        ; implicit-def: $vgpr4
; %bb.62:
	s_andn2_saveexec_b32 s2, s2
; %bb.63:
	v_mov_b32_e32 v5, 0
	v_or_b32_e32 v24, 0x10000, v4
	v_cmp_eq_u32_sdwa vcc_lo, v4, v5 src0_sel:WORD_0 src1_sel:DWORD
	v_cndmask_b32_e32 v5, v24, v4, vcc_lo
; %bb.64:
	s_or_b32 exec_lo, exec_lo, s2
	v_mul_f32_e32 v4, s4, v6
	s_mov_b32 s2, exec_lo
	global_store_short_d16_hi v[2:3], v5, off offset:64
                                        ; implicit-def: $vgpr5
	v_and_b32_e32 v24, 0x7f800000, v4
	v_cmpx_ne_u32_e32 0x7f800000, v24
	s_xor_b32 s2, exec_lo, s2
; %bb.65:
	v_bfe_u32 v5, v4, 16, 1
	v_add3_u32 v5, v4, v5, 0x7fff
                                        ; implicit-def: $vgpr4
; %bb.66:
	s_andn2_saveexec_b32 s2, s2
; %bb.67:
	v_mov_b32_e32 v5, 0
	v_or_b32_e32 v24, 0x10000, v4
	v_cmp_eq_u32_sdwa vcc_lo, v4, v5 src0_sel:WORD_0 src1_sel:DWORD
	v_cndmask_b32_e32 v5, v24, v4, vcc_lo
; %bb.68:
	s_or_b32 exec_lo, exec_lo, s2
	global_store_short_d16_hi v[2:3], v5, off offset:96
	s_branch .LBB422_197
.LBB422_69:
	v_mul_lo_u32 v4, v23, s14
	v_mul_lo_u32 v5, v22, s15
	v_mad_u64_u32 v[2:3], null, v22, s14, 0
	s_mul_i32 s3, s17, s8
	s_mul_hi_u32 s7, s16, s8
	s_mul_i32 s2, s16, s8
	s_add_i32 s3, s7, s3
	v_lshlrev_b64 v[0:1], 1, v[0:1]
	s_lshl_b64 s[2:3], s[2:3], 1
	v_add3_u32 v3, v3, v5, v4
	s_add_u32 s2, s12, s2
	s_addc_u32 s3, s13, s3
	v_lshlrev_b64 v[2:3], 1, v[2:3]
	v_add_co_u32 v24, vcc_lo, s2, v2
	v_add_co_ci_u32_e64 v25, null, s3, v3, vcc_lo
	v_add_co_u32 v2, vcc_lo, v24, v0
	v_add_co_ci_u32_e64 v3, null, v25, v1, vcc_lo
	global_load_ushort v4, v[2:3], off
	s_waitcnt vmcnt(0)
	v_lshlrev_b32_e32 v4, 16, v4
	v_mul_f32_e32 v4, s9, v4
	v_and_b32_e32 v5, 0x7f800000, v4
	v_cmp_ne_u32_e32 vcc_lo, 0x7f800000, v5
                                        ; implicit-def: $vgpr5
	s_and_saveexec_b32 s2, vcc_lo
	s_xor_b32 s2, exec_lo, s2
; %bb.70:
	v_bfe_u32 v5, v4, 16, 1
	v_add3_u32 v5, v4, v5, 0x7fff
                                        ; implicit-def: $vgpr4
; %bb.71:
	s_andn2_saveexec_b32 s2, s2
; %bb.72:
	v_mov_b32_e32 v5, 0
	v_or_b32_e32 v26, 0x10000, v4
	v_cmp_eq_u32_sdwa vcc_lo, v4, v5 src0_sel:WORD_0 src1_sel:DWORD
	v_cndmask_b32_e32 v5, v26, v4, vcc_lo
; %bb.73:
	s_or_b32 exec_lo, exec_lo, s2
	v_and_b32_e32 v4, 0xffff0000, v5
	s_mov_b32 s2, exec_lo
                                        ; implicit-def: $vgpr26
	v_fmac_f32_e32 v4, s4, v21
	v_and_b32_e32 v5, 0x7f800000, v4
	v_cmpx_ne_u32_e32 0x7f800000, v5
	s_xor_b32 s2, exec_lo, s2
; %bb.74:
	v_bfe_u32 v5, v4, 16, 1
	v_add3_u32 v26, v4, v5, 0x7fff
                                        ; implicit-def: $vgpr4
; %bb.75:
	s_andn2_saveexec_b32 s2, s2
; %bb.76:
	v_mov_b32_e32 v5, 0
	v_or_b32_e32 v21, 0x10000, v4
	v_cmp_eq_u32_sdwa vcc_lo, v4, v5 src0_sel:WORD_0 src1_sel:DWORD
	v_cndmask_b32_e32 v26, v21, v4, vcc_lo
; %bb.77:
	s_or_b32 exec_lo, exec_lo, s2
	v_mul_lo_u32 v21, v23, s0
	v_mul_lo_u32 v23, v22, s1
	v_mad_u64_u32 v[4:5], null, v22, s0, 0
	v_add3_u32 v5, v5, v23, v21
	v_lshlrev_b64 v[4:5], 1, v[4:5]
	v_add_co_u32 v21, vcc_lo, s5, v4
	v_add_co_ci_u32_e64 v22, null, s6, v5, vcc_lo
	v_add_co_u32 v4, vcc_lo, v21, v0
	v_add_co_ci_u32_e64 v5, null, v22, v1, vcc_lo
	global_store_short_d16_hi v[4:5], v26, off
	global_load_ushort v23, v[2:3], off offset:32
	s_waitcnt vmcnt(0)
	v_lshlrev_b32_e32 v23, 16, v23
	v_mul_f32_e32 v23, s9, v23
	v_and_b32_e32 v26, 0x7f800000, v23
	v_cmp_ne_u32_e32 vcc_lo, 0x7f800000, v26
                                        ; implicit-def: $vgpr26
	s_and_saveexec_b32 s2, vcc_lo
	s_xor_b32 s2, exec_lo, s2
; %bb.78:
	v_bfe_u32 v26, v23, 16, 1
	v_add3_u32 v26, v23, v26, 0x7fff
                                        ; implicit-def: $vgpr23
; %bb.79:
	s_andn2_saveexec_b32 s2, s2
; %bb.80:
	v_mov_b32_e32 v26, 0
	v_or_b32_e32 v27, 0x10000, v23
	v_cmp_eq_u32_sdwa vcc_lo, v23, v26 src0_sel:WORD_0 src1_sel:DWORD
	v_cndmask_b32_e32 v26, v27, v23, vcc_lo
; %bb.81:
	s_or_b32 exec_lo, exec_lo, s2
	v_and_b32_e32 v23, 0xffff0000, v26
	v_fmac_f32_e32 v23, s4, v20
	v_and_b32_e32 v20, 0x7f800000, v23
	v_cmp_ne_u32_e32 vcc_lo, 0x7f800000, v20
                                        ; implicit-def: $vgpr20
	s_and_saveexec_b32 s2, vcc_lo
	s_xor_b32 s2, exec_lo, s2
; %bb.82:
	v_bfe_u32 v20, v23, 16, 1
	v_add3_u32 v20, v23, v20, 0x7fff
                                        ; implicit-def: $vgpr23
; %bb.83:
	s_andn2_saveexec_b32 s2, s2
; %bb.84:
	v_mov_b32_e32 v20, 0
	v_or_b32_e32 v26, 0x10000, v23
	v_cmp_eq_u32_sdwa vcc_lo, v23, v20 src0_sel:WORD_0 src1_sel:DWORD
	v_cndmask_b32_e32 v20, v26, v23, vcc_lo
; %bb.85:
	s_or_b32 exec_lo, exec_lo, s2
	global_store_short_d16_hi v[4:5], v20, off offset:32
	global_load_ushort v20, v[2:3], off offset:64
	s_waitcnt vmcnt(0)
	v_lshlrev_b32_e32 v20, 16, v20
	v_mul_f32_e32 v20, s9, v20
	v_and_b32_e32 v23, 0x7f800000, v20
	v_cmp_ne_u32_e32 vcc_lo, 0x7f800000, v23
                                        ; implicit-def: $vgpr23
	s_and_saveexec_b32 s2, vcc_lo
	s_xor_b32 s2, exec_lo, s2
; %bb.86:
	v_bfe_u32 v23, v20, 16, 1
	v_add3_u32 v23, v20, v23, 0x7fff
                                        ; implicit-def: $vgpr20
; %bb.87:
	s_andn2_saveexec_b32 s2, s2
; %bb.88:
	v_mov_b32_e32 v23, 0
	v_or_b32_e32 v26, 0x10000, v20
	v_cmp_eq_u32_sdwa vcc_lo, v20, v23 src0_sel:WORD_0 src1_sel:DWORD
	v_cndmask_b32_e32 v23, v26, v20, vcc_lo
; %bb.89:
	s_or_b32 exec_lo, exec_lo, s2
	v_and_b32_e32 v20, 0xffff0000, v23
	v_fmac_f32_e32 v20, s4, v19
	v_and_b32_e32 v19, 0x7f800000, v20
	v_cmp_ne_u32_e32 vcc_lo, 0x7f800000, v19
                                        ; implicit-def: $vgpr19
	s_and_saveexec_b32 s2, vcc_lo
	s_xor_b32 s2, exec_lo, s2
; %bb.90:
	v_bfe_u32 v19, v20, 16, 1
	v_add3_u32 v19, v20, v19, 0x7fff
                                        ; implicit-def: $vgpr20
; %bb.91:
	s_andn2_saveexec_b32 s2, s2
; %bb.92:
	v_mov_b32_e32 v19, 0
	v_or_b32_e32 v23, 0x10000, v20
	v_cmp_eq_u32_sdwa vcc_lo, v20, v19 src0_sel:WORD_0 src1_sel:DWORD
	v_cndmask_b32_e32 v19, v23, v20, vcc_lo
; %bb.93:
	s_or_b32 exec_lo, exec_lo, s2
	global_store_short_d16_hi v[4:5], v19, off offset:64
	global_load_ushort v2, v[2:3], off offset:96
	s_waitcnt vmcnt(0)
	v_lshlrev_b32_e32 v2, 16, v2
	v_mul_f32_e32 v2, s9, v2
	v_and_b32_e32 v3, 0x7f800000, v2
	v_cmp_ne_u32_e32 vcc_lo, 0x7f800000, v3
                                        ; implicit-def: $vgpr3
	s_and_saveexec_b32 s2, vcc_lo
	s_xor_b32 s2, exec_lo, s2
; %bb.94:
	v_bfe_u32 v3, v2, 16, 1
	v_add3_u32 v3, v2, v3, 0x7fff
                                        ; implicit-def: $vgpr2
; %bb.95:
	s_andn2_saveexec_b32 s2, s2
; %bb.96:
	v_mov_b32_e32 v3, 0
	v_or_b32_e32 v19, 0x10000, v2
	v_cmp_eq_u32_sdwa vcc_lo, v2, v3 src0_sel:WORD_0 src1_sel:DWORD
	v_cndmask_b32_e32 v3, v19, v2, vcc_lo
; %bb.97:
	s_or_b32 exec_lo, exec_lo, s2
	v_and_b32_e32 v2, 0xffff0000, v3
	s_mov_b32 s2, exec_lo
	v_fmac_f32_e32 v2, s4, v18
                                        ; implicit-def: $vgpr18
	v_and_b32_e32 v3, 0x7f800000, v2
	v_cmpx_ne_u32_e32 0x7f800000, v3
	s_xor_b32 s2, exec_lo, s2
; %bb.98:
	v_bfe_u32 v3, v2, 16, 1
	v_add3_u32 v18, v2, v3, 0x7fff
                                        ; implicit-def: $vgpr2
; %bb.99:
	s_andn2_saveexec_b32 s2, s2
; %bb.100:
	v_mov_b32_e32 v3, 0
	v_or_b32_e32 v18, 0x10000, v2
	v_cmp_eq_u32_sdwa vcc_lo, v2, v3 src0_sel:WORD_0 src1_sel:DWORD
	v_cndmask_b32_e32 v18, v18, v2, vcc_lo
; %bb.101:
	s_or_b32 exec_lo, exec_lo, s2
	s_lshl_b64 s[2:3], s[14:15], 5
	global_store_short_d16_hi v[4:5], v18, off offset:96
	v_add_co_u32 v19, vcc_lo, v24, s2
	v_add_co_ci_u32_e64 v20, null, s3, v25, vcc_lo
	v_add_co_u32 v2, vcc_lo, v19, v0
	v_add_co_ci_u32_e64 v3, null, v20, v1, vcc_lo
	global_load_ushort v4, v[2:3], off
	s_waitcnt vmcnt(0)
	v_lshlrev_b32_e32 v4, 16, v4
	v_mul_f32_e32 v4, s9, v4
	v_and_b32_e32 v5, 0x7f800000, v4
	v_cmp_ne_u32_e32 vcc_lo, 0x7f800000, v5
                                        ; implicit-def: $vgpr5
	s_and_saveexec_b32 s2, vcc_lo
	s_xor_b32 s2, exec_lo, s2
; %bb.102:
	v_bfe_u32 v5, v4, 16, 1
	v_add3_u32 v5, v4, v5, 0x7fff
                                        ; implicit-def: $vgpr4
; %bb.103:
	s_andn2_saveexec_b32 s2, s2
; %bb.104:
	v_mov_b32_e32 v5, 0
	v_or_b32_e32 v18, 0x10000, v4
	v_cmp_eq_u32_sdwa vcc_lo, v4, v5 src0_sel:WORD_0 src1_sel:DWORD
	v_cndmask_b32_e32 v5, v18, v4, vcc_lo
; %bb.105:
	s_or_b32 exec_lo, exec_lo, s2
	v_and_b32_e32 v4, 0xffff0000, v5
	s_mov_b32 s2, exec_lo
                                        ; implicit-def: $vgpr23
	v_fmac_f32_e32 v4, s4, v17
	v_and_b32_e32 v5, 0x7f800000, v4
	v_cmpx_ne_u32_e32 0x7f800000, v5
	s_xor_b32 s2, exec_lo, s2
; %bb.106:
	v_bfe_u32 v5, v4, 16, 1
	v_add3_u32 v23, v4, v5, 0x7fff
                                        ; implicit-def: $vgpr4
; %bb.107:
	s_andn2_saveexec_b32 s2, s2
; %bb.108:
	v_mov_b32_e32 v5, 0
	v_or_b32_e32 v17, 0x10000, v4
	v_cmp_eq_u32_sdwa vcc_lo, v4, v5 src0_sel:WORD_0 src1_sel:DWORD
	v_cndmask_b32_e32 v23, v17, v4, vcc_lo
; %bb.109:
	s_or_b32 exec_lo, exec_lo, s2
	s_lshl_b64 s[2:3], s[0:1], 5
	v_add_co_u32 v17, vcc_lo, v21, s2
	v_add_co_ci_u32_e64 v18, null, s3, v22, vcc_lo
	v_add_co_u32 v4, vcc_lo, v17, v0
	v_add_co_ci_u32_e64 v5, null, v18, v1, vcc_lo
	global_store_short_d16_hi v[4:5], v23, off
	global_load_ushort v21, v[2:3], off offset:32
	s_waitcnt vmcnt(0)
	v_lshlrev_b32_e32 v21, 16, v21
	v_mul_f32_e32 v21, s9, v21
	v_and_b32_e32 v22, 0x7f800000, v21
	v_cmp_ne_u32_e32 vcc_lo, 0x7f800000, v22
                                        ; implicit-def: $vgpr22
	s_and_saveexec_b32 s2, vcc_lo
	s_xor_b32 s2, exec_lo, s2
; %bb.110:
	v_bfe_u32 v22, v21, 16, 1
	v_add3_u32 v22, v21, v22, 0x7fff
                                        ; implicit-def: $vgpr21
; %bb.111:
	s_andn2_saveexec_b32 s2, s2
; %bb.112:
	v_mov_b32_e32 v22, 0
	v_or_b32_e32 v23, 0x10000, v21
	v_cmp_eq_u32_sdwa vcc_lo, v21, v22 src0_sel:WORD_0 src1_sel:DWORD
	v_cndmask_b32_e32 v22, v23, v21, vcc_lo
; %bb.113:
	s_or_b32 exec_lo, exec_lo, s2
	v_and_b32_e32 v21, 0xffff0000, v22
	v_fmac_f32_e32 v21, s4, v16
	v_and_b32_e32 v16, 0x7f800000, v21
	v_cmp_ne_u32_e32 vcc_lo, 0x7f800000, v16
                                        ; implicit-def: $vgpr16
	s_and_saveexec_b32 s2, vcc_lo
	s_xor_b32 s2, exec_lo, s2
; %bb.114:
	v_bfe_u32 v16, v21, 16, 1
	v_add3_u32 v16, v21, v16, 0x7fff
                                        ; implicit-def: $vgpr21
; %bb.115:
	s_andn2_saveexec_b32 s2, s2
; %bb.116:
	v_mov_b32_e32 v16, 0
	v_or_b32_e32 v22, 0x10000, v21
	v_cmp_eq_u32_sdwa vcc_lo, v21, v16 src0_sel:WORD_0 src1_sel:DWORD
	v_cndmask_b32_e32 v16, v22, v21, vcc_lo
; %bb.117:
	s_or_b32 exec_lo, exec_lo, s2
	global_store_short_d16_hi v[4:5], v16, off offset:32
	global_load_ushort v16, v[2:3], off offset:64
	s_waitcnt vmcnt(0)
	v_lshlrev_b32_e32 v16, 16, v16
	v_mul_f32_e32 v16, s9, v16
	v_and_b32_e32 v21, 0x7f800000, v16
	v_cmp_ne_u32_e32 vcc_lo, 0x7f800000, v21
                                        ; implicit-def: $vgpr21
	s_and_saveexec_b32 s2, vcc_lo
	s_xor_b32 s2, exec_lo, s2
; %bb.118:
	v_bfe_u32 v21, v16, 16, 1
	v_add3_u32 v21, v16, v21, 0x7fff
                                        ; implicit-def: $vgpr16
; %bb.119:
	s_andn2_saveexec_b32 s2, s2
; %bb.120:
	v_mov_b32_e32 v21, 0
	v_or_b32_e32 v22, 0x10000, v16
	v_cmp_eq_u32_sdwa vcc_lo, v16, v21 src0_sel:WORD_0 src1_sel:DWORD
	v_cndmask_b32_e32 v21, v22, v16, vcc_lo
; %bb.121:
	s_or_b32 exec_lo, exec_lo, s2
	v_and_b32_e32 v16, 0xffff0000, v21
	v_fmac_f32_e32 v16, s4, v15
	v_and_b32_e32 v15, 0x7f800000, v16
	v_cmp_ne_u32_e32 vcc_lo, 0x7f800000, v15
                                        ; implicit-def: $vgpr15
	s_and_saveexec_b32 s2, vcc_lo
	s_xor_b32 s2, exec_lo, s2
; %bb.122:
	v_bfe_u32 v15, v16, 16, 1
	v_add3_u32 v15, v16, v15, 0x7fff
                                        ; implicit-def: $vgpr16
; %bb.123:
	s_andn2_saveexec_b32 s2, s2
; %bb.124:
	v_mov_b32_e32 v15, 0
	v_or_b32_e32 v21, 0x10000, v16
	v_cmp_eq_u32_sdwa vcc_lo, v16, v15 src0_sel:WORD_0 src1_sel:DWORD
	v_cndmask_b32_e32 v15, v21, v16, vcc_lo
; %bb.125:
	s_or_b32 exec_lo, exec_lo, s2
	global_store_short_d16_hi v[4:5], v15, off offset:64
	global_load_ushort v2, v[2:3], off offset:96
	s_waitcnt vmcnt(0)
	v_lshlrev_b32_e32 v2, 16, v2
	v_mul_f32_e32 v2, s9, v2
	v_and_b32_e32 v3, 0x7f800000, v2
	v_cmp_ne_u32_e32 vcc_lo, 0x7f800000, v3
                                        ; implicit-def: $vgpr3
	s_and_saveexec_b32 s2, vcc_lo
	s_xor_b32 s2, exec_lo, s2
; %bb.126:
	v_bfe_u32 v3, v2, 16, 1
	v_add3_u32 v3, v2, v3, 0x7fff
                                        ; implicit-def: $vgpr2
; %bb.127:
	s_andn2_saveexec_b32 s2, s2
; %bb.128:
	v_mov_b32_e32 v3, 0
	v_or_b32_e32 v15, 0x10000, v2
	v_cmp_eq_u32_sdwa vcc_lo, v2, v3 src0_sel:WORD_0 src1_sel:DWORD
	v_cndmask_b32_e32 v3, v15, v2, vcc_lo
; %bb.129:
	s_or_b32 exec_lo, exec_lo, s2
	v_and_b32_e32 v2, 0xffff0000, v3
	s_mov_b32 s2, exec_lo
                                        ; implicit-def: $vgpr16
	v_fmac_f32_e32 v2, s4, v14
	v_and_b32_e32 v3, 0x7f800000, v2
	v_cmpx_ne_u32_e32 0x7f800000, v3
	s_xor_b32 s2, exec_lo, s2
; %bb.130:
	v_bfe_u32 v3, v2, 16, 1
	v_add3_u32 v16, v2, v3, 0x7fff
                                        ; implicit-def: $vgpr2
; %bb.131:
	s_or_saveexec_b32 s5, s2
	s_lshl_b64 s[2:3], s[14:15], 4
	s_xor_b32 exec_lo, exec_lo, s5
; %bb.132:
	v_mov_b32_e32 v3, 0
	v_or_b32_e32 v14, 0x10000, v2
	v_cmp_eq_u32_sdwa vcc_lo, v2, v3 src0_sel:WORD_0 src1_sel:DWORD
	v_cndmask_b32_e32 v16, v14, v2, vcc_lo
; %bb.133:
	s_or_b32 exec_lo, exec_lo, s5
	s_lshl_b64 s[2:3], s[2:3], 1
	global_store_short_d16_hi v[4:5], v16, off offset:96
	v_add_co_u32 v14, vcc_lo, v19, s2
	v_add_co_ci_u32_e64 v15, null, s3, v20, vcc_lo
	v_add_co_u32 v2, vcc_lo, v14, v0
	v_add_co_ci_u32_e64 v3, null, v15, v1, vcc_lo
	global_load_ushort v4, v[2:3], off
	s_waitcnt vmcnt(0)
	v_lshlrev_b32_e32 v4, 16, v4
	v_mul_f32_e32 v4, s9, v4
	v_and_b32_e32 v5, 0x7f800000, v4
	v_cmp_ne_u32_e32 vcc_lo, 0x7f800000, v5
                                        ; implicit-def: $vgpr5
	s_and_saveexec_b32 s5, vcc_lo
	s_xor_b32 s5, exec_lo, s5
; %bb.134:
	v_bfe_u32 v5, v4, 16, 1
	v_add3_u32 v5, v4, v5, 0x7fff
                                        ; implicit-def: $vgpr4
; %bb.135:
	s_andn2_saveexec_b32 s5, s5
; %bb.136:
	v_mov_b32_e32 v5, 0
	v_or_b32_e32 v16, 0x10000, v4
	v_cmp_eq_u32_sdwa vcc_lo, v4, v5 src0_sel:WORD_0 src1_sel:DWORD
	v_cndmask_b32_e32 v5, v16, v4, vcc_lo
; %bb.137:
	s_or_b32 exec_lo, exec_lo, s5
	v_and_b32_e32 v4, 0xffff0000, v5
	s_mov_b32 s5, exec_lo
                                        ; implicit-def: $vgpr19
	v_fmac_f32_e32 v4, s4, v13
	v_and_b32_e32 v5, 0x7f800000, v4
	v_cmpx_ne_u32_e32 0x7f800000, v5
	s_xor_b32 s5, exec_lo, s5
; %bb.138:
	v_bfe_u32 v5, v4, 16, 1
	v_add3_u32 v19, v4, v5, 0x7fff
                                        ; implicit-def: $vgpr4
; %bb.139:
	s_or_saveexec_b32 s5, s5
	s_lshl_b64 s[0:1], s[0:1], 4
	s_xor_b32 exec_lo, exec_lo, s5
; %bb.140:
	v_mov_b32_e32 v5, 0
	v_or_b32_e32 v13, 0x10000, v4
	v_cmp_eq_u32_sdwa vcc_lo, v4, v5 src0_sel:WORD_0 src1_sel:DWORD
	v_cndmask_b32_e32 v19, v13, v4, vcc_lo
; %bb.141:
	s_or_b32 exec_lo, exec_lo, s5
	s_lshl_b64 s[0:1], s[0:1], 1
	v_add_co_u32 v13, vcc_lo, v17, s0
	v_add_co_ci_u32_e64 v16, null, s1, v18, vcc_lo
	v_add_co_u32 v4, vcc_lo, v13, v0
	v_add_co_ci_u32_e64 v5, null, v16, v1, vcc_lo
	global_store_short_d16_hi v[4:5], v19, off
	global_load_ushort v17, v[2:3], off offset:32
	s_waitcnt vmcnt(0)
	v_lshlrev_b32_e32 v17, 16, v17
	v_mul_f32_e32 v17, s9, v17
	v_and_b32_e32 v18, 0x7f800000, v17
	v_cmp_ne_u32_e32 vcc_lo, 0x7f800000, v18
                                        ; implicit-def: $vgpr18
	s_and_saveexec_b32 s5, vcc_lo
	s_xor_b32 s5, exec_lo, s5
; %bb.142:
	v_bfe_u32 v18, v17, 16, 1
	v_add3_u32 v18, v17, v18, 0x7fff
                                        ; implicit-def: $vgpr17
; %bb.143:
	s_andn2_saveexec_b32 s5, s5
; %bb.144:
	v_mov_b32_e32 v18, 0
	v_or_b32_e32 v19, 0x10000, v17
	v_cmp_eq_u32_sdwa vcc_lo, v17, v18 src0_sel:WORD_0 src1_sel:DWORD
	v_cndmask_b32_e32 v18, v19, v17, vcc_lo
; %bb.145:
	s_or_b32 exec_lo, exec_lo, s5
	v_and_b32_e32 v17, 0xffff0000, v18
	v_fmac_f32_e32 v17, s4, v12
	v_and_b32_e32 v12, 0x7f800000, v17
	v_cmp_ne_u32_e32 vcc_lo, 0x7f800000, v12
                                        ; implicit-def: $vgpr12
	s_and_saveexec_b32 s5, vcc_lo
	s_xor_b32 s5, exec_lo, s5
; %bb.146:
	v_bfe_u32 v12, v17, 16, 1
	v_add3_u32 v12, v17, v12, 0x7fff
                                        ; implicit-def: $vgpr17
; %bb.147:
	s_andn2_saveexec_b32 s5, s5
; %bb.148:
	v_mov_b32_e32 v12, 0
	v_or_b32_e32 v18, 0x10000, v17
	v_cmp_eq_u32_sdwa vcc_lo, v17, v12 src0_sel:WORD_0 src1_sel:DWORD
	v_cndmask_b32_e32 v12, v18, v17, vcc_lo
; %bb.149:
	s_or_b32 exec_lo, exec_lo, s5
	global_store_short_d16_hi v[4:5], v12, off offset:32
	global_load_ushort v12, v[2:3], off offset:64
	s_waitcnt vmcnt(0)
	v_lshlrev_b32_e32 v12, 16, v12
	v_mul_f32_e32 v12, s9, v12
	v_and_b32_e32 v17, 0x7f800000, v12
	v_cmp_ne_u32_e32 vcc_lo, 0x7f800000, v17
                                        ; implicit-def: $vgpr17
	s_and_saveexec_b32 s5, vcc_lo
	s_xor_b32 s5, exec_lo, s5
; %bb.150:
	v_bfe_u32 v17, v12, 16, 1
	v_add3_u32 v17, v12, v17, 0x7fff
                                        ; implicit-def: $vgpr12
; %bb.151:
	s_andn2_saveexec_b32 s5, s5
; %bb.152:
	v_mov_b32_e32 v17, 0
	v_or_b32_e32 v18, 0x10000, v12
	v_cmp_eq_u32_sdwa vcc_lo, v12, v17 src0_sel:WORD_0 src1_sel:DWORD
	v_cndmask_b32_e32 v17, v18, v12, vcc_lo
; %bb.153:
	s_or_b32 exec_lo, exec_lo, s5
	v_and_b32_e32 v12, 0xffff0000, v17
	v_fmac_f32_e32 v12, s4, v11
	v_and_b32_e32 v11, 0x7f800000, v12
	v_cmp_ne_u32_e32 vcc_lo, 0x7f800000, v11
                                        ; implicit-def: $vgpr11
	s_and_saveexec_b32 s5, vcc_lo
	s_xor_b32 s5, exec_lo, s5
; %bb.154:
	v_bfe_u32 v11, v12, 16, 1
	v_add3_u32 v11, v12, v11, 0x7fff
                                        ; implicit-def: $vgpr12
; %bb.155:
	s_andn2_saveexec_b32 s5, s5
; %bb.156:
	v_mov_b32_e32 v11, 0
	v_or_b32_e32 v17, 0x10000, v12
	v_cmp_eq_u32_sdwa vcc_lo, v12, v11 src0_sel:WORD_0 src1_sel:DWORD
	v_cndmask_b32_e32 v11, v17, v12, vcc_lo
; %bb.157:
	s_or_b32 exec_lo, exec_lo, s5
	global_store_short_d16_hi v[4:5], v11, off offset:64
	global_load_ushort v2, v[2:3], off offset:96
	s_waitcnt vmcnt(0)
	v_lshlrev_b32_e32 v2, 16, v2
	v_mul_f32_e32 v2, s9, v2
	v_and_b32_e32 v3, 0x7f800000, v2
	v_cmp_ne_u32_e32 vcc_lo, 0x7f800000, v3
                                        ; implicit-def: $vgpr3
	s_and_saveexec_b32 s5, vcc_lo
	s_xor_b32 s5, exec_lo, s5
; %bb.158:
	v_bfe_u32 v3, v2, 16, 1
	v_add3_u32 v3, v2, v3, 0x7fff
                                        ; implicit-def: $vgpr2
; %bb.159:
	s_andn2_saveexec_b32 s5, s5
; %bb.160:
	v_mov_b32_e32 v3, 0
	v_or_b32_e32 v11, 0x10000, v2
	v_cmp_eq_u32_sdwa vcc_lo, v2, v3 src0_sel:WORD_0 src1_sel:DWORD
	v_cndmask_b32_e32 v3, v11, v2, vcc_lo
; %bb.161:
	s_or_b32 exec_lo, exec_lo, s5
	v_and_b32_e32 v2, 0xffff0000, v3
	s_mov_b32 s5, exec_lo
	v_fmac_f32_e32 v2, s4, v10
                                        ; implicit-def: $vgpr10
	v_and_b32_e32 v3, 0x7f800000, v2
	v_cmpx_ne_u32_e32 0x7f800000, v3
	s_xor_b32 s5, exec_lo, s5
; %bb.162:
	v_bfe_u32 v3, v2, 16, 1
	v_add3_u32 v10, v2, v3, 0x7fff
                                        ; implicit-def: $vgpr2
; %bb.163:
	s_andn2_saveexec_b32 s5, s5
; %bb.164:
	v_mov_b32_e32 v3, 0
	v_or_b32_e32 v10, 0x10000, v2
	v_cmp_eq_u32_sdwa vcc_lo, v2, v3 src0_sel:WORD_0 src1_sel:DWORD
	v_cndmask_b32_e32 v10, v10, v2, vcc_lo
; %bb.165:
	s_or_b32 exec_lo, exec_lo, s5
	v_add_co_u32 v2, vcc_lo, v14, s2
	v_add_co_ci_u32_e64 v3, null, s3, v15, vcc_lo
	global_store_short_d16_hi v[4:5], v10, off offset:96
	v_add_co_u32 v2, vcc_lo, v2, v0
	v_add_co_ci_u32_e64 v3, null, v3, v1, vcc_lo
	global_load_ushort v4, v[2:3], off
	s_waitcnt vmcnt(0)
	v_lshlrev_b32_e32 v4, 16, v4
	v_mul_f32_e32 v4, s9, v4
	v_and_b32_e32 v5, 0x7f800000, v4
	v_cmp_ne_u32_e32 vcc_lo, 0x7f800000, v5
                                        ; implicit-def: $vgpr5
	s_and_saveexec_b32 s2, vcc_lo
	s_xor_b32 s2, exec_lo, s2
; %bb.166:
	v_bfe_u32 v5, v4, 16, 1
	v_add3_u32 v5, v4, v5, 0x7fff
                                        ; implicit-def: $vgpr4
; %bb.167:
	s_andn2_saveexec_b32 s2, s2
; %bb.168:
	v_mov_b32_e32 v5, 0
	v_or_b32_e32 v10, 0x10000, v4
	v_cmp_eq_u32_sdwa vcc_lo, v4, v5 src0_sel:WORD_0 src1_sel:DWORD
	v_cndmask_b32_e32 v5, v10, v4, vcc_lo
; %bb.169:
	s_or_b32 exec_lo, exec_lo, s2
	v_and_b32_e32 v5, 0xffff0000, v5
	v_fmac_f32_e32 v5, s4, v9
	v_and_b32_e32 v4, 0x7f800000, v5
	v_cmp_ne_u32_e32 vcc_lo, 0x7f800000, v4
                                        ; implicit-def: $vgpr4
	s_and_saveexec_b32 s2, vcc_lo
	s_xor_b32 s2, exec_lo, s2
; %bb.170:
	v_bfe_u32 v4, v5, 16, 1
	v_add3_u32 v4, v5, v4, 0x7fff
                                        ; implicit-def: $vgpr5
; %bb.171:
	s_andn2_saveexec_b32 s2, s2
; %bb.172:
	v_mov_b32_e32 v4, 0
	v_or_b32_e32 v9, 0x10000, v5
	v_cmp_eq_u32_sdwa vcc_lo, v5, v4 src0_sel:WORD_0 src1_sel:DWORD
	v_cndmask_b32_e32 v4, v9, v5, vcc_lo
; %bb.173:
	s_or_b32 exec_lo, exec_lo, s2
	v_add_co_u32 v5, vcc_lo, v13, s0
	v_add_co_ci_u32_e64 v9, null, s1, v16, vcc_lo
	v_add_co_u32 v0, vcc_lo, v5, v0
	v_add_co_ci_u32_e64 v1, null, v9, v1, vcc_lo
	global_store_short_d16_hi v[0:1], v4, off
	global_load_ushort v4, v[2:3], off offset:32
	s_waitcnt vmcnt(0)
	v_lshlrev_b32_e32 v4, 16, v4
	v_mul_f32_e32 v4, s9, v4
	v_and_b32_e32 v5, 0x7f800000, v4
	v_cmp_ne_u32_e32 vcc_lo, 0x7f800000, v5
                                        ; implicit-def: $vgpr5
	s_and_saveexec_b32 s0, vcc_lo
	s_xor_b32 s0, exec_lo, s0
; %bb.174:
	v_bfe_u32 v5, v4, 16, 1
	v_add3_u32 v5, v4, v5, 0x7fff
                                        ; implicit-def: $vgpr4
; %bb.175:
	s_andn2_saveexec_b32 s0, s0
; %bb.176:
	v_mov_b32_e32 v5, 0
	v_or_b32_e32 v9, 0x10000, v4
	v_cmp_eq_u32_sdwa vcc_lo, v4, v5 src0_sel:WORD_0 src1_sel:DWORD
	v_cndmask_b32_e32 v5, v9, v4, vcc_lo
; %bb.177:
	s_or_b32 exec_lo, exec_lo, s0
	v_and_b32_e32 v4, 0xffff0000, v5
	v_fmac_f32_e32 v4, s4, v8
	v_and_b32_e32 v5, 0x7f800000, v4
	v_cmp_ne_u32_e32 vcc_lo, 0x7f800000, v5
                                        ; implicit-def: $vgpr5
	s_and_saveexec_b32 s0, vcc_lo
	s_xor_b32 s0, exec_lo, s0
; %bb.178:
	v_bfe_u32 v5, v4, 16, 1
	v_add3_u32 v5, v4, v5, 0x7fff
                                        ; implicit-def: $vgpr4
; %bb.179:
	s_andn2_saveexec_b32 s0, s0
; %bb.180:
	v_mov_b32_e32 v5, 0
	v_or_b32_e32 v8, 0x10000, v4
	v_cmp_eq_u32_sdwa vcc_lo, v4, v5 src0_sel:WORD_0 src1_sel:DWORD
	v_cndmask_b32_e32 v5, v8, v4, vcc_lo
; %bb.181:
	s_or_b32 exec_lo, exec_lo, s0
	global_store_short_d16_hi v[0:1], v5, off offset:32
	global_load_ushort v4, v[2:3], off offset:64
	s_waitcnt vmcnt(0)
	v_lshlrev_b32_e32 v4, 16, v4
	v_mul_f32_e32 v4, s9, v4
	v_and_b32_e32 v5, 0x7f800000, v4
	v_cmp_ne_u32_e32 vcc_lo, 0x7f800000, v5
                                        ; implicit-def: $vgpr5
	s_and_saveexec_b32 s0, vcc_lo
	s_xor_b32 s0, exec_lo, s0
; %bb.182:
	v_bfe_u32 v5, v4, 16, 1
	v_add3_u32 v5, v4, v5, 0x7fff
                                        ; implicit-def: $vgpr4
; %bb.183:
	s_andn2_saveexec_b32 s0, s0
; %bb.184:
	v_mov_b32_e32 v5, 0
	v_or_b32_e32 v8, 0x10000, v4
	v_cmp_eq_u32_sdwa vcc_lo, v4, v5 src0_sel:WORD_0 src1_sel:DWORD
	v_cndmask_b32_e32 v5, v8, v4, vcc_lo
; %bb.185:
	s_or_b32 exec_lo, exec_lo, s0
	v_and_b32_e32 v4, 0xffff0000, v5
	v_fmac_f32_e32 v4, s4, v7
	v_and_b32_e32 v5, 0x7f800000, v4
	v_cmp_ne_u32_e32 vcc_lo, 0x7f800000, v5
                                        ; implicit-def: $vgpr5
	s_and_saveexec_b32 s0, vcc_lo
	s_xor_b32 s0, exec_lo, s0
; %bb.186:
	v_bfe_u32 v5, v4, 16, 1
	v_add3_u32 v5, v4, v5, 0x7fff
                                        ; implicit-def: $vgpr4
; %bb.187:
	s_andn2_saveexec_b32 s0, s0
; %bb.188:
	v_mov_b32_e32 v5, 0
	v_or_b32_e32 v7, 0x10000, v4
	v_cmp_eq_u32_sdwa vcc_lo, v4, v5 src0_sel:WORD_0 src1_sel:DWORD
	v_cndmask_b32_e32 v5, v7, v4, vcc_lo
; %bb.189:
	s_or_b32 exec_lo, exec_lo, s0
	global_store_short_d16_hi v[0:1], v5, off offset:64
	global_load_ushort v2, v[2:3], off offset:96
	s_waitcnt vmcnt(0)
	v_lshlrev_b32_e32 v2, 16, v2
	v_mul_f32_e32 v2, s9, v2
	v_and_b32_e32 v3, 0x7f800000, v2
	v_cmp_ne_u32_e32 vcc_lo, 0x7f800000, v3
                                        ; implicit-def: $vgpr3
	s_and_saveexec_b32 s0, vcc_lo
	s_xor_b32 s0, exec_lo, s0
; %bb.190:
	v_bfe_u32 v3, v2, 16, 1
	v_add3_u32 v3, v2, v3, 0x7fff
                                        ; implicit-def: $vgpr2
; %bb.191:
	s_andn2_saveexec_b32 s0, s0
; %bb.192:
	v_mov_b32_e32 v3, 0
	v_or_b32_e32 v4, 0x10000, v2
	v_cmp_eq_u32_sdwa vcc_lo, v2, v3 src0_sel:WORD_0 src1_sel:DWORD
	v_cndmask_b32_e32 v3, v4, v2, vcc_lo
; %bb.193:
	s_or_b32 exec_lo, exec_lo, s0
	v_and_b32_e32 v2, 0xffff0000, v3
	v_fmac_f32_e32 v2, s4, v6
	v_and_b32_e32 v3, 0x7f800000, v2
	v_cmp_ne_u32_e32 vcc_lo, 0x7f800000, v3
                                        ; implicit-def: $vgpr3
	s_and_saveexec_b32 s0, vcc_lo
	s_xor_b32 s0, exec_lo, s0
	s_cbranch_execnz .LBB422_198
; %bb.194:
	s_andn2_saveexec_b32 s0, s0
	s_cbranch_execnz .LBB422_199
.LBB422_195:
	s_or_b32 exec_lo, exec_lo, s0
	global_store_short_d16_hi v[0:1], v3, off offset:96
	s_endpgm
.LBB422_196:
	s_cbranch_execnz .LBB422_69
.LBB422_197:
	s_endpgm
.LBB422_198:
	v_bfe_u32 v3, v2, 16, 1
	v_add3_u32 v3, v2, v3, 0x7fff
                                        ; implicit-def: $vgpr2
	s_andn2_saveexec_b32 s0, s0
	s_cbranch_execz .LBB422_195
.LBB422_199:
	v_mov_b32_e32 v3, 0
	v_or_b32_e32 v4, 0x10000, v2
	v_cmp_eq_u32_sdwa vcc_lo, v2, v3 src0_sel:WORD_0 src1_sel:DWORD
	v_cndmask_b32_e32 v3, v4, v2, vcc_lo
	s_or_b32 exec_lo, exec_lo, s0
	global_store_short_d16_hi v[0:1], v3, off offset:96
	s_endpgm
	.section	.rodata,"a",@progbits
	.p2align	6, 0x0
	.amdhsa_kernel _ZN12_GLOBAL__N_127rocblas_gemm_batched_kernelIfLi16ELi16ELi64ELi64ELi4ELi64ELi4ELi4ELi64ELc67ELc67EK16rocblas_bfloat16S2_S1_EEvlllT_PT11_llS5_llS3_PT12_llPT13_lli
		.amdhsa_group_segment_fixed_size 2048
		.amdhsa_private_segment_fixed_size 0
		.amdhsa_kernarg_size 140
		.amdhsa_user_sgpr_count 6
		.amdhsa_user_sgpr_private_segment_buffer 1
		.amdhsa_user_sgpr_dispatch_ptr 0
		.amdhsa_user_sgpr_queue_ptr 0
		.amdhsa_user_sgpr_kernarg_segment_ptr 1
		.amdhsa_user_sgpr_dispatch_id 0
		.amdhsa_user_sgpr_flat_scratch_init 0
		.amdhsa_user_sgpr_private_segment_size 0
		.amdhsa_wavefront_size32 1
		.amdhsa_uses_dynamic_stack 0
		.amdhsa_system_sgpr_private_segment_wavefront_offset 0
		.amdhsa_system_sgpr_workgroup_id_x 1
		.amdhsa_system_sgpr_workgroup_id_y 1
		.amdhsa_system_sgpr_workgroup_id_z 1
		.amdhsa_system_sgpr_workgroup_info 0
		.amdhsa_system_vgpr_workitem_id 1
		.amdhsa_next_free_vgpr 58
		.amdhsa_next_free_sgpr 22
		.amdhsa_reserve_vcc 1
		.amdhsa_reserve_flat_scratch 0
		.amdhsa_float_round_mode_32 0
		.amdhsa_float_round_mode_16_64 0
		.amdhsa_float_denorm_mode_32 3
		.amdhsa_float_denorm_mode_16_64 3
		.amdhsa_dx10_clamp 1
		.amdhsa_ieee_mode 1
		.amdhsa_fp16_overflow 0
		.amdhsa_workgroup_processor_mode 1
		.amdhsa_memory_ordered 1
		.amdhsa_forward_progress 1
		.amdhsa_shared_vgpr_count 0
		.amdhsa_exception_fp_ieee_invalid_op 0
		.amdhsa_exception_fp_denorm_src 0
		.amdhsa_exception_fp_ieee_div_zero 0
		.amdhsa_exception_fp_ieee_overflow 0
		.amdhsa_exception_fp_ieee_underflow 0
		.amdhsa_exception_fp_ieee_inexact 0
		.amdhsa_exception_int_div_zero 0
	.end_amdhsa_kernel
	.section	.text._ZN12_GLOBAL__N_127rocblas_gemm_batched_kernelIfLi16ELi16ELi64ELi64ELi4ELi64ELi4ELi4ELi64ELc67ELc67EK16rocblas_bfloat16S2_S1_EEvlllT_PT11_llS5_llS3_PT12_llPT13_lli,"axG",@progbits,_ZN12_GLOBAL__N_127rocblas_gemm_batched_kernelIfLi16ELi16ELi64ELi64ELi4ELi64ELi4ELi4ELi64ELc67ELc67EK16rocblas_bfloat16S2_S1_EEvlllT_PT11_llS5_llS3_PT12_llPT13_lli,comdat
.Lfunc_end422:
	.size	_ZN12_GLOBAL__N_127rocblas_gemm_batched_kernelIfLi16ELi16ELi64ELi64ELi4ELi64ELi4ELi4ELi64ELc67ELc67EK16rocblas_bfloat16S2_S1_EEvlllT_PT11_llS5_llS3_PT12_llPT13_lli, .Lfunc_end422-_ZN12_GLOBAL__N_127rocblas_gemm_batched_kernelIfLi16ELi16ELi64ELi64ELi4ELi64ELi4ELi4ELi64ELc67ELc67EK16rocblas_bfloat16S2_S1_EEvlllT_PT11_llS5_llS3_PT12_llPT13_lli
                                        ; -- End function
	.set _ZN12_GLOBAL__N_127rocblas_gemm_batched_kernelIfLi16ELi16ELi64ELi64ELi4ELi64ELi4ELi4ELi64ELc67ELc67EK16rocblas_bfloat16S2_S1_EEvlllT_PT11_llS5_llS3_PT12_llPT13_lli.num_vgpr, 58
	.set _ZN12_GLOBAL__N_127rocblas_gemm_batched_kernelIfLi16ELi16ELi64ELi64ELi4ELi64ELi4ELi4ELi64ELc67ELc67EK16rocblas_bfloat16S2_S1_EEvlllT_PT11_llS5_llS3_PT12_llPT13_lli.num_agpr, 0
	.set _ZN12_GLOBAL__N_127rocblas_gemm_batched_kernelIfLi16ELi16ELi64ELi64ELi4ELi64ELi4ELi4ELi64ELc67ELc67EK16rocblas_bfloat16S2_S1_EEvlllT_PT11_llS5_llS3_PT12_llPT13_lli.numbered_sgpr, 22
	.set _ZN12_GLOBAL__N_127rocblas_gemm_batched_kernelIfLi16ELi16ELi64ELi64ELi4ELi64ELi4ELi4ELi64ELc67ELc67EK16rocblas_bfloat16S2_S1_EEvlllT_PT11_llS5_llS3_PT12_llPT13_lli.num_named_barrier, 0
	.set _ZN12_GLOBAL__N_127rocblas_gemm_batched_kernelIfLi16ELi16ELi64ELi64ELi4ELi64ELi4ELi4ELi64ELc67ELc67EK16rocblas_bfloat16S2_S1_EEvlllT_PT11_llS5_llS3_PT12_llPT13_lli.private_seg_size, 0
	.set _ZN12_GLOBAL__N_127rocblas_gemm_batched_kernelIfLi16ELi16ELi64ELi64ELi4ELi64ELi4ELi4ELi64ELc67ELc67EK16rocblas_bfloat16S2_S1_EEvlllT_PT11_llS5_llS3_PT12_llPT13_lli.uses_vcc, 1
	.set _ZN12_GLOBAL__N_127rocblas_gemm_batched_kernelIfLi16ELi16ELi64ELi64ELi4ELi64ELi4ELi4ELi64ELc67ELc67EK16rocblas_bfloat16S2_S1_EEvlllT_PT11_llS5_llS3_PT12_llPT13_lli.uses_flat_scratch, 0
	.set _ZN12_GLOBAL__N_127rocblas_gemm_batched_kernelIfLi16ELi16ELi64ELi64ELi4ELi64ELi4ELi4ELi64ELc67ELc67EK16rocblas_bfloat16S2_S1_EEvlllT_PT11_llS5_llS3_PT12_llPT13_lli.has_dyn_sized_stack, 0
	.set _ZN12_GLOBAL__N_127rocblas_gemm_batched_kernelIfLi16ELi16ELi64ELi64ELi4ELi64ELi4ELi4ELi64ELc67ELc67EK16rocblas_bfloat16S2_S1_EEvlllT_PT11_llS5_llS3_PT12_llPT13_lli.has_recursion, 0
	.set _ZN12_GLOBAL__N_127rocblas_gemm_batched_kernelIfLi16ELi16ELi64ELi64ELi4ELi64ELi4ELi4ELi64ELc67ELc67EK16rocblas_bfloat16S2_S1_EEvlllT_PT11_llS5_llS3_PT12_llPT13_lli.has_indirect_call, 0
	.section	.AMDGPU.csdata,"",@progbits
; Kernel info:
; codeLenInByte = 6220
; TotalNumSgprs: 24
; NumVgprs: 58
; ScratchSize: 0
; MemoryBound: 0
; FloatMode: 240
; IeeeMode: 1
; LDSByteSize: 2048 bytes/workgroup (compile time only)
; SGPRBlocks: 0
; VGPRBlocks: 7
; NumSGPRsForWavesPerEU: 24
; NumVGPRsForWavesPerEU: 58
; Occupancy: 16
; WaveLimiterHint : 0
; COMPUTE_PGM_RSRC2:SCRATCH_EN: 0
; COMPUTE_PGM_RSRC2:USER_SGPR: 6
; COMPUTE_PGM_RSRC2:TRAP_HANDLER: 0
; COMPUTE_PGM_RSRC2:TGID_X_EN: 1
; COMPUTE_PGM_RSRC2:TGID_Y_EN: 1
; COMPUTE_PGM_RSRC2:TGID_Z_EN: 1
; COMPUTE_PGM_RSRC2:TIDIG_COMP_CNT: 1
	.section	.text._ZN12_GLOBAL__N_127rocblas_gemm_batched_kernelIfLi16ELi16ELi64ELi64ELi4ELi64ELi4ELi4ELi64ELc67ELc78EK16rocblas_bfloat16S2_S1_EEvlllT_PT11_llS5_llS3_PT12_llPT13_lli,"axG",@progbits,_ZN12_GLOBAL__N_127rocblas_gemm_batched_kernelIfLi16ELi16ELi64ELi64ELi4ELi64ELi4ELi4ELi64ELc67ELc78EK16rocblas_bfloat16S2_S1_EEvlllT_PT11_llS5_llS3_PT12_llPT13_lli,comdat
	.globl	_ZN12_GLOBAL__N_127rocblas_gemm_batched_kernelIfLi16ELi16ELi64ELi64ELi4ELi64ELi4ELi4ELi64ELc67ELc78EK16rocblas_bfloat16S2_S1_EEvlllT_PT11_llS5_llS3_PT12_llPT13_lli ; -- Begin function _ZN12_GLOBAL__N_127rocblas_gemm_batched_kernelIfLi16ELi16ELi64ELi64ELi4ELi64ELi4ELi4ELi64ELc67ELc78EK16rocblas_bfloat16S2_S1_EEvlllT_PT11_llS5_llS3_PT12_llPT13_lli
	.p2align	8
	.type	_ZN12_GLOBAL__N_127rocblas_gemm_batched_kernelIfLi16ELi16ELi64ELi64ELi4ELi64ELi4ELi4ELi64ELc67ELc78EK16rocblas_bfloat16S2_S1_EEvlllT_PT11_llS5_llS3_PT12_llPT13_lli,@function
_ZN12_GLOBAL__N_127rocblas_gemm_batched_kernelIfLi16ELi16ELi64ELi64ELi4ELi64ELi4ELi4ELi64ELc67ELc78EK16rocblas_bfloat16S2_S1_EEvlllT_PT11_llS5_llS3_PT12_llPT13_lli: ; @_ZN12_GLOBAL__N_127rocblas_gemm_batched_kernelIfLi16ELi16ELi64ELi64ELi4ELi64ELi4ELi4ELi64ELc67ELc78EK16rocblas_bfloat16S2_S1_EEvlllT_PT11_llS5_llS3_PT12_llPT13_lli
; %bb.0:
	s_load_dwordx2 s[20:21], s[4:5], 0x10
	s_mov_b32 s0, s7
	v_mov_b32_e32 v21, 0
	v_mov_b32_e32 v20, 0
	;; [unrolled: 1-line block ×16, first 2 shown]
	s_ashr_i32 s7, s6, 31
	s_ashr_i32 s1, s0, 31
	s_waitcnt lgkmcnt(0)
	v_cmp_lt_i64_e64 s2, s[20:21], 1
	s_lshl_b64 s[6:7], s[6:7], 6
	s_lshl_b64 s[10:11], s[0:1], 6
	s_and_b32 vcc_lo, exec_lo, s2
	s_cbranch_vccnz .LBB423_3
; %bb.1:
	v_lshlrev_b32_e32 v7, 4, v1
	s_clause 0x1
	s_load_dwordx8 s[12:19], s[4:5], 0x20
	s_load_dwordx4 s[0:3], s[4:5], 0x40
	v_and_b32_e32 v8, 3, v0
	v_mov_b32_e32 v6, 0
	v_add_nc_u32_e32 v2, v7, v0
	v_add_nc_u32_e32 v25, 0x400, v7
	v_lshlrev_b32_e32 v22, 2, v0
	v_lshlrev_b32_e32 v4, 2, v8
	v_mov_b32_e32 v14, 0
	v_and_b32_e32 v3, 63, v2
	v_lshrrev_b32_e32 v5, 2, v2
	v_lshrrev_b32_e32 v11, 6, v2
	v_mov_b32_e32 v15, 0
	v_mov_b32_e32 v16, 0
	v_add_co_u32 v9, s9, s6, v3
	v_add_co_ci_u32_e64 v10, null, s7, 0, s9
	v_lshlrev_b32_e32 v12, 2, v3
	v_lshl_or_b32 v4, v5, 4, v4
	s_waitcnt lgkmcnt(0)
	v_mul_lo_u32 v13, s15, v9
	v_mul_lo_u32 v10, s14, v10
	v_mad_u64_u32 v[2:3], null, s14, v9, 0
	v_add_co_u32 v5, s9, v5, s10
	v_add_co_ci_u32_e64 v9, null, 0, s11, s9
	v_lshl_or_b32 v23, v11, 8, v12
	v_add_nc_u32_e32 v24, 0x400, v4
	v_mul_lo_u32 v12, s1, v5
	v_add3_u32 v3, v3, v10, v13
	v_mul_lo_u32 v9, s0, v9
	v_mad_u64_u32 v[4:5], null, s0, v5, 0
	s_mul_i32 s0, s17, s8
	s_mul_hi_u32 s1, s16, s8
	v_lshlrev_b64 v[2:3], 1, v[2:3]
	s_add_i32 s1, s1, s0
	s_mul_i32 s0, s16, s8
	v_mov_b32_e32 v10, 0
	v_add3_u32 v5, v5, v9, v12
	s_lshl_b64 s[0:1], s[0:1], 1
	v_mov_b32_e32 v12, 0
	v_add_co_u32 v7, vcc_lo, v2, s0
	v_add_co_ci_u32_e64 v9, null, s1, v3, vcc_lo
	s_mul_i32 s0, s3, s8
	s_mul_hi_u32 s1, s2, s8
	v_lshlrev_b64 v[2:3], 1, v[4:5]
	s_add_i32 s1, s1, s0
	s_mul_i32 s0, s2, s8
	v_lshlrev_b32_e32 v4, 1, v11
	s_lshl_b64 s[0:1], s[0:1], 1
	v_lshlrev_b32_e32 v5, 1, v8
	v_add_co_u32 v2, vcc_lo, v2, s0
	v_add_co_ci_u32_e64 v3, null, s1, v3, vcc_lo
	v_add_co_u32 v4, vcc_lo, v7, v4
	v_add_co_ci_u32_e64 v7, null, 0, v9, vcc_lo
	;; [unrolled: 2-line block ×5, first 2 shown]
	v_mov_b32_e32 v7, 0
	v_mov_b32_e32 v8, 0
	;; [unrolled: 1-line block ×10, first 2 shown]
	s_mov_b64 s[0:1], 0
.LBB423_2:                              ; =>This Inner Loop Header: Depth=1
	global_load_ushort v26, v[2:3], off
	global_load_ushort v27, v[4:5], off
	s_add_u32 s0, s0, 4
	s_addc_u32 s1, s1, 0
	v_add_co_u32 v2, vcc_lo, v2, 8
	v_cmp_lt_i64_e64 s2, s[0:1], s[20:21]
	v_add_co_ci_u32_e64 v3, null, 0, v3, vcc_lo
	v_add_co_u32 v4, vcc_lo, v4, 8
	v_add_co_ci_u32_e64 v5, null, 0, v5, vcc_lo
	s_and_b32 vcc_lo, exec_lo, s2
	s_waitcnt vmcnt(1)
	v_lshlrev_b32_e32 v26, 16, v26
	s_waitcnt vmcnt(0)
	v_lshlrev_b32_e32 v27, 16, v27
	ds_write_b32 v23, v26
	ds_write_b32 v24, v27
	s_waitcnt lgkmcnt(0)
	s_barrier
	buffer_gl0_inv
	ds_read_b128 v[26:29], v25
	ds_read2_b32 v[42:43], v22 offset1:16
	ds_read2_b32 v[44:45], v22 offset0:32 offset1:48
	ds_read_b128 v[30:33], v25 offset:256
	ds_read_b128 v[34:37], v25 offset:512
	;; [unrolled: 1-line block ×3, first 2 shown]
	ds_read2_b32 v[46:47], v22 offset0:64 offset1:80
	ds_read2_b32 v[48:49], v22 offset0:96 offset1:112
	;; [unrolled: 1-line block ×6, first 2 shown]
	s_waitcnt lgkmcnt(0)
	s_barrier
	buffer_gl0_inv
	v_fmac_f32_e32 v21, v42, v26
	v_fmac_f32_e32 v20, v43, v26
	;; [unrolled: 1-line block ×64, first 2 shown]
	s_cbranch_vccnz .LBB423_2
.LBB423_3:
	s_clause 0x3
	s_load_dwordx4 s[0:3], s[4:5], 0x78
	s_load_dword s9, s[4:5], 0x50
	s_load_dwordx8 s[12:19], s[4:5], 0x58
	s_load_dword s4, s[4:5], 0x18
	v_add_co_u32 v22, s5, s10, v1
	v_add_co_ci_u32_e64 v23, null, s11, 0, s5
	s_waitcnt lgkmcnt(0)
	s_mul_i32 s3, s3, s8
	s_mul_hi_u32 s5, s2, s8
	s_mul_i32 s2, s2, s8
	s_add_i32 s3, s5, s3
	v_cmp_neq_f32_e64 s10, s9, 0
	v_add_co_u32 v0, s5, s6, v0
	s_lshl_b64 s[2:3], s[2:3], 1
	v_add_co_ci_u32_e64 v1, null, s7, 0, s5
	s_add_u32 s5, s18, s2
	s_addc_u32 s6, s19, s3
	s_and_b32 vcc_lo, exec_lo, s10
	s_cbranch_vccnz .LBB423_196
; %bb.4:
	v_mul_f32_e32 v2, s4, v21
	s_mov_b32 s2, exec_lo
                                        ; implicit-def: $vgpr26
	v_and_b32_e32 v3, 0x7f800000, v2
	v_cmpx_ne_u32_e32 0x7f800000, v3
	s_xor_b32 s2, exec_lo, s2
; %bb.5:
	v_bfe_u32 v3, v2, 16, 1
	v_add3_u32 v26, v2, v3, 0x7fff
                                        ; implicit-def: $vgpr2
; %bb.6:
	s_andn2_saveexec_b32 s2, s2
; %bb.7:
	v_mov_b32_e32 v3, 0
	v_or_b32_e32 v4, 0x10000, v2
	v_cmp_eq_u32_sdwa vcc_lo, v2, v3 src0_sel:WORD_0 src1_sel:DWORD
	v_cndmask_b32_e32 v26, v4, v2, vcc_lo
; %bb.8:
	s_or_b32 exec_lo, exec_lo, s2
	v_mul_lo_u32 v4, v23, s0
	v_mul_lo_u32 v5, v22, s1
	v_mad_u64_u32 v[2:3], null, v22, s0, 0
	v_mul_f32_e32 v27, s4, v20
	v_and_b32_e32 v28, 0x7f800000, v27
	v_add3_u32 v3, v3, v5, v4
	v_lshlrev_b64 v[4:5], 1, v[2:3]
	v_lshlrev_b64 v[2:3], 1, v[0:1]
	v_add_co_u32 v24, vcc_lo, s5, v4
	v_add_co_ci_u32_e64 v25, null, s6, v5, vcc_lo
	v_add_co_u32 v4, vcc_lo, v24, v2
	v_add_co_ci_u32_e64 v5, null, v25, v3, vcc_lo
	v_cmp_ne_u32_e32 vcc_lo, 0x7f800000, v28
                                        ; implicit-def: $vgpr28
	global_store_short_d16_hi v[4:5], v26, off
	s_and_saveexec_b32 s2, vcc_lo
	s_xor_b32 s2, exec_lo, s2
; %bb.9:
	v_bfe_u32 v26, v27, 16, 1
	v_add3_u32 v28, v27, v26, 0x7fff
                                        ; implicit-def: $vgpr27
; %bb.10:
	s_andn2_saveexec_b32 s2, s2
; %bb.11:
	v_mov_b32_e32 v26, 0
	v_or_b32_e32 v28, 0x10000, v27
	v_cmp_eq_u32_sdwa vcc_lo, v27, v26 src0_sel:WORD_0 src1_sel:DWORD
	v_cndmask_b32_e32 v28, v28, v27, vcc_lo
; %bb.12:
	s_or_b32 exec_lo, exec_lo, s2
	v_mul_f32_e32 v26, s4, v19
	global_store_short_d16_hi v[4:5], v28, off offset:32
	v_and_b32_e32 v27, 0x7f800000, v26
	v_cmp_ne_u32_e32 vcc_lo, 0x7f800000, v27
                                        ; implicit-def: $vgpr27
	s_and_saveexec_b32 s2, vcc_lo
	s_xor_b32 s2, exec_lo, s2
; %bb.13:
	v_bfe_u32 v27, v26, 16, 1
	v_add3_u32 v27, v26, v27, 0x7fff
                                        ; implicit-def: $vgpr26
; %bb.14:
	s_andn2_saveexec_b32 s2, s2
; %bb.15:
	v_mov_b32_e32 v27, 0
	v_or_b32_e32 v28, 0x10000, v26
	v_cmp_eq_u32_sdwa vcc_lo, v26, v27 src0_sel:WORD_0 src1_sel:DWORD
	v_cndmask_b32_e32 v27, v28, v26, vcc_lo
; %bb.16:
	s_or_b32 exec_lo, exec_lo, s2
	v_mul_f32_e32 v26, s4, v18
	global_store_short_d16_hi v[4:5], v27, off offset:64
	v_and_b32_e32 v28, 0x7f800000, v26
	v_cmp_ne_u32_e32 vcc_lo, 0x7f800000, v28
                                        ; implicit-def: $vgpr28
	s_and_saveexec_b32 s2, vcc_lo
	s_xor_b32 s2, exec_lo, s2
; %bb.17:
	v_bfe_u32 v27, v26, 16, 1
	v_add3_u32 v28, v26, v27, 0x7fff
                                        ; implicit-def: $vgpr26
; %bb.18:
	s_andn2_saveexec_b32 s2, s2
; %bb.19:
	v_mov_b32_e32 v27, 0
	v_or_b32_e32 v28, 0x10000, v26
	v_cmp_eq_u32_sdwa vcc_lo, v26, v27 src0_sel:WORD_0 src1_sel:DWORD
	v_cndmask_b32_e32 v28, v28, v26, vcc_lo
; %bb.20:
	s_or_b32 exec_lo, exec_lo, s2
	v_mul_f32_e32 v27, s4, v17
	global_store_short_d16_hi v[4:5], v28, off offset:96
	v_and_b32_e32 v26, 0x7f800000, v27
	v_cmp_ne_u32_e32 vcc_lo, 0x7f800000, v26
                                        ; implicit-def: $vgpr26
	s_and_saveexec_b32 s2, vcc_lo
	s_xor_b32 s2, exec_lo, s2
; %bb.21:
	v_bfe_u32 v4, v27, 16, 1
	v_add3_u32 v26, v27, v4, 0x7fff
                                        ; implicit-def: $vgpr27
; %bb.22:
	s_andn2_saveexec_b32 s2, s2
; %bb.23:
	v_mov_b32_e32 v4, 0
	v_or_b32_e32 v5, 0x10000, v27
	v_cmp_eq_u32_sdwa vcc_lo, v27, v4 src0_sel:WORD_0 src1_sel:DWORD
	v_cndmask_b32_e32 v26, v5, v27, vcc_lo
; %bb.24:
	s_or_b32 exec_lo, exec_lo, s2
	v_mul_f32_e32 v27, s4, v16
	s_lshl_b64 s[2:3], s[0:1], 5
	v_add_co_u32 v24, vcc_lo, v24, s2
	v_add_co_ci_u32_e64 v25, null, s3, v25, vcc_lo
	v_and_b32_e32 v28, 0x7f800000, v27
	v_add_co_u32 v4, vcc_lo, v24, v2
	v_add_co_ci_u32_e64 v5, null, v25, v3, vcc_lo
	v_cmp_ne_u32_e32 vcc_lo, 0x7f800000, v28
                                        ; implicit-def: $vgpr28
	global_store_short_d16_hi v[4:5], v26, off
	s_and_saveexec_b32 s2, vcc_lo
	s_xor_b32 s2, exec_lo, s2
; %bb.25:
	v_bfe_u32 v26, v27, 16, 1
	v_add3_u32 v28, v27, v26, 0x7fff
                                        ; implicit-def: $vgpr27
; %bb.26:
	s_andn2_saveexec_b32 s2, s2
; %bb.27:
	v_mov_b32_e32 v26, 0
	v_or_b32_e32 v28, 0x10000, v27
	v_cmp_eq_u32_sdwa vcc_lo, v27, v26 src0_sel:WORD_0 src1_sel:DWORD
	v_cndmask_b32_e32 v28, v28, v27, vcc_lo
; %bb.28:
	s_or_b32 exec_lo, exec_lo, s2
	v_mul_f32_e32 v26, s4, v15
	global_store_short_d16_hi v[4:5], v28, off offset:32
	v_and_b32_e32 v27, 0x7f800000, v26
	v_cmp_ne_u32_e32 vcc_lo, 0x7f800000, v27
                                        ; implicit-def: $vgpr27
	s_and_saveexec_b32 s2, vcc_lo
	s_xor_b32 s2, exec_lo, s2
; %bb.29:
	v_bfe_u32 v27, v26, 16, 1
	v_add3_u32 v27, v26, v27, 0x7fff
                                        ; implicit-def: $vgpr26
; %bb.30:
	s_andn2_saveexec_b32 s2, s2
; %bb.31:
	v_mov_b32_e32 v27, 0
	v_or_b32_e32 v28, 0x10000, v26
	v_cmp_eq_u32_sdwa vcc_lo, v26, v27 src0_sel:WORD_0 src1_sel:DWORD
	v_cndmask_b32_e32 v27, v28, v26, vcc_lo
; %bb.32:
	s_or_b32 exec_lo, exec_lo, s2
	v_mul_f32_e32 v26, s4, v14
	global_store_short_d16_hi v[4:5], v27, off offset:64
	v_and_b32_e32 v28, 0x7f800000, v26
	v_cmp_ne_u32_e32 vcc_lo, 0x7f800000, v28
                                        ; implicit-def: $vgpr28
	s_and_saveexec_b32 s2, vcc_lo
	s_xor_b32 s2, exec_lo, s2
; %bb.33:
	v_bfe_u32 v27, v26, 16, 1
	v_add3_u32 v28, v26, v27, 0x7fff
                                        ; implicit-def: $vgpr26
; %bb.34:
	s_andn2_saveexec_b32 s2, s2
; %bb.35:
	v_mov_b32_e32 v27, 0
	v_or_b32_e32 v28, 0x10000, v26
	v_cmp_eq_u32_sdwa vcc_lo, v26, v27 src0_sel:WORD_0 src1_sel:DWORD
	v_cndmask_b32_e32 v28, v28, v26, vcc_lo
; %bb.36:
	s_or_b32 exec_lo, exec_lo, s2
	v_mul_f32_e32 v27, s4, v13
	global_store_short_d16_hi v[4:5], v28, off offset:96
	v_and_b32_e32 v26, 0x7f800000, v27
	v_cmp_ne_u32_e32 vcc_lo, 0x7f800000, v26
                                        ; implicit-def: $vgpr26
	s_and_saveexec_b32 s2, vcc_lo
	s_xor_b32 s2, exec_lo, s2
; %bb.37:
	v_bfe_u32 v4, v27, 16, 1
	v_add3_u32 v26, v27, v4, 0x7fff
                                        ; implicit-def: $vgpr27
; %bb.38:
	s_or_saveexec_b32 s7, s2
	s_lshl_b64 s[2:3], s[0:1], 4
	s_xor_b32 exec_lo, exec_lo, s7
; %bb.39:
	v_mov_b32_e32 v4, 0
	v_or_b32_e32 v5, 0x10000, v27
	v_cmp_eq_u32_sdwa vcc_lo, v27, v4 src0_sel:WORD_0 src1_sel:DWORD
	v_cndmask_b32_e32 v26, v5, v27, vcc_lo
; %bb.40:
	s_or_b32 exec_lo, exec_lo, s7
	v_mul_f32_e32 v27, s4, v12
	s_lshl_b64 s[2:3], s[2:3], 1
	v_add_co_u32 v24, vcc_lo, v24, s2
	v_add_co_ci_u32_e64 v25, null, s3, v25, vcc_lo
	v_and_b32_e32 v28, 0x7f800000, v27
	v_add_co_u32 v4, vcc_lo, v24, v2
	v_add_co_ci_u32_e64 v5, null, v25, v3, vcc_lo
	v_cmp_ne_u32_e32 vcc_lo, 0x7f800000, v28
                                        ; implicit-def: $vgpr28
	global_store_short_d16_hi v[4:5], v26, off
	s_and_saveexec_b32 s7, vcc_lo
	s_xor_b32 s7, exec_lo, s7
; %bb.41:
	v_bfe_u32 v26, v27, 16, 1
	v_add3_u32 v28, v27, v26, 0x7fff
                                        ; implicit-def: $vgpr27
; %bb.42:
	s_andn2_saveexec_b32 s7, s7
; %bb.43:
	v_mov_b32_e32 v26, 0
	v_or_b32_e32 v28, 0x10000, v27
	v_cmp_eq_u32_sdwa vcc_lo, v27, v26 src0_sel:WORD_0 src1_sel:DWORD
	v_cndmask_b32_e32 v28, v28, v27, vcc_lo
; %bb.44:
	s_or_b32 exec_lo, exec_lo, s7
	v_mul_f32_e32 v26, s4, v11
	global_store_short_d16_hi v[4:5], v28, off offset:32
	v_and_b32_e32 v27, 0x7f800000, v26
	v_cmp_ne_u32_e32 vcc_lo, 0x7f800000, v27
                                        ; implicit-def: $vgpr27
	s_and_saveexec_b32 s7, vcc_lo
	s_xor_b32 s7, exec_lo, s7
; %bb.45:
	v_bfe_u32 v27, v26, 16, 1
	v_add3_u32 v27, v26, v27, 0x7fff
                                        ; implicit-def: $vgpr26
; %bb.46:
	s_andn2_saveexec_b32 s7, s7
; %bb.47:
	v_mov_b32_e32 v27, 0
	v_or_b32_e32 v28, 0x10000, v26
	v_cmp_eq_u32_sdwa vcc_lo, v26, v27 src0_sel:WORD_0 src1_sel:DWORD
	v_cndmask_b32_e32 v27, v28, v26, vcc_lo
; %bb.48:
	s_or_b32 exec_lo, exec_lo, s7
	v_mul_f32_e32 v26, s4, v10
	s_mov_b32 s7, exec_lo
	global_store_short_d16_hi v[4:5], v27, off offset:64
                                        ; implicit-def: $vgpr27
	v_and_b32_e32 v28, 0x7f800000, v26
	v_cmpx_ne_u32_e32 0x7f800000, v28
	s_xor_b32 s7, exec_lo, s7
; %bb.49:
	v_bfe_u32 v27, v26, 16, 1
	v_add3_u32 v27, v26, v27, 0x7fff
                                        ; implicit-def: $vgpr26
; %bb.50:
	s_andn2_saveexec_b32 s7, s7
; %bb.51:
	v_mov_b32_e32 v27, 0
	v_or_b32_e32 v28, 0x10000, v26
	v_cmp_eq_u32_sdwa vcc_lo, v26, v27 src0_sel:WORD_0 src1_sel:DWORD
	v_cndmask_b32_e32 v27, v28, v26, vcc_lo
; %bb.52:
	s_or_b32 exec_lo, exec_lo, s7
	v_mul_f32_e32 v26, s4, v9
	s_mov_b32 s7, exec_lo
	global_store_short_d16_hi v[4:5], v27, off offset:96
                                        ; implicit-def: $vgpr4
	v_and_b32_e32 v28, 0x7f800000, v26
	v_cmpx_ne_u32_e32 0x7f800000, v28
	s_xor_b32 s7, exec_lo, s7
; %bb.53:
	v_bfe_u32 v4, v26, 16, 1
	v_add3_u32 v4, v26, v4, 0x7fff
                                        ; implicit-def: $vgpr26
; %bb.54:
	s_andn2_saveexec_b32 s7, s7
; %bb.55:
	v_mov_b32_e32 v4, 0
	v_or_b32_e32 v5, 0x10000, v26
	v_cmp_eq_u32_sdwa vcc_lo, v26, v4 src0_sel:WORD_0 src1_sel:DWORD
	v_cndmask_b32_e32 v4, v5, v26, vcc_lo
; %bb.56:
	s_or_b32 exec_lo, exec_lo, s7
	v_add_co_u32 v24, vcc_lo, v24, s2
	v_mul_f32_e32 v5, s4, v8
	v_add_co_ci_u32_e64 v25, null, s3, v25, vcc_lo
	v_add_co_u32 v2, vcc_lo, v24, v2
	v_and_b32_e32 v26, 0x7f800000, v5
	v_add_co_ci_u32_e64 v3, null, v25, v3, vcc_lo
	s_mov_b32 s2, exec_lo
                                        ; implicit-def: $vgpr24
	global_store_short_d16_hi v[2:3], v4, off
	v_cmpx_ne_u32_e32 0x7f800000, v26
	s_xor_b32 s2, exec_lo, s2
; %bb.57:
	v_bfe_u32 v4, v5, 16, 1
	v_add3_u32 v24, v5, v4, 0x7fff
                                        ; implicit-def: $vgpr5
; %bb.58:
	s_andn2_saveexec_b32 s2, s2
; %bb.59:
	v_mov_b32_e32 v4, 0
	v_or_b32_e32 v24, 0x10000, v5
	v_cmp_eq_u32_sdwa vcc_lo, v5, v4 src0_sel:WORD_0 src1_sel:DWORD
	v_cndmask_b32_e32 v24, v24, v5, vcc_lo
; %bb.60:
	s_or_b32 exec_lo, exec_lo, s2
	v_mul_f32_e32 v4, s4, v7
	global_store_short_d16_hi v[2:3], v24, off offset:32
	v_and_b32_e32 v5, 0x7f800000, v4
	v_cmp_ne_u32_e32 vcc_lo, 0x7f800000, v5
                                        ; implicit-def: $vgpr5
	s_and_saveexec_b32 s2, vcc_lo
	s_xor_b32 s2, exec_lo, s2
; %bb.61:
	v_bfe_u32 v5, v4, 16, 1
	v_add3_u32 v5, v4, v5, 0x7fff
                                        ; implicit-def: $vgpr4
; %bb.62:
	s_andn2_saveexec_b32 s2, s2
; %bb.63:
	v_mov_b32_e32 v5, 0
	v_or_b32_e32 v24, 0x10000, v4
	v_cmp_eq_u32_sdwa vcc_lo, v4, v5 src0_sel:WORD_0 src1_sel:DWORD
	v_cndmask_b32_e32 v5, v24, v4, vcc_lo
; %bb.64:
	s_or_b32 exec_lo, exec_lo, s2
	v_mul_f32_e32 v4, s4, v6
	s_mov_b32 s2, exec_lo
	global_store_short_d16_hi v[2:3], v5, off offset:64
                                        ; implicit-def: $vgpr5
	v_and_b32_e32 v24, 0x7f800000, v4
	v_cmpx_ne_u32_e32 0x7f800000, v24
	s_xor_b32 s2, exec_lo, s2
; %bb.65:
	v_bfe_u32 v5, v4, 16, 1
	v_add3_u32 v5, v4, v5, 0x7fff
                                        ; implicit-def: $vgpr4
; %bb.66:
	s_andn2_saveexec_b32 s2, s2
; %bb.67:
	v_mov_b32_e32 v5, 0
	v_or_b32_e32 v24, 0x10000, v4
	v_cmp_eq_u32_sdwa vcc_lo, v4, v5 src0_sel:WORD_0 src1_sel:DWORD
	v_cndmask_b32_e32 v5, v24, v4, vcc_lo
; %bb.68:
	s_or_b32 exec_lo, exec_lo, s2
	global_store_short_d16_hi v[2:3], v5, off offset:96
	s_branch .LBB423_197
.LBB423_69:
	v_mul_lo_u32 v4, v23, s14
	v_mul_lo_u32 v5, v22, s15
	v_mad_u64_u32 v[2:3], null, v22, s14, 0
	s_mul_i32 s3, s17, s8
	s_mul_hi_u32 s7, s16, s8
	s_mul_i32 s2, s16, s8
	s_add_i32 s3, s7, s3
	v_lshlrev_b64 v[0:1], 1, v[0:1]
	s_lshl_b64 s[2:3], s[2:3], 1
	v_add3_u32 v3, v3, v5, v4
	s_add_u32 s2, s12, s2
	s_addc_u32 s3, s13, s3
	v_lshlrev_b64 v[2:3], 1, v[2:3]
	v_add_co_u32 v24, vcc_lo, s2, v2
	v_add_co_ci_u32_e64 v25, null, s3, v3, vcc_lo
	v_add_co_u32 v2, vcc_lo, v24, v0
	v_add_co_ci_u32_e64 v3, null, v25, v1, vcc_lo
	global_load_ushort v4, v[2:3], off
	s_waitcnt vmcnt(0)
	v_lshlrev_b32_e32 v4, 16, v4
	v_mul_f32_e32 v4, s9, v4
	v_and_b32_e32 v5, 0x7f800000, v4
	v_cmp_ne_u32_e32 vcc_lo, 0x7f800000, v5
                                        ; implicit-def: $vgpr5
	s_and_saveexec_b32 s2, vcc_lo
	s_xor_b32 s2, exec_lo, s2
; %bb.70:
	v_bfe_u32 v5, v4, 16, 1
	v_add3_u32 v5, v4, v5, 0x7fff
                                        ; implicit-def: $vgpr4
; %bb.71:
	s_andn2_saveexec_b32 s2, s2
; %bb.72:
	v_mov_b32_e32 v5, 0
	v_or_b32_e32 v26, 0x10000, v4
	v_cmp_eq_u32_sdwa vcc_lo, v4, v5 src0_sel:WORD_0 src1_sel:DWORD
	v_cndmask_b32_e32 v5, v26, v4, vcc_lo
; %bb.73:
	s_or_b32 exec_lo, exec_lo, s2
	v_and_b32_e32 v4, 0xffff0000, v5
	s_mov_b32 s2, exec_lo
                                        ; implicit-def: $vgpr26
	v_fmac_f32_e32 v4, s4, v21
	v_and_b32_e32 v5, 0x7f800000, v4
	v_cmpx_ne_u32_e32 0x7f800000, v5
	s_xor_b32 s2, exec_lo, s2
; %bb.74:
	v_bfe_u32 v5, v4, 16, 1
	v_add3_u32 v26, v4, v5, 0x7fff
                                        ; implicit-def: $vgpr4
; %bb.75:
	s_andn2_saveexec_b32 s2, s2
; %bb.76:
	v_mov_b32_e32 v5, 0
	v_or_b32_e32 v21, 0x10000, v4
	v_cmp_eq_u32_sdwa vcc_lo, v4, v5 src0_sel:WORD_0 src1_sel:DWORD
	v_cndmask_b32_e32 v26, v21, v4, vcc_lo
; %bb.77:
	s_or_b32 exec_lo, exec_lo, s2
	v_mul_lo_u32 v21, v23, s0
	v_mul_lo_u32 v23, v22, s1
	v_mad_u64_u32 v[4:5], null, v22, s0, 0
	v_add3_u32 v5, v5, v23, v21
	v_lshlrev_b64 v[4:5], 1, v[4:5]
	v_add_co_u32 v21, vcc_lo, s5, v4
	v_add_co_ci_u32_e64 v22, null, s6, v5, vcc_lo
	v_add_co_u32 v4, vcc_lo, v21, v0
	v_add_co_ci_u32_e64 v5, null, v22, v1, vcc_lo
	global_store_short_d16_hi v[4:5], v26, off
	global_load_ushort v23, v[2:3], off offset:32
	s_waitcnt vmcnt(0)
	v_lshlrev_b32_e32 v23, 16, v23
	v_mul_f32_e32 v23, s9, v23
	v_and_b32_e32 v26, 0x7f800000, v23
	v_cmp_ne_u32_e32 vcc_lo, 0x7f800000, v26
                                        ; implicit-def: $vgpr26
	s_and_saveexec_b32 s2, vcc_lo
	s_xor_b32 s2, exec_lo, s2
; %bb.78:
	v_bfe_u32 v26, v23, 16, 1
	v_add3_u32 v26, v23, v26, 0x7fff
                                        ; implicit-def: $vgpr23
; %bb.79:
	s_andn2_saveexec_b32 s2, s2
; %bb.80:
	v_mov_b32_e32 v26, 0
	v_or_b32_e32 v27, 0x10000, v23
	v_cmp_eq_u32_sdwa vcc_lo, v23, v26 src0_sel:WORD_0 src1_sel:DWORD
	v_cndmask_b32_e32 v26, v27, v23, vcc_lo
; %bb.81:
	s_or_b32 exec_lo, exec_lo, s2
	v_and_b32_e32 v23, 0xffff0000, v26
	v_fmac_f32_e32 v23, s4, v20
	v_and_b32_e32 v20, 0x7f800000, v23
	v_cmp_ne_u32_e32 vcc_lo, 0x7f800000, v20
                                        ; implicit-def: $vgpr20
	s_and_saveexec_b32 s2, vcc_lo
	s_xor_b32 s2, exec_lo, s2
; %bb.82:
	v_bfe_u32 v20, v23, 16, 1
	v_add3_u32 v20, v23, v20, 0x7fff
                                        ; implicit-def: $vgpr23
; %bb.83:
	s_andn2_saveexec_b32 s2, s2
; %bb.84:
	v_mov_b32_e32 v20, 0
	v_or_b32_e32 v26, 0x10000, v23
	v_cmp_eq_u32_sdwa vcc_lo, v23, v20 src0_sel:WORD_0 src1_sel:DWORD
	v_cndmask_b32_e32 v20, v26, v23, vcc_lo
; %bb.85:
	s_or_b32 exec_lo, exec_lo, s2
	global_store_short_d16_hi v[4:5], v20, off offset:32
	global_load_ushort v20, v[2:3], off offset:64
	s_waitcnt vmcnt(0)
	v_lshlrev_b32_e32 v20, 16, v20
	v_mul_f32_e32 v20, s9, v20
	v_and_b32_e32 v23, 0x7f800000, v20
	v_cmp_ne_u32_e32 vcc_lo, 0x7f800000, v23
                                        ; implicit-def: $vgpr23
	s_and_saveexec_b32 s2, vcc_lo
	s_xor_b32 s2, exec_lo, s2
; %bb.86:
	v_bfe_u32 v23, v20, 16, 1
	v_add3_u32 v23, v20, v23, 0x7fff
                                        ; implicit-def: $vgpr20
; %bb.87:
	s_andn2_saveexec_b32 s2, s2
; %bb.88:
	v_mov_b32_e32 v23, 0
	v_or_b32_e32 v26, 0x10000, v20
	v_cmp_eq_u32_sdwa vcc_lo, v20, v23 src0_sel:WORD_0 src1_sel:DWORD
	v_cndmask_b32_e32 v23, v26, v20, vcc_lo
; %bb.89:
	s_or_b32 exec_lo, exec_lo, s2
	v_and_b32_e32 v20, 0xffff0000, v23
	v_fmac_f32_e32 v20, s4, v19
	v_and_b32_e32 v19, 0x7f800000, v20
	v_cmp_ne_u32_e32 vcc_lo, 0x7f800000, v19
                                        ; implicit-def: $vgpr19
	s_and_saveexec_b32 s2, vcc_lo
	s_xor_b32 s2, exec_lo, s2
; %bb.90:
	v_bfe_u32 v19, v20, 16, 1
	v_add3_u32 v19, v20, v19, 0x7fff
                                        ; implicit-def: $vgpr20
; %bb.91:
	s_andn2_saveexec_b32 s2, s2
; %bb.92:
	v_mov_b32_e32 v19, 0
	v_or_b32_e32 v23, 0x10000, v20
	v_cmp_eq_u32_sdwa vcc_lo, v20, v19 src0_sel:WORD_0 src1_sel:DWORD
	v_cndmask_b32_e32 v19, v23, v20, vcc_lo
; %bb.93:
	s_or_b32 exec_lo, exec_lo, s2
	global_store_short_d16_hi v[4:5], v19, off offset:64
	global_load_ushort v2, v[2:3], off offset:96
	s_waitcnt vmcnt(0)
	v_lshlrev_b32_e32 v2, 16, v2
	v_mul_f32_e32 v2, s9, v2
	v_and_b32_e32 v3, 0x7f800000, v2
	v_cmp_ne_u32_e32 vcc_lo, 0x7f800000, v3
                                        ; implicit-def: $vgpr3
	s_and_saveexec_b32 s2, vcc_lo
	s_xor_b32 s2, exec_lo, s2
; %bb.94:
	v_bfe_u32 v3, v2, 16, 1
	v_add3_u32 v3, v2, v3, 0x7fff
                                        ; implicit-def: $vgpr2
; %bb.95:
	s_andn2_saveexec_b32 s2, s2
; %bb.96:
	v_mov_b32_e32 v3, 0
	v_or_b32_e32 v19, 0x10000, v2
	v_cmp_eq_u32_sdwa vcc_lo, v2, v3 src0_sel:WORD_0 src1_sel:DWORD
	v_cndmask_b32_e32 v3, v19, v2, vcc_lo
; %bb.97:
	s_or_b32 exec_lo, exec_lo, s2
	v_and_b32_e32 v2, 0xffff0000, v3
	s_mov_b32 s2, exec_lo
	v_fmac_f32_e32 v2, s4, v18
                                        ; implicit-def: $vgpr18
	v_and_b32_e32 v3, 0x7f800000, v2
	v_cmpx_ne_u32_e32 0x7f800000, v3
	s_xor_b32 s2, exec_lo, s2
; %bb.98:
	v_bfe_u32 v3, v2, 16, 1
	v_add3_u32 v18, v2, v3, 0x7fff
                                        ; implicit-def: $vgpr2
; %bb.99:
	s_andn2_saveexec_b32 s2, s2
; %bb.100:
	v_mov_b32_e32 v3, 0
	v_or_b32_e32 v18, 0x10000, v2
	v_cmp_eq_u32_sdwa vcc_lo, v2, v3 src0_sel:WORD_0 src1_sel:DWORD
	v_cndmask_b32_e32 v18, v18, v2, vcc_lo
; %bb.101:
	s_or_b32 exec_lo, exec_lo, s2
	s_lshl_b64 s[2:3], s[14:15], 5
	global_store_short_d16_hi v[4:5], v18, off offset:96
	v_add_co_u32 v19, vcc_lo, v24, s2
	v_add_co_ci_u32_e64 v20, null, s3, v25, vcc_lo
	v_add_co_u32 v2, vcc_lo, v19, v0
	v_add_co_ci_u32_e64 v3, null, v20, v1, vcc_lo
	global_load_ushort v4, v[2:3], off
	s_waitcnt vmcnt(0)
	v_lshlrev_b32_e32 v4, 16, v4
	v_mul_f32_e32 v4, s9, v4
	v_and_b32_e32 v5, 0x7f800000, v4
	v_cmp_ne_u32_e32 vcc_lo, 0x7f800000, v5
                                        ; implicit-def: $vgpr5
	s_and_saveexec_b32 s2, vcc_lo
	s_xor_b32 s2, exec_lo, s2
; %bb.102:
	v_bfe_u32 v5, v4, 16, 1
	v_add3_u32 v5, v4, v5, 0x7fff
                                        ; implicit-def: $vgpr4
; %bb.103:
	s_andn2_saveexec_b32 s2, s2
; %bb.104:
	v_mov_b32_e32 v5, 0
	v_or_b32_e32 v18, 0x10000, v4
	v_cmp_eq_u32_sdwa vcc_lo, v4, v5 src0_sel:WORD_0 src1_sel:DWORD
	v_cndmask_b32_e32 v5, v18, v4, vcc_lo
; %bb.105:
	s_or_b32 exec_lo, exec_lo, s2
	v_and_b32_e32 v4, 0xffff0000, v5
	s_mov_b32 s2, exec_lo
                                        ; implicit-def: $vgpr23
	v_fmac_f32_e32 v4, s4, v17
	v_and_b32_e32 v5, 0x7f800000, v4
	v_cmpx_ne_u32_e32 0x7f800000, v5
	s_xor_b32 s2, exec_lo, s2
; %bb.106:
	v_bfe_u32 v5, v4, 16, 1
	v_add3_u32 v23, v4, v5, 0x7fff
                                        ; implicit-def: $vgpr4
; %bb.107:
	s_andn2_saveexec_b32 s2, s2
; %bb.108:
	v_mov_b32_e32 v5, 0
	v_or_b32_e32 v17, 0x10000, v4
	v_cmp_eq_u32_sdwa vcc_lo, v4, v5 src0_sel:WORD_0 src1_sel:DWORD
	v_cndmask_b32_e32 v23, v17, v4, vcc_lo
; %bb.109:
	s_or_b32 exec_lo, exec_lo, s2
	s_lshl_b64 s[2:3], s[0:1], 5
	v_add_co_u32 v17, vcc_lo, v21, s2
	v_add_co_ci_u32_e64 v18, null, s3, v22, vcc_lo
	v_add_co_u32 v4, vcc_lo, v17, v0
	v_add_co_ci_u32_e64 v5, null, v18, v1, vcc_lo
	global_store_short_d16_hi v[4:5], v23, off
	global_load_ushort v21, v[2:3], off offset:32
	s_waitcnt vmcnt(0)
	v_lshlrev_b32_e32 v21, 16, v21
	v_mul_f32_e32 v21, s9, v21
	v_and_b32_e32 v22, 0x7f800000, v21
	v_cmp_ne_u32_e32 vcc_lo, 0x7f800000, v22
                                        ; implicit-def: $vgpr22
	s_and_saveexec_b32 s2, vcc_lo
	s_xor_b32 s2, exec_lo, s2
; %bb.110:
	v_bfe_u32 v22, v21, 16, 1
	v_add3_u32 v22, v21, v22, 0x7fff
                                        ; implicit-def: $vgpr21
; %bb.111:
	s_andn2_saveexec_b32 s2, s2
; %bb.112:
	v_mov_b32_e32 v22, 0
	v_or_b32_e32 v23, 0x10000, v21
	v_cmp_eq_u32_sdwa vcc_lo, v21, v22 src0_sel:WORD_0 src1_sel:DWORD
	v_cndmask_b32_e32 v22, v23, v21, vcc_lo
; %bb.113:
	s_or_b32 exec_lo, exec_lo, s2
	v_and_b32_e32 v21, 0xffff0000, v22
	v_fmac_f32_e32 v21, s4, v16
	v_and_b32_e32 v16, 0x7f800000, v21
	v_cmp_ne_u32_e32 vcc_lo, 0x7f800000, v16
                                        ; implicit-def: $vgpr16
	s_and_saveexec_b32 s2, vcc_lo
	s_xor_b32 s2, exec_lo, s2
; %bb.114:
	v_bfe_u32 v16, v21, 16, 1
	v_add3_u32 v16, v21, v16, 0x7fff
                                        ; implicit-def: $vgpr21
; %bb.115:
	s_andn2_saveexec_b32 s2, s2
; %bb.116:
	v_mov_b32_e32 v16, 0
	v_or_b32_e32 v22, 0x10000, v21
	v_cmp_eq_u32_sdwa vcc_lo, v21, v16 src0_sel:WORD_0 src1_sel:DWORD
	v_cndmask_b32_e32 v16, v22, v21, vcc_lo
; %bb.117:
	s_or_b32 exec_lo, exec_lo, s2
	global_store_short_d16_hi v[4:5], v16, off offset:32
	global_load_ushort v16, v[2:3], off offset:64
	s_waitcnt vmcnt(0)
	v_lshlrev_b32_e32 v16, 16, v16
	v_mul_f32_e32 v16, s9, v16
	v_and_b32_e32 v21, 0x7f800000, v16
	v_cmp_ne_u32_e32 vcc_lo, 0x7f800000, v21
                                        ; implicit-def: $vgpr21
	s_and_saveexec_b32 s2, vcc_lo
	s_xor_b32 s2, exec_lo, s2
; %bb.118:
	v_bfe_u32 v21, v16, 16, 1
	v_add3_u32 v21, v16, v21, 0x7fff
                                        ; implicit-def: $vgpr16
; %bb.119:
	s_andn2_saveexec_b32 s2, s2
; %bb.120:
	v_mov_b32_e32 v21, 0
	v_or_b32_e32 v22, 0x10000, v16
	v_cmp_eq_u32_sdwa vcc_lo, v16, v21 src0_sel:WORD_0 src1_sel:DWORD
	v_cndmask_b32_e32 v21, v22, v16, vcc_lo
; %bb.121:
	s_or_b32 exec_lo, exec_lo, s2
	v_and_b32_e32 v16, 0xffff0000, v21
	v_fmac_f32_e32 v16, s4, v15
	v_and_b32_e32 v15, 0x7f800000, v16
	v_cmp_ne_u32_e32 vcc_lo, 0x7f800000, v15
                                        ; implicit-def: $vgpr15
	s_and_saveexec_b32 s2, vcc_lo
	s_xor_b32 s2, exec_lo, s2
; %bb.122:
	v_bfe_u32 v15, v16, 16, 1
	v_add3_u32 v15, v16, v15, 0x7fff
                                        ; implicit-def: $vgpr16
; %bb.123:
	s_andn2_saveexec_b32 s2, s2
; %bb.124:
	v_mov_b32_e32 v15, 0
	v_or_b32_e32 v21, 0x10000, v16
	v_cmp_eq_u32_sdwa vcc_lo, v16, v15 src0_sel:WORD_0 src1_sel:DWORD
	v_cndmask_b32_e32 v15, v21, v16, vcc_lo
; %bb.125:
	s_or_b32 exec_lo, exec_lo, s2
	global_store_short_d16_hi v[4:5], v15, off offset:64
	global_load_ushort v2, v[2:3], off offset:96
	s_waitcnt vmcnt(0)
	v_lshlrev_b32_e32 v2, 16, v2
	v_mul_f32_e32 v2, s9, v2
	v_and_b32_e32 v3, 0x7f800000, v2
	v_cmp_ne_u32_e32 vcc_lo, 0x7f800000, v3
                                        ; implicit-def: $vgpr3
	s_and_saveexec_b32 s2, vcc_lo
	s_xor_b32 s2, exec_lo, s2
; %bb.126:
	v_bfe_u32 v3, v2, 16, 1
	v_add3_u32 v3, v2, v3, 0x7fff
                                        ; implicit-def: $vgpr2
; %bb.127:
	s_andn2_saveexec_b32 s2, s2
; %bb.128:
	v_mov_b32_e32 v3, 0
	v_or_b32_e32 v15, 0x10000, v2
	v_cmp_eq_u32_sdwa vcc_lo, v2, v3 src0_sel:WORD_0 src1_sel:DWORD
	v_cndmask_b32_e32 v3, v15, v2, vcc_lo
; %bb.129:
	s_or_b32 exec_lo, exec_lo, s2
	v_and_b32_e32 v2, 0xffff0000, v3
	s_mov_b32 s2, exec_lo
                                        ; implicit-def: $vgpr16
	v_fmac_f32_e32 v2, s4, v14
	v_and_b32_e32 v3, 0x7f800000, v2
	v_cmpx_ne_u32_e32 0x7f800000, v3
	s_xor_b32 s2, exec_lo, s2
; %bb.130:
	v_bfe_u32 v3, v2, 16, 1
	v_add3_u32 v16, v2, v3, 0x7fff
                                        ; implicit-def: $vgpr2
; %bb.131:
	s_or_saveexec_b32 s5, s2
	s_lshl_b64 s[2:3], s[14:15], 4
	s_xor_b32 exec_lo, exec_lo, s5
; %bb.132:
	v_mov_b32_e32 v3, 0
	v_or_b32_e32 v14, 0x10000, v2
	v_cmp_eq_u32_sdwa vcc_lo, v2, v3 src0_sel:WORD_0 src1_sel:DWORD
	v_cndmask_b32_e32 v16, v14, v2, vcc_lo
; %bb.133:
	s_or_b32 exec_lo, exec_lo, s5
	s_lshl_b64 s[2:3], s[2:3], 1
	global_store_short_d16_hi v[4:5], v16, off offset:96
	v_add_co_u32 v14, vcc_lo, v19, s2
	v_add_co_ci_u32_e64 v15, null, s3, v20, vcc_lo
	v_add_co_u32 v2, vcc_lo, v14, v0
	v_add_co_ci_u32_e64 v3, null, v15, v1, vcc_lo
	global_load_ushort v4, v[2:3], off
	s_waitcnt vmcnt(0)
	v_lshlrev_b32_e32 v4, 16, v4
	v_mul_f32_e32 v4, s9, v4
	v_and_b32_e32 v5, 0x7f800000, v4
	v_cmp_ne_u32_e32 vcc_lo, 0x7f800000, v5
                                        ; implicit-def: $vgpr5
	s_and_saveexec_b32 s5, vcc_lo
	s_xor_b32 s5, exec_lo, s5
; %bb.134:
	v_bfe_u32 v5, v4, 16, 1
	v_add3_u32 v5, v4, v5, 0x7fff
                                        ; implicit-def: $vgpr4
; %bb.135:
	s_andn2_saveexec_b32 s5, s5
; %bb.136:
	v_mov_b32_e32 v5, 0
	v_or_b32_e32 v16, 0x10000, v4
	v_cmp_eq_u32_sdwa vcc_lo, v4, v5 src0_sel:WORD_0 src1_sel:DWORD
	v_cndmask_b32_e32 v5, v16, v4, vcc_lo
; %bb.137:
	s_or_b32 exec_lo, exec_lo, s5
	v_and_b32_e32 v4, 0xffff0000, v5
	s_mov_b32 s5, exec_lo
                                        ; implicit-def: $vgpr19
	v_fmac_f32_e32 v4, s4, v13
	v_and_b32_e32 v5, 0x7f800000, v4
	v_cmpx_ne_u32_e32 0x7f800000, v5
	s_xor_b32 s5, exec_lo, s5
; %bb.138:
	v_bfe_u32 v5, v4, 16, 1
	v_add3_u32 v19, v4, v5, 0x7fff
                                        ; implicit-def: $vgpr4
; %bb.139:
	s_or_saveexec_b32 s5, s5
	s_lshl_b64 s[0:1], s[0:1], 4
	s_xor_b32 exec_lo, exec_lo, s5
; %bb.140:
	v_mov_b32_e32 v5, 0
	v_or_b32_e32 v13, 0x10000, v4
	v_cmp_eq_u32_sdwa vcc_lo, v4, v5 src0_sel:WORD_0 src1_sel:DWORD
	v_cndmask_b32_e32 v19, v13, v4, vcc_lo
; %bb.141:
	s_or_b32 exec_lo, exec_lo, s5
	s_lshl_b64 s[0:1], s[0:1], 1
	v_add_co_u32 v13, vcc_lo, v17, s0
	v_add_co_ci_u32_e64 v16, null, s1, v18, vcc_lo
	v_add_co_u32 v4, vcc_lo, v13, v0
	v_add_co_ci_u32_e64 v5, null, v16, v1, vcc_lo
	global_store_short_d16_hi v[4:5], v19, off
	global_load_ushort v17, v[2:3], off offset:32
	s_waitcnt vmcnt(0)
	v_lshlrev_b32_e32 v17, 16, v17
	v_mul_f32_e32 v17, s9, v17
	v_and_b32_e32 v18, 0x7f800000, v17
	v_cmp_ne_u32_e32 vcc_lo, 0x7f800000, v18
                                        ; implicit-def: $vgpr18
	s_and_saveexec_b32 s5, vcc_lo
	s_xor_b32 s5, exec_lo, s5
; %bb.142:
	v_bfe_u32 v18, v17, 16, 1
	v_add3_u32 v18, v17, v18, 0x7fff
                                        ; implicit-def: $vgpr17
; %bb.143:
	s_andn2_saveexec_b32 s5, s5
; %bb.144:
	v_mov_b32_e32 v18, 0
	v_or_b32_e32 v19, 0x10000, v17
	v_cmp_eq_u32_sdwa vcc_lo, v17, v18 src0_sel:WORD_0 src1_sel:DWORD
	v_cndmask_b32_e32 v18, v19, v17, vcc_lo
; %bb.145:
	s_or_b32 exec_lo, exec_lo, s5
	v_and_b32_e32 v17, 0xffff0000, v18
	v_fmac_f32_e32 v17, s4, v12
	v_and_b32_e32 v12, 0x7f800000, v17
	v_cmp_ne_u32_e32 vcc_lo, 0x7f800000, v12
                                        ; implicit-def: $vgpr12
	s_and_saveexec_b32 s5, vcc_lo
	s_xor_b32 s5, exec_lo, s5
; %bb.146:
	v_bfe_u32 v12, v17, 16, 1
	v_add3_u32 v12, v17, v12, 0x7fff
                                        ; implicit-def: $vgpr17
; %bb.147:
	s_andn2_saveexec_b32 s5, s5
; %bb.148:
	v_mov_b32_e32 v12, 0
	v_or_b32_e32 v18, 0x10000, v17
	v_cmp_eq_u32_sdwa vcc_lo, v17, v12 src0_sel:WORD_0 src1_sel:DWORD
	v_cndmask_b32_e32 v12, v18, v17, vcc_lo
; %bb.149:
	s_or_b32 exec_lo, exec_lo, s5
	global_store_short_d16_hi v[4:5], v12, off offset:32
	global_load_ushort v12, v[2:3], off offset:64
	s_waitcnt vmcnt(0)
	v_lshlrev_b32_e32 v12, 16, v12
	v_mul_f32_e32 v12, s9, v12
	v_and_b32_e32 v17, 0x7f800000, v12
	v_cmp_ne_u32_e32 vcc_lo, 0x7f800000, v17
                                        ; implicit-def: $vgpr17
	s_and_saveexec_b32 s5, vcc_lo
	s_xor_b32 s5, exec_lo, s5
; %bb.150:
	v_bfe_u32 v17, v12, 16, 1
	v_add3_u32 v17, v12, v17, 0x7fff
                                        ; implicit-def: $vgpr12
; %bb.151:
	s_andn2_saveexec_b32 s5, s5
; %bb.152:
	v_mov_b32_e32 v17, 0
	v_or_b32_e32 v18, 0x10000, v12
	v_cmp_eq_u32_sdwa vcc_lo, v12, v17 src0_sel:WORD_0 src1_sel:DWORD
	v_cndmask_b32_e32 v17, v18, v12, vcc_lo
; %bb.153:
	s_or_b32 exec_lo, exec_lo, s5
	v_and_b32_e32 v12, 0xffff0000, v17
	v_fmac_f32_e32 v12, s4, v11
	v_and_b32_e32 v11, 0x7f800000, v12
	v_cmp_ne_u32_e32 vcc_lo, 0x7f800000, v11
                                        ; implicit-def: $vgpr11
	s_and_saveexec_b32 s5, vcc_lo
	s_xor_b32 s5, exec_lo, s5
; %bb.154:
	v_bfe_u32 v11, v12, 16, 1
	v_add3_u32 v11, v12, v11, 0x7fff
                                        ; implicit-def: $vgpr12
; %bb.155:
	s_andn2_saveexec_b32 s5, s5
; %bb.156:
	v_mov_b32_e32 v11, 0
	v_or_b32_e32 v17, 0x10000, v12
	v_cmp_eq_u32_sdwa vcc_lo, v12, v11 src0_sel:WORD_0 src1_sel:DWORD
	v_cndmask_b32_e32 v11, v17, v12, vcc_lo
; %bb.157:
	s_or_b32 exec_lo, exec_lo, s5
	global_store_short_d16_hi v[4:5], v11, off offset:64
	global_load_ushort v2, v[2:3], off offset:96
	s_waitcnt vmcnt(0)
	v_lshlrev_b32_e32 v2, 16, v2
	v_mul_f32_e32 v2, s9, v2
	v_and_b32_e32 v3, 0x7f800000, v2
	v_cmp_ne_u32_e32 vcc_lo, 0x7f800000, v3
                                        ; implicit-def: $vgpr3
	s_and_saveexec_b32 s5, vcc_lo
	s_xor_b32 s5, exec_lo, s5
; %bb.158:
	v_bfe_u32 v3, v2, 16, 1
	v_add3_u32 v3, v2, v3, 0x7fff
                                        ; implicit-def: $vgpr2
; %bb.159:
	s_andn2_saveexec_b32 s5, s5
; %bb.160:
	v_mov_b32_e32 v3, 0
	v_or_b32_e32 v11, 0x10000, v2
	v_cmp_eq_u32_sdwa vcc_lo, v2, v3 src0_sel:WORD_0 src1_sel:DWORD
	v_cndmask_b32_e32 v3, v11, v2, vcc_lo
; %bb.161:
	s_or_b32 exec_lo, exec_lo, s5
	v_and_b32_e32 v2, 0xffff0000, v3
	s_mov_b32 s5, exec_lo
	v_fmac_f32_e32 v2, s4, v10
                                        ; implicit-def: $vgpr10
	v_and_b32_e32 v3, 0x7f800000, v2
	v_cmpx_ne_u32_e32 0x7f800000, v3
	s_xor_b32 s5, exec_lo, s5
; %bb.162:
	v_bfe_u32 v3, v2, 16, 1
	v_add3_u32 v10, v2, v3, 0x7fff
                                        ; implicit-def: $vgpr2
; %bb.163:
	s_andn2_saveexec_b32 s5, s5
; %bb.164:
	v_mov_b32_e32 v3, 0
	v_or_b32_e32 v10, 0x10000, v2
	v_cmp_eq_u32_sdwa vcc_lo, v2, v3 src0_sel:WORD_0 src1_sel:DWORD
	v_cndmask_b32_e32 v10, v10, v2, vcc_lo
; %bb.165:
	s_or_b32 exec_lo, exec_lo, s5
	v_add_co_u32 v2, vcc_lo, v14, s2
	v_add_co_ci_u32_e64 v3, null, s3, v15, vcc_lo
	global_store_short_d16_hi v[4:5], v10, off offset:96
	v_add_co_u32 v2, vcc_lo, v2, v0
	v_add_co_ci_u32_e64 v3, null, v3, v1, vcc_lo
	global_load_ushort v4, v[2:3], off
	s_waitcnt vmcnt(0)
	v_lshlrev_b32_e32 v4, 16, v4
	v_mul_f32_e32 v4, s9, v4
	v_and_b32_e32 v5, 0x7f800000, v4
	v_cmp_ne_u32_e32 vcc_lo, 0x7f800000, v5
                                        ; implicit-def: $vgpr5
	s_and_saveexec_b32 s2, vcc_lo
	s_xor_b32 s2, exec_lo, s2
; %bb.166:
	v_bfe_u32 v5, v4, 16, 1
	v_add3_u32 v5, v4, v5, 0x7fff
                                        ; implicit-def: $vgpr4
; %bb.167:
	s_andn2_saveexec_b32 s2, s2
; %bb.168:
	v_mov_b32_e32 v5, 0
	v_or_b32_e32 v10, 0x10000, v4
	v_cmp_eq_u32_sdwa vcc_lo, v4, v5 src0_sel:WORD_0 src1_sel:DWORD
	v_cndmask_b32_e32 v5, v10, v4, vcc_lo
; %bb.169:
	s_or_b32 exec_lo, exec_lo, s2
	v_and_b32_e32 v5, 0xffff0000, v5
	v_fmac_f32_e32 v5, s4, v9
	v_and_b32_e32 v4, 0x7f800000, v5
	v_cmp_ne_u32_e32 vcc_lo, 0x7f800000, v4
                                        ; implicit-def: $vgpr4
	s_and_saveexec_b32 s2, vcc_lo
	s_xor_b32 s2, exec_lo, s2
; %bb.170:
	v_bfe_u32 v4, v5, 16, 1
	v_add3_u32 v4, v5, v4, 0x7fff
                                        ; implicit-def: $vgpr5
; %bb.171:
	s_andn2_saveexec_b32 s2, s2
; %bb.172:
	v_mov_b32_e32 v4, 0
	v_or_b32_e32 v9, 0x10000, v5
	v_cmp_eq_u32_sdwa vcc_lo, v5, v4 src0_sel:WORD_0 src1_sel:DWORD
	v_cndmask_b32_e32 v4, v9, v5, vcc_lo
; %bb.173:
	s_or_b32 exec_lo, exec_lo, s2
	v_add_co_u32 v5, vcc_lo, v13, s0
	v_add_co_ci_u32_e64 v9, null, s1, v16, vcc_lo
	v_add_co_u32 v0, vcc_lo, v5, v0
	v_add_co_ci_u32_e64 v1, null, v9, v1, vcc_lo
	global_store_short_d16_hi v[0:1], v4, off
	global_load_ushort v4, v[2:3], off offset:32
	s_waitcnt vmcnt(0)
	v_lshlrev_b32_e32 v4, 16, v4
	v_mul_f32_e32 v4, s9, v4
	v_and_b32_e32 v5, 0x7f800000, v4
	v_cmp_ne_u32_e32 vcc_lo, 0x7f800000, v5
                                        ; implicit-def: $vgpr5
	s_and_saveexec_b32 s0, vcc_lo
	s_xor_b32 s0, exec_lo, s0
; %bb.174:
	v_bfe_u32 v5, v4, 16, 1
	v_add3_u32 v5, v4, v5, 0x7fff
                                        ; implicit-def: $vgpr4
; %bb.175:
	s_andn2_saveexec_b32 s0, s0
; %bb.176:
	v_mov_b32_e32 v5, 0
	v_or_b32_e32 v9, 0x10000, v4
	v_cmp_eq_u32_sdwa vcc_lo, v4, v5 src0_sel:WORD_0 src1_sel:DWORD
	v_cndmask_b32_e32 v5, v9, v4, vcc_lo
; %bb.177:
	s_or_b32 exec_lo, exec_lo, s0
	v_and_b32_e32 v4, 0xffff0000, v5
	v_fmac_f32_e32 v4, s4, v8
	v_and_b32_e32 v5, 0x7f800000, v4
	v_cmp_ne_u32_e32 vcc_lo, 0x7f800000, v5
                                        ; implicit-def: $vgpr5
	s_and_saveexec_b32 s0, vcc_lo
	s_xor_b32 s0, exec_lo, s0
; %bb.178:
	v_bfe_u32 v5, v4, 16, 1
	v_add3_u32 v5, v4, v5, 0x7fff
                                        ; implicit-def: $vgpr4
; %bb.179:
	s_andn2_saveexec_b32 s0, s0
; %bb.180:
	v_mov_b32_e32 v5, 0
	v_or_b32_e32 v8, 0x10000, v4
	v_cmp_eq_u32_sdwa vcc_lo, v4, v5 src0_sel:WORD_0 src1_sel:DWORD
	v_cndmask_b32_e32 v5, v8, v4, vcc_lo
; %bb.181:
	s_or_b32 exec_lo, exec_lo, s0
	global_store_short_d16_hi v[0:1], v5, off offset:32
	global_load_ushort v4, v[2:3], off offset:64
	s_waitcnt vmcnt(0)
	v_lshlrev_b32_e32 v4, 16, v4
	v_mul_f32_e32 v4, s9, v4
	v_and_b32_e32 v5, 0x7f800000, v4
	v_cmp_ne_u32_e32 vcc_lo, 0x7f800000, v5
                                        ; implicit-def: $vgpr5
	s_and_saveexec_b32 s0, vcc_lo
	s_xor_b32 s0, exec_lo, s0
; %bb.182:
	v_bfe_u32 v5, v4, 16, 1
	v_add3_u32 v5, v4, v5, 0x7fff
                                        ; implicit-def: $vgpr4
; %bb.183:
	s_andn2_saveexec_b32 s0, s0
; %bb.184:
	v_mov_b32_e32 v5, 0
	v_or_b32_e32 v8, 0x10000, v4
	v_cmp_eq_u32_sdwa vcc_lo, v4, v5 src0_sel:WORD_0 src1_sel:DWORD
	v_cndmask_b32_e32 v5, v8, v4, vcc_lo
; %bb.185:
	s_or_b32 exec_lo, exec_lo, s0
	v_and_b32_e32 v4, 0xffff0000, v5
	v_fmac_f32_e32 v4, s4, v7
	v_and_b32_e32 v5, 0x7f800000, v4
	v_cmp_ne_u32_e32 vcc_lo, 0x7f800000, v5
                                        ; implicit-def: $vgpr5
	s_and_saveexec_b32 s0, vcc_lo
	s_xor_b32 s0, exec_lo, s0
; %bb.186:
	v_bfe_u32 v5, v4, 16, 1
	v_add3_u32 v5, v4, v5, 0x7fff
                                        ; implicit-def: $vgpr4
; %bb.187:
	s_andn2_saveexec_b32 s0, s0
; %bb.188:
	v_mov_b32_e32 v5, 0
	v_or_b32_e32 v7, 0x10000, v4
	v_cmp_eq_u32_sdwa vcc_lo, v4, v5 src0_sel:WORD_0 src1_sel:DWORD
	v_cndmask_b32_e32 v5, v7, v4, vcc_lo
; %bb.189:
	s_or_b32 exec_lo, exec_lo, s0
	global_store_short_d16_hi v[0:1], v5, off offset:64
	global_load_ushort v2, v[2:3], off offset:96
	s_waitcnt vmcnt(0)
	v_lshlrev_b32_e32 v2, 16, v2
	v_mul_f32_e32 v2, s9, v2
	v_and_b32_e32 v3, 0x7f800000, v2
	v_cmp_ne_u32_e32 vcc_lo, 0x7f800000, v3
                                        ; implicit-def: $vgpr3
	s_and_saveexec_b32 s0, vcc_lo
	s_xor_b32 s0, exec_lo, s0
; %bb.190:
	v_bfe_u32 v3, v2, 16, 1
	v_add3_u32 v3, v2, v3, 0x7fff
                                        ; implicit-def: $vgpr2
; %bb.191:
	s_andn2_saveexec_b32 s0, s0
; %bb.192:
	v_mov_b32_e32 v3, 0
	v_or_b32_e32 v4, 0x10000, v2
	v_cmp_eq_u32_sdwa vcc_lo, v2, v3 src0_sel:WORD_0 src1_sel:DWORD
	v_cndmask_b32_e32 v3, v4, v2, vcc_lo
; %bb.193:
	s_or_b32 exec_lo, exec_lo, s0
	v_and_b32_e32 v2, 0xffff0000, v3
	v_fmac_f32_e32 v2, s4, v6
	v_and_b32_e32 v3, 0x7f800000, v2
	v_cmp_ne_u32_e32 vcc_lo, 0x7f800000, v3
                                        ; implicit-def: $vgpr3
	s_and_saveexec_b32 s0, vcc_lo
	s_xor_b32 s0, exec_lo, s0
	s_cbranch_execnz .LBB423_198
; %bb.194:
	s_andn2_saveexec_b32 s0, s0
	s_cbranch_execnz .LBB423_199
.LBB423_195:
	s_or_b32 exec_lo, exec_lo, s0
	global_store_short_d16_hi v[0:1], v3, off offset:96
	s_endpgm
.LBB423_196:
	s_cbranch_execnz .LBB423_69
.LBB423_197:
	s_endpgm
.LBB423_198:
	v_bfe_u32 v3, v2, 16, 1
	v_add3_u32 v3, v2, v3, 0x7fff
                                        ; implicit-def: $vgpr2
	s_andn2_saveexec_b32 s0, s0
	s_cbranch_execz .LBB423_195
.LBB423_199:
	v_mov_b32_e32 v3, 0
	v_or_b32_e32 v4, 0x10000, v2
	v_cmp_eq_u32_sdwa vcc_lo, v2, v3 src0_sel:WORD_0 src1_sel:DWORD
	v_cndmask_b32_e32 v3, v4, v2, vcc_lo
	s_or_b32 exec_lo, exec_lo, s0
	global_store_short_d16_hi v[0:1], v3, off offset:96
	s_endpgm
	.section	.rodata,"a",@progbits
	.p2align	6, 0x0
	.amdhsa_kernel _ZN12_GLOBAL__N_127rocblas_gemm_batched_kernelIfLi16ELi16ELi64ELi64ELi4ELi64ELi4ELi4ELi64ELc67ELc78EK16rocblas_bfloat16S2_S1_EEvlllT_PT11_llS5_llS3_PT12_llPT13_lli
		.amdhsa_group_segment_fixed_size 2048
		.amdhsa_private_segment_fixed_size 0
		.amdhsa_kernarg_size 140
		.amdhsa_user_sgpr_count 6
		.amdhsa_user_sgpr_private_segment_buffer 1
		.amdhsa_user_sgpr_dispatch_ptr 0
		.amdhsa_user_sgpr_queue_ptr 0
		.amdhsa_user_sgpr_kernarg_segment_ptr 1
		.amdhsa_user_sgpr_dispatch_id 0
		.amdhsa_user_sgpr_flat_scratch_init 0
		.amdhsa_user_sgpr_private_segment_size 0
		.amdhsa_wavefront_size32 1
		.amdhsa_uses_dynamic_stack 0
		.amdhsa_system_sgpr_private_segment_wavefront_offset 0
		.amdhsa_system_sgpr_workgroup_id_x 1
		.amdhsa_system_sgpr_workgroup_id_y 1
		.amdhsa_system_sgpr_workgroup_id_z 1
		.amdhsa_system_sgpr_workgroup_info 0
		.amdhsa_system_vgpr_workitem_id 1
		.amdhsa_next_free_vgpr 58
		.amdhsa_next_free_sgpr 22
		.amdhsa_reserve_vcc 1
		.amdhsa_reserve_flat_scratch 0
		.amdhsa_float_round_mode_32 0
		.amdhsa_float_round_mode_16_64 0
		.amdhsa_float_denorm_mode_32 3
		.amdhsa_float_denorm_mode_16_64 3
		.amdhsa_dx10_clamp 1
		.amdhsa_ieee_mode 1
		.amdhsa_fp16_overflow 0
		.amdhsa_workgroup_processor_mode 1
		.amdhsa_memory_ordered 1
		.amdhsa_forward_progress 1
		.amdhsa_shared_vgpr_count 0
		.amdhsa_exception_fp_ieee_invalid_op 0
		.amdhsa_exception_fp_denorm_src 0
		.amdhsa_exception_fp_ieee_div_zero 0
		.amdhsa_exception_fp_ieee_overflow 0
		.amdhsa_exception_fp_ieee_underflow 0
		.amdhsa_exception_fp_ieee_inexact 0
		.amdhsa_exception_int_div_zero 0
	.end_amdhsa_kernel
	.section	.text._ZN12_GLOBAL__N_127rocblas_gemm_batched_kernelIfLi16ELi16ELi64ELi64ELi4ELi64ELi4ELi4ELi64ELc67ELc78EK16rocblas_bfloat16S2_S1_EEvlllT_PT11_llS5_llS3_PT12_llPT13_lli,"axG",@progbits,_ZN12_GLOBAL__N_127rocblas_gemm_batched_kernelIfLi16ELi16ELi64ELi64ELi4ELi64ELi4ELi4ELi64ELc67ELc78EK16rocblas_bfloat16S2_S1_EEvlllT_PT11_llS5_llS3_PT12_llPT13_lli,comdat
.Lfunc_end423:
	.size	_ZN12_GLOBAL__N_127rocblas_gemm_batched_kernelIfLi16ELi16ELi64ELi64ELi4ELi64ELi4ELi4ELi64ELc67ELc78EK16rocblas_bfloat16S2_S1_EEvlllT_PT11_llS5_llS3_PT12_llPT13_lli, .Lfunc_end423-_ZN12_GLOBAL__N_127rocblas_gemm_batched_kernelIfLi16ELi16ELi64ELi64ELi4ELi64ELi4ELi4ELi64ELc67ELc78EK16rocblas_bfloat16S2_S1_EEvlllT_PT11_llS5_llS3_PT12_llPT13_lli
                                        ; -- End function
	.set _ZN12_GLOBAL__N_127rocblas_gemm_batched_kernelIfLi16ELi16ELi64ELi64ELi4ELi64ELi4ELi4ELi64ELc67ELc78EK16rocblas_bfloat16S2_S1_EEvlllT_PT11_llS5_llS3_PT12_llPT13_lli.num_vgpr, 58
	.set _ZN12_GLOBAL__N_127rocblas_gemm_batched_kernelIfLi16ELi16ELi64ELi64ELi4ELi64ELi4ELi4ELi64ELc67ELc78EK16rocblas_bfloat16S2_S1_EEvlllT_PT11_llS5_llS3_PT12_llPT13_lli.num_agpr, 0
	.set _ZN12_GLOBAL__N_127rocblas_gemm_batched_kernelIfLi16ELi16ELi64ELi64ELi4ELi64ELi4ELi4ELi64ELc67ELc78EK16rocblas_bfloat16S2_S1_EEvlllT_PT11_llS5_llS3_PT12_llPT13_lli.numbered_sgpr, 22
	.set _ZN12_GLOBAL__N_127rocblas_gemm_batched_kernelIfLi16ELi16ELi64ELi64ELi4ELi64ELi4ELi4ELi64ELc67ELc78EK16rocblas_bfloat16S2_S1_EEvlllT_PT11_llS5_llS3_PT12_llPT13_lli.num_named_barrier, 0
	.set _ZN12_GLOBAL__N_127rocblas_gemm_batched_kernelIfLi16ELi16ELi64ELi64ELi4ELi64ELi4ELi4ELi64ELc67ELc78EK16rocblas_bfloat16S2_S1_EEvlllT_PT11_llS5_llS3_PT12_llPT13_lli.private_seg_size, 0
	.set _ZN12_GLOBAL__N_127rocblas_gemm_batched_kernelIfLi16ELi16ELi64ELi64ELi4ELi64ELi4ELi4ELi64ELc67ELc78EK16rocblas_bfloat16S2_S1_EEvlllT_PT11_llS5_llS3_PT12_llPT13_lli.uses_vcc, 1
	.set _ZN12_GLOBAL__N_127rocblas_gemm_batched_kernelIfLi16ELi16ELi64ELi64ELi4ELi64ELi4ELi4ELi64ELc67ELc78EK16rocblas_bfloat16S2_S1_EEvlllT_PT11_llS5_llS3_PT12_llPT13_lli.uses_flat_scratch, 0
	.set _ZN12_GLOBAL__N_127rocblas_gemm_batched_kernelIfLi16ELi16ELi64ELi64ELi4ELi64ELi4ELi4ELi64ELc67ELc78EK16rocblas_bfloat16S2_S1_EEvlllT_PT11_llS5_llS3_PT12_llPT13_lli.has_dyn_sized_stack, 0
	.set _ZN12_GLOBAL__N_127rocblas_gemm_batched_kernelIfLi16ELi16ELi64ELi64ELi4ELi64ELi4ELi4ELi64ELc67ELc78EK16rocblas_bfloat16S2_S1_EEvlllT_PT11_llS5_llS3_PT12_llPT13_lli.has_recursion, 0
	.set _ZN12_GLOBAL__N_127rocblas_gemm_batched_kernelIfLi16ELi16ELi64ELi64ELi4ELi64ELi4ELi4ELi64ELc67ELc78EK16rocblas_bfloat16S2_S1_EEvlllT_PT11_llS5_llS3_PT12_llPT13_lli.has_indirect_call, 0
	.section	.AMDGPU.csdata,"",@progbits
; Kernel info:
; codeLenInByte = 6256
; TotalNumSgprs: 24
; NumVgprs: 58
; ScratchSize: 0
; MemoryBound: 0
; FloatMode: 240
; IeeeMode: 1
; LDSByteSize: 2048 bytes/workgroup (compile time only)
; SGPRBlocks: 0
; VGPRBlocks: 7
; NumSGPRsForWavesPerEU: 24
; NumVGPRsForWavesPerEU: 58
; Occupancy: 16
; WaveLimiterHint : 0
; COMPUTE_PGM_RSRC2:SCRATCH_EN: 0
; COMPUTE_PGM_RSRC2:USER_SGPR: 6
; COMPUTE_PGM_RSRC2:TRAP_HANDLER: 0
; COMPUTE_PGM_RSRC2:TGID_X_EN: 1
; COMPUTE_PGM_RSRC2:TGID_Y_EN: 1
; COMPUTE_PGM_RSRC2:TGID_Z_EN: 1
; COMPUTE_PGM_RSRC2:TIDIG_COMP_CNT: 1
	.section	.text._ZN12_GLOBAL__N_127rocblas_gemm_batched_kernelIfLi16ELi16ELi64ELi64ELi4ELi64ELi4ELi4ELi64ELc67ELc84EK16rocblas_bfloat16S2_S1_EEvlllT_PT11_llS5_llS3_PT12_llPT13_lli,"axG",@progbits,_ZN12_GLOBAL__N_127rocblas_gemm_batched_kernelIfLi16ELi16ELi64ELi64ELi4ELi64ELi4ELi4ELi64ELc67ELc84EK16rocblas_bfloat16S2_S1_EEvlllT_PT11_llS5_llS3_PT12_llPT13_lli,comdat
	.globl	_ZN12_GLOBAL__N_127rocblas_gemm_batched_kernelIfLi16ELi16ELi64ELi64ELi4ELi64ELi4ELi4ELi64ELc67ELc84EK16rocblas_bfloat16S2_S1_EEvlllT_PT11_llS5_llS3_PT12_llPT13_lli ; -- Begin function _ZN12_GLOBAL__N_127rocblas_gemm_batched_kernelIfLi16ELi16ELi64ELi64ELi4ELi64ELi4ELi4ELi64ELc67ELc84EK16rocblas_bfloat16S2_S1_EEvlllT_PT11_llS5_llS3_PT12_llPT13_lli
	.p2align	8
	.type	_ZN12_GLOBAL__N_127rocblas_gemm_batched_kernelIfLi16ELi16ELi64ELi64ELi4ELi64ELi4ELi4ELi64ELc67ELc84EK16rocblas_bfloat16S2_S1_EEvlllT_PT11_llS5_llS3_PT12_llPT13_lli,@function
_ZN12_GLOBAL__N_127rocblas_gemm_batched_kernelIfLi16ELi16ELi64ELi64ELi4ELi64ELi4ELi4ELi64ELc67ELc84EK16rocblas_bfloat16S2_S1_EEvlllT_PT11_llS5_llS3_PT12_llPT13_lli: ; @_ZN12_GLOBAL__N_127rocblas_gemm_batched_kernelIfLi16ELi16ELi64ELi64ELi4ELi64ELi4ELi4ELi64ELc67ELc84EK16rocblas_bfloat16S2_S1_EEvlllT_PT11_llS5_llS3_PT12_llPT13_lli
; %bb.0:
	s_load_dwordx2 s[20:21], s[4:5], 0x10
	s_mov_b32 s0, s7
	v_mov_b32_e32 v21, 0
	v_mov_b32_e32 v20, 0
	;; [unrolled: 1-line block ×16, first 2 shown]
	s_ashr_i32 s7, s6, 31
	s_ashr_i32 s1, s0, 31
	s_waitcnt lgkmcnt(0)
	v_cmp_lt_i64_e64 s2, s[20:21], 1
	s_lshl_b64 s[6:7], s[6:7], 6
	s_lshl_b64 s[10:11], s[0:1], 6
	s_and_b32 vcc_lo, exec_lo, s2
	s_cbranch_vccnz .LBB424_3
; %bb.1:
	v_lshlrev_b32_e32 v7, 4, v1
	s_clause 0x1
	s_load_dwordx4 s[0:3], s[4:5], 0x40
	s_load_dwordx8 s[12:19], s[4:5], 0x20
	v_and_b32_e32 v8, 3, v0
	v_mov_b32_e32 v6, 0
	v_lshlrev_b32_e32 v22, 2, v0
	v_add_nc_u32_e32 v2, v7, v0
	v_add_nc_u32_e32 v23, 0x400, v7
	v_lshlrev_b32_e32 v5, 2, v8
	v_mov_b32_e32 v15, 0
	v_mov_b32_e32 v16, 0
	v_lshrrev_b32_e32 v4, 2, v2
	v_and_b32_e32 v9, 63, v2
	v_lshrrev_b32_e32 v10, 6, v2
	v_mov_b32_e32 v17, 0
	v_mov_b32_e32 v18, 0
	v_add_co_u32 v2, s9, v4, s10
	v_add_co_ci_u32_e64 v3, null, 0, s11, s9
	v_add_co_u32 v11, s9, s6, v9
	v_add_co_ci_u32_e64 v12, null, s7, 0, s9
	v_lshl_or_b32 v13, v4, 4, v5
	s_waitcnt lgkmcnt(0)
	v_mul_lo_u32 v14, s15, v11
	v_mad_u64_u32 v[4:5], null, s14, v11, 0
	v_mul_lo_u32 v12, s14, v12
	v_mad_u64_u32 v[2:3], null, s0, v8, v[2:3]
	s_mul_i32 s9, s17, s8
	s_mul_hi_u32 s15, s16, s8
	s_mul_i32 s14, s16, s8
	s_add_i32 s15, s15, s9
	v_lshlrev_b32_e32 v11, 1, v10
	v_add3_u32 v5, v5, v12, v14
	v_mad_u64_u32 v[7:8], null, s1, v8, v[3:4]
	s_lshl_b64 s[14:15], s[14:15], 1
	s_mul_i32 s3, s3, s8
	v_lshlrev_b64 v[4:5], 1, v[4:5]
	s_mul_hi_u32 s9, s2, s8
	s_mul_i32 s2, s2, s8
	s_add_i32 s3, s9, s3
	v_mov_b32_e32 v3, v7
	s_lshl_b64 s[2:3], s[2:3], 1
	v_add_co_u32 v4, vcc_lo, v4, s14
	v_add_co_ci_u32_e64 v5, null, s15, v5, vcc_lo
	v_lshlrev_b32_e32 v9, 2, v9
	v_add_co_u32 v7, vcc_lo, v4, v11
	v_add_co_ci_u32_e64 v8, null, 0, v5, vcc_lo
	v_lshlrev_b64 v[4:5], 1, v[2:3]
	v_add_co_u32 v2, vcc_lo, s12, v7
	s_add_u32 s2, s18, s2
	v_add_co_ci_u32_e64 v3, null, s13, v8, vcc_lo
	s_addc_u32 s3, s19, s3
	v_add_co_u32 v4, vcc_lo, s2, v4
	v_lshl_or_b32 v24, v10, 8, v9
	v_add_nc_u32_e32 v25, 0x400, v13
	v_add_co_ci_u32_e64 v5, null, s3, v5, vcc_lo
	v_mov_b32_e32 v7, 0
	v_mov_b32_e32 v8, 0
	;; [unrolled: 1-line block ×11, first 2 shown]
	s_lshl_b64 s[0:1], s[0:1], 3
	s_mov_b64 s[2:3], 0
.LBB424_2:                              ; =>This Inner Loop Header: Depth=1
	global_load_ushort v26, v[2:3], off
	global_load_ushort v27, v[4:5], off
	s_add_u32 s2, s2, 4
	s_addc_u32 s3, s3, 0
	v_add_co_u32 v2, vcc_lo, v2, 8
	v_cmp_lt_i64_e64 s9, s[2:3], s[20:21]
	v_add_co_ci_u32_e64 v3, null, 0, v3, vcc_lo
	v_add_co_u32 v4, vcc_lo, v4, s0
	v_add_co_ci_u32_e64 v5, null, s1, v5, vcc_lo
	s_and_b32 vcc_lo, exec_lo, s9
	s_waitcnt vmcnt(1)
	v_lshlrev_b32_e32 v26, 16, v26
	s_waitcnt vmcnt(0)
	v_lshlrev_b32_e32 v27, 16, v27
	ds_write_b32 v24, v26
	ds_write_b32 v25, v27
	s_waitcnt lgkmcnt(0)
	s_barrier
	buffer_gl0_inv
	ds_read_b128 v[26:29], v23
	ds_read2_b32 v[42:43], v22 offset1:16
	ds_read2_b32 v[44:45], v22 offset0:32 offset1:48
	ds_read_b128 v[30:33], v23 offset:256
	ds_read_b128 v[34:37], v23 offset:512
	ds_read_b128 v[38:41], v23 offset:768
	ds_read2_b32 v[46:47], v22 offset0:64 offset1:80
	ds_read2_b32 v[48:49], v22 offset0:96 offset1:112
	;; [unrolled: 1-line block ×6, first 2 shown]
	s_waitcnt lgkmcnt(0)
	s_barrier
	buffer_gl0_inv
	v_fmac_f32_e32 v21, v42, v26
	v_fmac_f32_e32 v20, v43, v26
	;; [unrolled: 1-line block ×64, first 2 shown]
	s_cbranch_vccnz .LBB424_2
.LBB424_3:
	s_clause 0x3
	s_load_dwordx4 s[0:3], s[4:5], 0x78
	s_load_dword s9, s[4:5], 0x50
	s_load_dwordx8 s[12:19], s[4:5], 0x58
	s_load_dword s4, s[4:5], 0x18
	v_add_co_u32 v22, s5, s10, v1
	v_add_co_ci_u32_e64 v23, null, s11, 0, s5
	s_waitcnt lgkmcnt(0)
	s_mul_i32 s3, s3, s8
	s_mul_hi_u32 s5, s2, s8
	s_mul_i32 s2, s2, s8
	s_add_i32 s3, s5, s3
	v_cmp_neq_f32_e64 s10, s9, 0
	v_add_co_u32 v0, s5, s6, v0
	s_lshl_b64 s[2:3], s[2:3], 1
	v_add_co_ci_u32_e64 v1, null, s7, 0, s5
	s_add_u32 s5, s18, s2
	s_addc_u32 s6, s19, s3
	s_and_b32 vcc_lo, exec_lo, s10
	s_cbranch_vccnz .LBB424_196
; %bb.4:
	v_mul_f32_e32 v2, s4, v21
	s_mov_b32 s2, exec_lo
                                        ; implicit-def: $vgpr26
	v_and_b32_e32 v3, 0x7f800000, v2
	v_cmpx_ne_u32_e32 0x7f800000, v3
	s_xor_b32 s2, exec_lo, s2
; %bb.5:
	v_bfe_u32 v3, v2, 16, 1
	v_add3_u32 v26, v2, v3, 0x7fff
                                        ; implicit-def: $vgpr2
; %bb.6:
	s_andn2_saveexec_b32 s2, s2
; %bb.7:
	v_mov_b32_e32 v3, 0
	v_or_b32_e32 v4, 0x10000, v2
	v_cmp_eq_u32_sdwa vcc_lo, v2, v3 src0_sel:WORD_0 src1_sel:DWORD
	v_cndmask_b32_e32 v26, v4, v2, vcc_lo
; %bb.8:
	s_or_b32 exec_lo, exec_lo, s2
	v_mul_lo_u32 v4, v23, s0
	v_mul_lo_u32 v5, v22, s1
	v_mad_u64_u32 v[2:3], null, v22, s0, 0
	v_mul_f32_e32 v27, s4, v20
	v_and_b32_e32 v28, 0x7f800000, v27
	v_add3_u32 v3, v3, v5, v4
	v_lshlrev_b64 v[4:5], 1, v[2:3]
	v_lshlrev_b64 v[2:3], 1, v[0:1]
	v_add_co_u32 v24, vcc_lo, s5, v4
	v_add_co_ci_u32_e64 v25, null, s6, v5, vcc_lo
	v_add_co_u32 v4, vcc_lo, v24, v2
	v_add_co_ci_u32_e64 v5, null, v25, v3, vcc_lo
	v_cmp_ne_u32_e32 vcc_lo, 0x7f800000, v28
                                        ; implicit-def: $vgpr28
	global_store_short_d16_hi v[4:5], v26, off
	s_and_saveexec_b32 s2, vcc_lo
	s_xor_b32 s2, exec_lo, s2
; %bb.9:
	v_bfe_u32 v26, v27, 16, 1
	v_add3_u32 v28, v27, v26, 0x7fff
                                        ; implicit-def: $vgpr27
; %bb.10:
	s_andn2_saveexec_b32 s2, s2
; %bb.11:
	v_mov_b32_e32 v26, 0
	v_or_b32_e32 v28, 0x10000, v27
	v_cmp_eq_u32_sdwa vcc_lo, v27, v26 src0_sel:WORD_0 src1_sel:DWORD
	v_cndmask_b32_e32 v28, v28, v27, vcc_lo
; %bb.12:
	s_or_b32 exec_lo, exec_lo, s2
	v_mul_f32_e32 v26, s4, v19
	global_store_short_d16_hi v[4:5], v28, off offset:32
	v_and_b32_e32 v27, 0x7f800000, v26
	v_cmp_ne_u32_e32 vcc_lo, 0x7f800000, v27
                                        ; implicit-def: $vgpr27
	s_and_saveexec_b32 s2, vcc_lo
	s_xor_b32 s2, exec_lo, s2
; %bb.13:
	v_bfe_u32 v27, v26, 16, 1
	v_add3_u32 v27, v26, v27, 0x7fff
                                        ; implicit-def: $vgpr26
; %bb.14:
	s_andn2_saveexec_b32 s2, s2
; %bb.15:
	v_mov_b32_e32 v27, 0
	v_or_b32_e32 v28, 0x10000, v26
	v_cmp_eq_u32_sdwa vcc_lo, v26, v27 src0_sel:WORD_0 src1_sel:DWORD
	v_cndmask_b32_e32 v27, v28, v26, vcc_lo
; %bb.16:
	s_or_b32 exec_lo, exec_lo, s2
	v_mul_f32_e32 v26, s4, v18
	global_store_short_d16_hi v[4:5], v27, off offset:64
	v_and_b32_e32 v28, 0x7f800000, v26
	v_cmp_ne_u32_e32 vcc_lo, 0x7f800000, v28
                                        ; implicit-def: $vgpr28
	s_and_saveexec_b32 s2, vcc_lo
	s_xor_b32 s2, exec_lo, s2
; %bb.17:
	v_bfe_u32 v27, v26, 16, 1
	v_add3_u32 v28, v26, v27, 0x7fff
                                        ; implicit-def: $vgpr26
; %bb.18:
	s_andn2_saveexec_b32 s2, s2
; %bb.19:
	v_mov_b32_e32 v27, 0
	v_or_b32_e32 v28, 0x10000, v26
	v_cmp_eq_u32_sdwa vcc_lo, v26, v27 src0_sel:WORD_0 src1_sel:DWORD
	v_cndmask_b32_e32 v28, v28, v26, vcc_lo
; %bb.20:
	s_or_b32 exec_lo, exec_lo, s2
	v_mul_f32_e32 v27, s4, v17
	global_store_short_d16_hi v[4:5], v28, off offset:96
	v_and_b32_e32 v26, 0x7f800000, v27
	v_cmp_ne_u32_e32 vcc_lo, 0x7f800000, v26
                                        ; implicit-def: $vgpr26
	s_and_saveexec_b32 s2, vcc_lo
	s_xor_b32 s2, exec_lo, s2
; %bb.21:
	v_bfe_u32 v4, v27, 16, 1
	v_add3_u32 v26, v27, v4, 0x7fff
                                        ; implicit-def: $vgpr27
; %bb.22:
	s_andn2_saveexec_b32 s2, s2
; %bb.23:
	v_mov_b32_e32 v4, 0
	v_or_b32_e32 v5, 0x10000, v27
	v_cmp_eq_u32_sdwa vcc_lo, v27, v4 src0_sel:WORD_0 src1_sel:DWORD
	v_cndmask_b32_e32 v26, v5, v27, vcc_lo
; %bb.24:
	s_or_b32 exec_lo, exec_lo, s2
	v_mul_f32_e32 v27, s4, v16
	s_lshl_b64 s[2:3], s[0:1], 5
	v_add_co_u32 v24, vcc_lo, v24, s2
	v_add_co_ci_u32_e64 v25, null, s3, v25, vcc_lo
	v_and_b32_e32 v28, 0x7f800000, v27
	v_add_co_u32 v4, vcc_lo, v24, v2
	v_add_co_ci_u32_e64 v5, null, v25, v3, vcc_lo
	v_cmp_ne_u32_e32 vcc_lo, 0x7f800000, v28
                                        ; implicit-def: $vgpr28
	global_store_short_d16_hi v[4:5], v26, off
	s_and_saveexec_b32 s2, vcc_lo
	s_xor_b32 s2, exec_lo, s2
; %bb.25:
	v_bfe_u32 v26, v27, 16, 1
	v_add3_u32 v28, v27, v26, 0x7fff
                                        ; implicit-def: $vgpr27
; %bb.26:
	s_andn2_saveexec_b32 s2, s2
; %bb.27:
	v_mov_b32_e32 v26, 0
	v_or_b32_e32 v28, 0x10000, v27
	v_cmp_eq_u32_sdwa vcc_lo, v27, v26 src0_sel:WORD_0 src1_sel:DWORD
	v_cndmask_b32_e32 v28, v28, v27, vcc_lo
; %bb.28:
	s_or_b32 exec_lo, exec_lo, s2
	v_mul_f32_e32 v26, s4, v15
	global_store_short_d16_hi v[4:5], v28, off offset:32
	v_and_b32_e32 v27, 0x7f800000, v26
	v_cmp_ne_u32_e32 vcc_lo, 0x7f800000, v27
                                        ; implicit-def: $vgpr27
	s_and_saveexec_b32 s2, vcc_lo
	s_xor_b32 s2, exec_lo, s2
; %bb.29:
	v_bfe_u32 v27, v26, 16, 1
	v_add3_u32 v27, v26, v27, 0x7fff
                                        ; implicit-def: $vgpr26
; %bb.30:
	s_andn2_saveexec_b32 s2, s2
; %bb.31:
	v_mov_b32_e32 v27, 0
	v_or_b32_e32 v28, 0x10000, v26
	v_cmp_eq_u32_sdwa vcc_lo, v26, v27 src0_sel:WORD_0 src1_sel:DWORD
	v_cndmask_b32_e32 v27, v28, v26, vcc_lo
; %bb.32:
	s_or_b32 exec_lo, exec_lo, s2
	v_mul_f32_e32 v26, s4, v14
	global_store_short_d16_hi v[4:5], v27, off offset:64
	v_and_b32_e32 v28, 0x7f800000, v26
	v_cmp_ne_u32_e32 vcc_lo, 0x7f800000, v28
                                        ; implicit-def: $vgpr28
	s_and_saveexec_b32 s2, vcc_lo
	s_xor_b32 s2, exec_lo, s2
; %bb.33:
	v_bfe_u32 v27, v26, 16, 1
	v_add3_u32 v28, v26, v27, 0x7fff
                                        ; implicit-def: $vgpr26
; %bb.34:
	s_andn2_saveexec_b32 s2, s2
; %bb.35:
	v_mov_b32_e32 v27, 0
	v_or_b32_e32 v28, 0x10000, v26
	v_cmp_eq_u32_sdwa vcc_lo, v26, v27 src0_sel:WORD_0 src1_sel:DWORD
	v_cndmask_b32_e32 v28, v28, v26, vcc_lo
; %bb.36:
	s_or_b32 exec_lo, exec_lo, s2
	v_mul_f32_e32 v27, s4, v13
	global_store_short_d16_hi v[4:5], v28, off offset:96
	v_and_b32_e32 v26, 0x7f800000, v27
	v_cmp_ne_u32_e32 vcc_lo, 0x7f800000, v26
                                        ; implicit-def: $vgpr26
	s_and_saveexec_b32 s2, vcc_lo
	s_xor_b32 s2, exec_lo, s2
; %bb.37:
	v_bfe_u32 v4, v27, 16, 1
	v_add3_u32 v26, v27, v4, 0x7fff
                                        ; implicit-def: $vgpr27
; %bb.38:
	s_or_saveexec_b32 s7, s2
	s_lshl_b64 s[2:3], s[0:1], 4
	s_xor_b32 exec_lo, exec_lo, s7
; %bb.39:
	v_mov_b32_e32 v4, 0
	v_or_b32_e32 v5, 0x10000, v27
	v_cmp_eq_u32_sdwa vcc_lo, v27, v4 src0_sel:WORD_0 src1_sel:DWORD
	v_cndmask_b32_e32 v26, v5, v27, vcc_lo
; %bb.40:
	s_or_b32 exec_lo, exec_lo, s7
	v_mul_f32_e32 v27, s4, v12
	s_lshl_b64 s[2:3], s[2:3], 1
	v_add_co_u32 v24, vcc_lo, v24, s2
	v_add_co_ci_u32_e64 v25, null, s3, v25, vcc_lo
	v_and_b32_e32 v28, 0x7f800000, v27
	v_add_co_u32 v4, vcc_lo, v24, v2
	v_add_co_ci_u32_e64 v5, null, v25, v3, vcc_lo
	v_cmp_ne_u32_e32 vcc_lo, 0x7f800000, v28
                                        ; implicit-def: $vgpr28
	global_store_short_d16_hi v[4:5], v26, off
	s_and_saveexec_b32 s7, vcc_lo
	s_xor_b32 s7, exec_lo, s7
; %bb.41:
	v_bfe_u32 v26, v27, 16, 1
	v_add3_u32 v28, v27, v26, 0x7fff
                                        ; implicit-def: $vgpr27
; %bb.42:
	s_andn2_saveexec_b32 s7, s7
; %bb.43:
	v_mov_b32_e32 v26, 0
	v_or_b32_e32 v28, 0x10000, v27
	v_cmp_eq_u32_sdwa vcc_lo, v27, v26 src0_sel:WORD_0 src1_sel:DWORD
	v_cndmask_b32_e32 v28, v28, v27, vcc_lo
; %bb.44:
	s_or_b32 exec_lo, exec_lo, s7
	v_mul_f32_e32 v26, s4, v11
	global_store_short_d16_hi v[4:5], v28, off offset:32
	v_and_b32_e32 v27, 0x7f800000, v26
	v_cmp_ne_u32_e32 vcc_lo, 0x7f800000, v27
                                        ; implicit-def: $vgpr27
	s_and_saveexec_b32 s7, vcc_lo
	s_xor_b32 s7, exec_lo, s7
; %bb.45:
	v_bfe_u32 v27, v26, 16, 1
	v_add3_u32 v27, v26, v27, 0x7fff
                                        ; implicit-def: $vgpr26
; %bb.46:
	s_andn2_saveexec_b32 s7, s7
; %bb.47:
	v_mov_b32_e32 v27, 0
	v_or_b32_e32 v28, 0x10000, v26
	v_cmp_eq_u32_sdwa vcc_lo, v26, v27 src0_sel:WORD_0 src1_sel:DWORD
	v_cndmask_b32_e32 v27, v28, v26, vcc_lo
; %bb.48:
	s_or_b32 exec_lo, exec_lo, s7
	v_mul_f32_e32 v26, s4, v10
	s_mov_b32 s7, exec_lo
	global_store_short_d16_hi v[4:5], v27, off offset:64
                                        ; implicit-def: $vgpr27
	v_and_b32_e32 v28, 0x7f800000, v26
	v_cmpx_ne_u32_e32 0x7f800000, v28
	s_xor_b32 s7, exec_lo, s7
; %bb.49:
	v_bfe_u32 v27, v26, 16, 1
	v_add3_u32 v27, v26, v27, 0x7fff
                                        ; implicit-def: $vgpr26
; %bb.50:
	s_andn2_saveexec_b32 s7, s7
; %bb.51:
	v_mov_b32_e32 v27, 0
	v_or_b32_e32 v28, 0x10000, v26
	v_cmp_eq_u32_sdwa vcc_lo, v26, v27 src0_sel:WORD_0 src1_sel:DWORD
	v_cndmask_b32_e32 v27, v28, v26, vcc_lo
; %bb.52:
	s_or_b32 exec_lo, exec_lo, s7
	v_mul_f32_e32 v26, s4, v9
	s_mov_b32 s7, exec_lo
	global_store_short_d16_hi v[4:5], v27, off offset:96
                                        ; implicit-def: $vgpr4
	v_and_b32_e32 v28, 0x7f800000, v26
	v_cmpx_ne_u32_e32 0x7f800000, v28
	s_xor_b32 s7, exec_lo, s7
; %bb.53:
	v_bfe_u32 v4, v26, 16, 1
	v_add3_u32 v4, v26, v4, 0x7fff
                                        ; implicit-def: $vgpr26
; %bb.54:
	s_andn2_saveexec_b32 s7, s7
; %bb.55:
	v_mov_b32_e32 v4, 0
	v_or_b32_e32 v5, 0x10000, v26
	v_cmp_eq_u32_sdwa vcc_lo, v26, v4 src0_sel:WORD_0 src1_sel:DWORD
	v_cndmask_b32_e32 v4, v5, v26, vcc_lo
; %bb.56:
	s_or_b32 exec_lo, exec_lo, s7
	v_add_co_u32 v24, vcc_lo, v24, s2
	v_mul_f32_e32 v5, s4, v8
	v_add_co_ci_u32_e64 v25, null, s3, v25, vcc_lo
	v_add_co_u32 v2, vcc_lo, v24, v2
	v_and_b32_e32 v26, 0x7f800000, v5
	v_add_co_ci_u32_e64 v3, null, v25, v3, vcc_lo
	s_mov_b32 s2, exec_lo
                                        ; implicit-def: $vgpr24
	global_store_short_d16_hi v[2:3], v4, off
	v_cmpx_ne_u32_e32 0x7f800000, v26
	s_xor_b32 s2, exec_lo, s2
; %bb.57:
	v_bfe_u32 v4, v5, 16, 1
	v_add3_u32 v24, v5, v4, 0x7fff
                                        ; implicit-def: $vgpr5
; %bb.58:
	s_andn2_saveexec_b32 s2, s2
; %bb.59:
	v_mov_b32_e32 v4, 0
	v_or_b32_e32 v24, 0x10000, v5
	v_cmp_eq_u32_sdwa vcc_lo, v5, v4 src0_sel:WORD_0 src1_sel:DWORD
	v_cndmask_b32_e32 v24, v24, v5, vcc_lo
; %bb.60:
	s_or_b32 exec_lo, exec_lo, s2
	v_mul_f32_e32 v4, s4, v7
	global_store_short_d16_hi v[2:3], v24, off offset:32
	v_and_b32_e32 v5, 0x7f800000, v4
	v_cmp_ne_u32_e32 vcc_lo, 0x7f800000, v5
                                        ; implicit-def: $vgpr5
	s_and_saveexec_b32 s2, vcc_lo
	s_xor_b32 s2, exec_lo, s2
; %bb.61:
	v_bfe_u32 v5, v4, 16, 1
	v_add3_u32 v5, v4, v5, 0x7fff
                                        ; implicit-def: $vgpr4
; %bb.62:
	s_andn2_saveexec_b32 s2, s2
; %bb.63:
	v_mov_b32_e32 v5, 0
	v_or_b32_e32 v24, 0x10000, v4
	v_cmp_eq_u32_sdwa vcc_lo, v4, v5 src0_sel:WORD_0 src1_sel:DWORD
	v_cndmask_b32_e32 v5, v24, v4, vcc_lo
; %bb.64:
	s_or_b32 exec_lo, exec_lo, s2
	v_mul_f32_e32 v4, s4, v6
	s_mov_b32 s2, exec_lo
	global_store_short_d16_hi v[2:3], v5, off offset:64
                                        ; implicit-def: $vgpr5
	v_and_b32_e32 v24, 0x7f800000, v4
	v_cmpx_ne_u32_e32 0x7f800000, v24
	s_xor_b32 s2, exec_lo, s2
; %bb.65:
	v_bfe_u32 v5, v4, 16, 1
	v_add3_u32 v5, v4, v5, 0x7fff
                                        ; implicit-def: $vgpr4
; %bb.66:
	s_andn2_saveexec_b32 s2, s2
; %bb.67:
	v_mov_b32_e32 v5, 0
	v_or_b32_e32 v24, 0x10000, v4
	v_cmp_eq_u32_sdwa vcc_lo, v4, v5 src0_sel:WORD_0 src1_sel:DWORD
	v_cndmask_b32_e32 v5, v24, v4, vcc_lo
; %bb.68:
	s_or_b32 exec_lo, exec_lo, s2
	global_store_short_d16_hi v[2:3], v5, off offset:96
	s_branch .LBB424_197
.LBB424_69:
	v_mul_lo_u32 v4, v23, s14
	v_mul_lo_u32 v5, v22, s15
	v_mad_u64_u32 v[2:3], null, v22, s14, 0
	s_mul_i32 s3, s17, s8
	s_mul_hi_u32 s7, s16, s8
	s_mul_i32 s2, s16, s8
	s_add_i32 s3, s7, s3
	v_lshlrev_b64 v[0:1], 1, v[0:1]
	s_lshl_b64 s[2:3], s[2:3], 1
	v_add3_u32 v3, v3, v5, v4
	s_add_u32 s2, s12, s2
	s_addc_u32 s3, s13, s3
	v_lshlrev_b64 v[2:3], 1, v[2:3]
	v_add_co_u32 v24, vcc_lo, s2, v2
	v_add_co_ci_u32_e64 v25, null, s3, v3, vcc_lo
	v_add_co_u32 v2, vcc_lo, v24, v0
	v_add_co_ci_u32_e64 v3, null, v25, v1, vcc_lo
	global_load_ushort v4, v[2:3], off
	s_waitcnt vmcnt(0)
	v_lshlrev_b32_e32 v4, 16, v4
	v_mul_f32_e32 v4, s9, v4
	v_and_b32_e32 v5, 0x7f800000, v4
	v_cmp_ne_u32_e32 vcc_lo, 0x7f800000, v5
                                        ; implicit-def: $vgpr5
	s_and_saveexec_b32 s2, vcc_lo
	s_xor_b32 s2, exec_lo, s2
; %bb.70:
	v_bfe_u32 v5, v4, 16, 1
	v_add3_u32 v5, v4, v5, 0x7fff
                                        ; implicit-def: $vgpr4
; %bb.71:
	s_andn2_saveexec_b32 s2, s2
; %bb.72:
	v_mov_b32_e32 v5, 0
	v_or_b32_e32 v26, 0x10000, v4
	v_cmp_eq_u32_sdwa vcc_lo, v4, v5 src0_sel:WORD_0 src1_sel:DWORD
	v_cndmask_b32_e32 v5, v26, v4, vcc_lo
; %bb.73:
	s_or_b32 exec_lo, exec_lo, s2
	v_and_b32_e32 v4, 0xffff0000, v5
	s_mov_b32 s2, exec_lo
                                        ; implicit-def: $vgpr26
	v_fmac_f32_e32 v4, s4, v21
	v_and_b32_e32 v5, 0x7f800000, v4
	v_cmpx_ne_u32_e32 0x7f800000, v5
	s_xor_b32 s2, exec_lo, s2
; %bb.74:
	v_bfe_u32 v5, v4, 16, 1
	v_add3_u32 v26, v4, v5, 0x7fff
                                        ; implicit-def: $vgpr4
; %bb.75:
	s_andn2_saveexec_b32 s2, s2
; %bb.76:
	v_mov_b32_e32 v5, 0
	v_or_b32_e32 v21, 0x10000, v4
	v_cmp_eq_u32_sdwa vcc_lo, v4, v5 src0_sel:WORD_0 src1_sel:DWORD
	v_cndmask_b32_e32 v26, v21, v4, vcc_lo
; %bb.77:
	s_or_b32 exec_lo, exec_lo, s2
	v_mul_lo_u32 v21, v23, s0
	v_mul_lo_u32 v23, v22, s1
	v_mad_u64_u32 v[4:5], null, v22, s0, 0
	v_add3_u32 v5, v5, v23, v21
	v_lshlrev_b64 v[4:5], 1, v[4:5]
	v_add_co_u32 v21, vcc_lo, s5, v4
	v_add_co_ci_u32_e64 v22, null, s6, v5, vcc_lo
	v_add_co_u32 v4, vcc_lo, v21, v0
	v_add_co_ci_u32_e64 v5, null, v22, v1, vcc_lo
	global_store_short_d16_hi v[4:5], v26, off
	global_load_ushort v23, v[2:3], off offset:32
	s_waitcnt vmcnt(0)
	v_lshlrev_b32_e32 v23, 16, v23
	v_mul_f32_e32 v23, s9, v23
	v_and_b32_e32 v26, 0x7f800000, v23
	v_cmp_ne_u32_e32 vcc_lo, 0x7f800000, v26
                                        ; implicit-def: $vgpr26
	s_and_saveexec_b32 s2, vcc_lo
	s_xor_b32 s2, exec_lo, s2
; %bb.78:
	v_bfe_u32 v26, v23, 16, 1
	v_add3_u32 v26, v23, v26, 0x7fff
                                        ; implicit-def: $vgpr23
; %bb.79:
	s_andn2_saveexec_b32 s2, s2
; %bb.80:
	v_mov_b32_e32 v26, 0
	v_or_b32_e32 v27, 0x10000, v23
	v_cmp_eq_u32_sdwa vcc_lo, v23, v26 src0_sel:WORD_0 src1_sel:DWORD
	v_cndmask_b32_e32 v26, v27, v23, vcc_lo
; %bb.81:
	s_or_b32 exec_lo, exec_lo, s2
	v_and_b32_e32 v23, 0xffff0000, v26
	v_fmac_f32_e32 v23, s4, v20
	v_and_b32_e32 v20, 0x7f800000, v23
	v_cmp_ne_u32_e32 vcc_lo, 0x7f800000, v20
                                        ; implicit-def: $vgpr20
	s_and_saveexec_b32 s2, vcc_lo
	s_xor_b32 s2, exec_lo, s2
; %bb.82:
	v_bfe_u32 v20, v23, 16, 1
	v_add3_u32 v20, v23, v20, 0x7fff
                                        ; implicit-def: $vgpr23
; %bb.83:
	s_andn2_saveexec_b32 s2, s2
; %bb.84:
	v_mov_b32_e32 v20, 0
	v_or_b32_e32 v26, 0x10000, v23
	v_cmp_eq_u32_sdwa vcc_lo, v23, v20 src0_sel:WORD_0 src1_sel:DWORD
	v_cndmask_b32_e32 v20, v26, v23, vcc_lo
; %bb.85:
	s_or_b32 exec_lo, exec_lo, s2
	global_store_short_d16_hi v[4:5], v20, off offset:32
	global_load_ushort v20, v[2:3], off offset:64
	s_waitcnt vmcnt(0)
	v_lshlrev_b32_e32 v20, 16, v20
	v_mul_f32_e32 v20, s9, v20
	v_and_b32_e32 v23, 0x7f800000, v20
	v_cmp_ne_u32_e32 vcc_lo, 0x7f800000, v23
                                        ; implicit-def: $vgpr23
	s_and_saveexec_b32 s2, vcc_lo
	s_xor_b32 s2, exec_lo, s2
; %bb.86:
	v_bfe_u32 v23, v20, 16, 1
	v_add3_u32 v23, v20, v23, 0x7fff
                                        ; implicit-def: $vgpr20
; %bb.87:
	s_andn2_saveexec_b32 s2, s2
; %bb.88:
	v_mov_b32_e32 v23, 0
	v_or_b32_e32 v26, 0x10000, v20
	v_cmp_eq_u32_sdwa vcc_lo, v20, v23 src0_sel:WORD_0 src1_sel:DWORD
	v_cndmask_b32_e32 v23, v26, v20, vcc_lo
; %bb.89:
	s_or_b32 exec_lo, exec_lo, s2
	v_and_b32_e32 v20, 0xffff0000, v23
	v_fmac_f32_e32 v20, s4, v19
	v_and_b32_e32 v19, 0x7f800000, v20
	v_cmp_ne_u32_e32 vcc_lo, 0x7f800000, v19
                                        ; implicit-def: $vgpr19
	s_and_saveexec_b32 s2, vcc_lo
	s_xor_b32 s2, exec_lo, s2
; %bb.90:
	v_bfe_u32 v19, v20, 16, 1
	v_add3_u32 v19, v20, v19, 0x7fff
                                        ; implicit-def: $vgpr20
; %bb.91:
	s_andn2_saveexec_b32 s2, s2
; %bb.92:
	v_mov_b32_e32 v19, 0
	v_or_b32_e32 v23, 0x10000, v20
	v_cmp_eq_u32_sdwa vcc_lo, v20, v19 src0_sel:WORD_0 src1_sel:DWORD
	v_cndmask_b32_e32 v19, v23, v20, vcc_lo
; %bb.93:
	s_or_b32 exec_lo, exec_lo, s2
	global_store_short_d16_hi v[4:5], v19, off offset:64
	global_load_ushort v2, v[2:3], off offset:96
	s_waitcnt vmcnt(0)
	v_lshlrev_b32_e32 v2, 16, v2
	v_mul_f32_e32 v2, s9, v2
	v_and_b32_e32 v3, 0x7f800000, v2
	v_cmp_ne_u32_e32 vcc_lo, 0x7f800000, v3
                                        ; implicit-def: $vgpr3
	s_and_saveexec_b32 s2, vcc_lo
	s_xor_b32 s2, exec_lo, s2
; %bb.94:
	v_bfe_u32 v3, v2, 16, 1
	v_add3_u32 v3, v2, v3, 0x7fff
                                        ; implicit-def: $vgpr2
; %bb.95:
	s_andn2_saveexec_b32 s2, s2
; %bb.96:
	v_mov_b32_e32 v3, 0
	v_or_b32_e32 v19, 0x10000, v2
	v_cmp_eq_u32_sdwa vcc_lo, v2, v3 src0_sel:WORD_0 src1_sel:DWORD
	v_cndmask_b32_e32 v3, v19, v2, vcc_lo
; %bb.97:
	s_or_b32 exec_lo, exec_lo, s2
	v_and_b32_e32 v2, 0xffff0000, v3
	s_mov_b32 s2, exec_lo
	v_fmac_f32_e32 v2, s4, v18
                                        ; implicit-def: $vgpr18
	v_and_b32_e32 v3, 0x7f800000, v2
	v_cmpx_ne_u32_e32 0x7f800000, v3
	s_xor_b32 s2, exec_lo, s2
; %bb.98:
	v_bfe_u32 v3, v2, 16, 1
	v_add3_u32 v18, v2, v3, 0x7fff
                                        ; implicit-def: $vgpr2
; %bb.99:
	s_andn2_saveexec_b32 s2, s2
; %bb.100:
	v_mov_b32_e32 v3, 0
	v_or_b32_e32 v18, 0x10000, v2
	v_cmp_eq_u32_sdwa vcc_lo, v2, v3 src0_sel:WORD_0 src1_sel:DWORD
	v_cndmask_b32_e32 v18, v18, v2, vcc_lo
; %bb.101:
	s_or_b32 exec_lo, exec_lo, s2
	s_lshl_b64 s[2:3], s[14:15], 5
	global_store_short_d16_hi v[4:5], v18, off offset:96
	v_add_co_u32 v19, vcc_lo, v24, s2
	v_add_co_ci_u32_e64 v20, null, s3, v25, vcc_lo
	v_add_co_u32 v2, vcc_lo, v19, v0
	v_add_co_ci_u32_e64 v3, null, v20, v1, vcc_lo
	global_load_ushort v4, v[2:3], off
	s_waitcnt vmcnt(0)
	v_lshlrev_b32_e32 v4, 16, v4
	v_mul_f32_e32 v4, s9, v4
	v_and_b32_e32 v5, 0x7f800000, v4
	v_cmp_ne_u32_e32 vcc_lo, 0x7f800000, v5
                                        ; implicit-def: $vgpr5
	s_and_saveexec_b32 s2, vcc_lo
	s_xor_b32 s2, exec_lo, s2
; %bb.102:
	v_bfe_u32 v5, v4, 16, 1
	v_add3_u32 v5, v4, v5, 0x7fff
                                        ; implicit-def: $vgpr4
; %bb.103:
	s_andn2_saveexec_b32 s2, s2
; %bb.104:
	v_mov_b32_e32 v5, 0
	v_or_b32_e32 v18, 0x10000, v4
	v_cmp_eq_u32_sdwa vcc_lo, v4, v5 src0_sel:WORD_0 src1_sel:DWORD
	v_cndmask_b32_e32 v5, v18, v4, vcc_lo
; %bb.105:
	s_or_b32 exec_lo, exec_lo, s2
	v_and_b32_e32 v4, 0xffff0000, v5
	s_mov_b32 s2, exec_lo
                                        ; implicit-def: $vgpr23
	v_fmac_f32_e32 v4, s4, v17
	v_and_b32_e32 v5, 0x7f800000, v4
	v_cmpx_ne_u32_e32 0x7f800000, v5
	s_xor_b32 s2, exec_lo, s2
; %bb.106:
	v_bfe_u32 v5, v4, 16, 1
	v_add3_u32 v23, v4, v5, 0x7fff
                                        ; implicit-def: $vgpr4
; %bb.107:
	s_andn2_saveexec_b32 s2, s2
; %bb.108:
	v_mov_b32_e32 v5, 0
	v_or_b32_e32 v17, 0x10000, v4
	v_cmp_eq_u32_sdwa vcc_lo, v4, v5 src0_sel:WORD_0 src1_sel:DWORD
	v_cndmask_b32_e32 v23, v17, v4, vcc_lo
; %bb.109:
	s_or_b32 exec_lo, exec_lo, s2
	s_lshl_b64 s[2:3], s[0:1], 5
	v_add_co_u32 v17, vcc_lo, v21, s2
	v_add_co_ci_u32_e64 v18, null, s3, v22, vcc_lo
	v_add_co_u32 v4, vcc_lo, v17, v0
	v_add_co_ci_u32_e64 v5, null, v18, v1, vcc_lo
	global_store_short_d16_hi v[4:5], v23, off
	global_load_ushort v21, v[2:3], off offset:32
	s_waitcnt vmcnt(0)
	v_lshlrev_b32_e32 v21, 16, v21
	v_mul_f32_e32 v21, s9, v21
	v_and_b32_e32 v22, 0x7f800000, v21
	v_cmp_ne_u32_e32 vcc_lo, 0x7f800000, v22
                                        ; implicit-def: $vgpr22
	s_and_saveexec_b32 s2, vcc_lo
	s_xor_b32 s2, exec_lo, s2
; %bb.110:
	v_bfe_u32 v22, v21, 16, 1
	v_add3_u32 v22, v21, v22, 0x7fff
                                        ; implicit-def: $vgpr21
; %bb.111:
	s_andn2_saveexec_b32 s2, s2
; %bb.112:
	v_mov_b32_e32 v22, 0
	v_or_b32_e32 v23, 0x10000, v21
	v_cmp_eq_u32_sdwa vcc_lo, v21, v22 src0_sel:WORD_0 src1_sel:DWORD
	v_cndmask_b32_e32 v22, v23, v21, vcc_lo
; %bb.113:
	s_or_b32 exec_lo, exec_lo, s2
	v_and_b32_e32 v21, 0xffff0000, v22
	v_fmac_f32_e32 v21, s4, v16
	v_and_b32_e32 v16, 0x7f800000, v21
	v_cmp_ne_u32_e32 vcc_lo, 0x7f800000, v16
                                        ; implicit-def: $vgpr16
	s_and_saveexec_b32 s2, vcc_lo
	s_xor_b32 s2, exec_lo, s2
; %bb.114:
	v_bfe_u32 v16, v21, 16, 1
	v_add3_u32 v16, v21, v16, 0x7fff
                                        ; implicit-def: $vgpr21
; %bb.115:
	s_andn2_saveexec_b32 s2, s2
; %bb.116:
	v_mov_b32_e32 v16, 0
	v_or_b32_e32 v22, 0x10000, v21
	v_cmp_eq_u32_sdwa vcc_lo, v21, v16 src0_sel:WORD_0 src1_sel:DWORD
	v_cndmask_b32_e32 v16, v22, v21, vcc_lo
; %bb.117:
	s_or_b32 exec_lo, exec_lo, s2
	global_store_short_d16_hi v[4:5], v16, off offset:32
	global_load_ushort v16, v[2:3], off offset:64
	s_waitcnt vmcnt(0)
	v_lshlrev_b32_e32 v16, 16, v16
	v_mul_f32_e32 v16, s9, v16
	v_and_b32_e32 v21, 0x7f800000, v16
	v_cmp_ne_u32_e32 vcc_lo, 0x7f800000, v21
                                        ; implicit-def: $vgpr21
	s_and_saveexec_b32 s2, vcc_lo
	s_xor_b32 s2, exec_lo, s2
; %bb.118:
	v_bfe_u32 v21, v16, 16, 1
	v_add3_u32 v21, v16, v21, 0x7fff
                                        ; implicit-def: $vgpr16
; %bb.119:
	s_andn2_saveexec_b32 s2, s2
; %bb.120:
	v_mov_b32_e32 v21, 0
	v_or_b32_e32 v22, 0x10000, v16
	v_cmp_eq_u32_sdwa vcc_lo, v16, v21 src0_sel:WORD_0 src1_sel:DWORD
	v_cndmask_b32_e32 v21, v22, v16, vcc_lo
; %bb.121:
	s_or_b32 exec_lo, exec_lo, s2
	v_and_b32_e32 v16, 0xffff0000, v21
	v_fmac_f32_e32 v16, s4, v15
	v_and_b32_e32 v15, 0x7f800000, v16
	v_cmp_ne_u32_e32 vcc_lo, 0x7f800000, v15
                                        ; implicit-def: $vgpr15
	s_and_saveexec_b32 s2, vcc_lo
	s_xor_b32 s2, exec_lo, s2
; %bb.122:
	v_bfe_u32 v15, v16, 16, 1
	v_add3_u32 v15, v16, v15, 0x7fff
                                        ; implicit-def: $vgpr16
; %bb.123:
	s_andn2_saveexec_b32 s2, s2
; %bb.124:
	v_mov_b32_e32 v15, 0
	v_or_b32_e32 v21, 0x10000, v16
	v_cmp_eq_u32_sdwa vcc_lo, v16, v15 src0_sel:WORD_0 src1_sel:DWORD
	v_cndmask_b32_e32 v15, v21, v16, vcc_lo
; %bb.125:
	s_or_b32 exec_lo, exec_lo, s2
	global_store_short_d16_hi v[4:5], v15, off offset:64
	global_load_ushort v2, v[2:3], off offset:96
	s_waitcnt vmcnt(0)
	v_lshlrev_b32_e32 v2, 16, v2
	v_mul_f32_e32 v2, s9, v2
	v_and_b32_e32 v3, 0x7f800000, v2
	v_cmp_ne_u32_e32 vcc_lo, 0x7f800000, v3
                                        ; implicit-def: $vgpr3
	s_and_saveexec_b32 s2, vcc_lo
	s_xor_b32 s2, exec_lo, s2
; %bb.126:
	v_bfe_u32 v3, v2, 16, 1
	v_add3_u32 v3, v2, v3, 0x7fff
                                        ; implicit-def: $vgpr2
; %bb.127:
	s_andn2_saveexec_b32 s2, s2
; %bb.128:
	v_mov_b32_e32 v3, 0
	v_or_b32_e32 v15, 0x10000, v2
	v_cmp_eq_u32_sdwa vcc_lo, v2, v3 src0_sel:WORD_0 src1_sel:DWORD
	v_cndmask_b32_e32 v3, v15, v2, vcc_lo
; %bb.129:
	s_or_b32 exec_lo, exec_lo, s2
	v_and_b32_e32 v2, 0xffff0000, v3
	s_mov_b32 s2, exec_lo
                                        ; implicit-def: $vgpr16
	v_fmac_f32_e32 v2, s4, v14
	v_and_b32_e32 v3, 0x7f800000, v2
	v_cmpx_ne_u32_e32 0x7f800000, v3
	s_xor_b32 s2, exec_lo, s2
; %bb.130:
	v_bfe_u32 v3, v2, 16, 1
	v_add3_u32 v16, v2, v3, 0x7fff
                                        ; implicit-def: $vgpr2
; %bb.131:
	s_or_saveexec_b32 s5, s2
	s_lshl_b64 s[2:3], s[14:15], 4
	s_xor_b32 exec_lo, exec_lo, s5
; %bb.132:
	v_mov_b32_e32 v3, 0
	v_or_b32_e32 v14, 0x10000, v2
	v_cmp_eq_u32_sdwa vcc_lo, v2, v3 src0_sel:WORD_0 src1_sel:DWORD
	v_cndmask_b32_e32 v16, v14, v2, vcc_lo
; %bb.133:
	s_or_b32 exec_lo, exec_lo, s5
	s_lshl_b64 s[2:3], s[2:3], 1
	global_store_short_d16_hi v[4:5], v16, off offset:96
	v_add_co_u32 v14, vcc_lo, v19, s2
	v_add_co_ci_u32_e64 v15, null, s3, v20, vcc_lo
	v_add_co_u32 v2, vcc_lo, v14, v0
	v_add_co_ci_u32_e64 v3, null, v15, v1, vcc_lo
	global_load_ushort v4, v[2:3], off
	s_waitcnt vmcnt(0)
	v_lshlrev_b32_e32 v4, 16, v4
	v_mul_f32_e32 v4, s9, v4
	v_and_b32_e32 v5, 0x7f800000, v4
	v_cmp_ne_u32_e32 vcc_lo, 0x7f800000, v5
                                        ; implicit-def: $vgpr5
	s_and_saveexec_b32 s5, vcc_lo
	s_xor_b32 s5, exec_lo, s5
; %bb.134:
	v_bfe_u32 v5, v4, 16, 1
	v_add3_u32 v5, v4, v5, 0x7fff
                                        ; implicit-def: $vgpr4
; %bb.135:
	s_andn2_saveexec_b32 s5, s5
; %bb.136:
	v_mov_b32_e32 v5, 0
	v_or_b32_e32 v16, 0x10000, v4
	v_cmp_eq_u32_sdwa vcc_lo, v4, v5 src0_sel:WORD_0 src1_sel:DWORD
	v_cndmask_b32_e32 v5, v16, v4, vcc_lo
; %bb.137:
	s_or_b32 exec_lo, exec_lo, s5
	v_and_b32_e32 v4, 0xffff0000, v5
	s_mov_b32 s5, exec_lo
                                        ; implicit-def: $vgpr19
	v_fmac_f32_e32 v4, s4, v13
	v_and_b32_e32 v5, 0x7f800000, v4
	v_cmpx_ne_u32_e32 0x7f800000, v5
	s_xor_b32 s5, exec_lo, s5
; %bb.138:
	v_bfe_u32 v5, v4, 16, 1
	v_add3_u32 v19, v4, v5, 0x7fff
                                        ; implicit-def: $vgpr4
; %bb.139:
	s_or_saveexec_b32 s5, s5
	s_lshl_b64 s[0:1], s[0:1], 4
	s_xor_b32 exec_lo, exec_lo, s5
; %bb.140:
	v_mov_b32_e32 v5, 0
	v_or_b32_e32 v13, 0x10000, v4
	v_cmp_eq_u32_sdwa vcc_lo, v4, v5 src0_sel:WORD_0 src1_sel:DWORD
	v_cndmask_b32_e32 v19, v13, v4, vcc_lo
; %bb.141:
	s_or_b32 exec_lo, exec_lo, s5
	s_lshl_b64 s[0:1], s[0:1], 1
	v_add_co_u32 v13, vcc_lo, v17, s0
	v_add_co_ci_u32_e64 v16, null, s1, v18, vcc_lo
	v_add_co_u32 v4, vcc_lo, v13, v0
	v_add_co_ci_u32_e64 v5, null, v16, v1, vcc_lo
	global_store_short_d16_hi v[4:5], v19, off
	global_load_ushort v17, v[2:3], off offset:32
	s_waitcnt vmcnt(0)
	v_lshlrev_b32_e32 v17, 16, v17
	v_mul_f32_e32 v17, s9, v17
	v_and_b32_e32 v18, 0x7f800000, v17
	v_cmp_ne_u32_e32 vcc_lo, 0x7f800000, v18
                                        ; implicit-def: $vgpr18
	s_and_saveexec_b32 s5, vcc_lo
	s_xor_b32 s5, exec_lo, s5
; %bb.142:
	v_bfe_u32 v18, v17, 16, 1
	v_add3_u32 v18, v17, v18, 0x7fff
                                        ; implicit-def: $vgpr17
; %bb.143:
	s_andn2_saveexec_b32 s5, s5
; %bb.144:
	v_mov_b32_e32 v18, 0
	v_or_b32_e32 v19, 0x10000, v17
	v_cmp_eq_u32_sdwa vcc_lo, v17, v18 src0_sel:WORD_0 src1_sel:DWORD
	v_cndmask_b32_e32 v18, v19, v17, vcc_lo
; %bb.145:
	s_or_b32 exec_lo, exec_lo, s5
	v_and_b32_e32 v17, 0xffff0000, v18
	v_fmac_f32_e32 v17, s4, v12
	v_and_b32_e32 v12, 0x7f800000, v17
	v_cmp_ne_u32_e32 vcc_lo, 0x7f800000, v12
                                        ; implicit-def: $vgpr12
	s_and_saveexec_b32 s5, vcc_lo
	s_xor_b32 s5, exec_lo, s5
; %bb.146:
	v_bfe_u32 v12, v17, 16, 1
	v_add3_u32 v12, v17, v12, 0x7fff
                                        ; implicit-def: $vgpr17
; %bb.147:
	s_andn2_saveexec_b32 s5, s5
; %bb.148:
	v_mov_b32_e32 v12, 0
	v_or_b32_e32 v18, 0x10000, v17
	v_cmp_eq_u32_sdwa vcc_lo, v17, v12 src0_sel:WORD_0 src1_sel:DWORD
	v_cndmask_b32_e32 v12, v18, v17, vcc_lo
; %bb.149:
	s_or_b32 exec_lo, exec_lo, s5
	global_store_short_d16_hi v[4:5], v12, off offset:32
	global_load_ushort v12, v[2:3], off offset:64
	s_waitcnt vmcnt(0)
	v_lshlrev_b32_e32 v12, 16, v12
	v_mul_f32_e32 v12, s9, v12
	v_and_b32_e32 v17, 0x7f800000, v12
	v_cmp_ne_u32_e32 vcc_lo, 0x7f800000, v17
                                        ; implicit-def: $vgpr17
	s_and_saveexec_b32 s5, vcc_lo
	s_xor_b32 s5, exec_lo, s5
; %bb.150:
	v_bfe_u32 v17, v12, 16, 1
	v_add3_u32 v17, v12, v17, 0x7fff
                                        ; implicit-def: $vgpr12
; %bb.151:
	s_andn2_saveexec_b32 s5, s5
; %bb.152:
	v_mov_b32_e32 v17, 0
	v_or_b32_e32 v18, 0x10000, v12
	v_cmp_eq_u32_sdwa vcc_lo, v12, v17 src0_sel:WORD_0 src1_sel:DWORD
	v_cndmask_b32_e32 v17, v18, v12, vcc_lo
; %bb.153:
	s_or_b32 exec_lo, exec_lo, s5
	v_and_b32_e32 v12, 0xffff0000, v17
	v_fmac_f32_e32 v12, s4, v11
	v_and_b32_e32 v11, 0x7f800000, v12
	v_cmp_ne_u32_e32 vcc_lo, 0x7f800000, v11
                                        ; implicit-def: $vgpr11
	s_and_saveexec_b32 s5, vcc_lo
	s_xor_b32 s5, exec_lo, s5
; %bb.154:
	v_bfe_u32 v11, v12, 16, 1
	v_add3_u32 v11, v12, v11, 0x7fff
                                        ; implicit-def: $vgpr12
; %bb.155:
	s_andn2_saveexec_b32 s5, s5
; %bb.156:
	v_mov_b32_e32 v11, 0
	v_or_b32_e32 v17, 0x10000, v12
	v_cmp_eq_u32_sdwa vcc_lo, v12, v11 src0_sel:WORD_0 src1_sel:DWORD
	v_cndmask_b32_e32 v11, v17, v12, vcc_lo
; %bb.157:
	s_or_b32 exec_lo, exec_lo, s5
	global_store_short_d16_hi v[4:5], v11, off offset:64
	global_load_ushort v2, v[2:3], off offset:96
	s_waitcnt vmcnt(0)
	v_lshlrev_b32_e32 v2, 16, v2
	v_mul_f32_e32 v2, s9, v2
	v_and_b32_e32 v3, 0x7f800000, v2
	v_cmp_ne_u32_e32 vcc_lo, 0x7f800000, v3
                                        ; implicit-def: $vgpr3
	s_and_saveexec_b32 s5, vcc_lo
	s_xor_b32 s5, exec_lo, s5
; %bb.158:
	v_bfe_u32 v3, v2, 16, 1
	v_add3_u32 v3, v2, v3, 0x7fff
                                        ; implicit-def: $vgpr2
; %bb.159:
	s_andn2_saveexec_b32 s5, s5
; %bb.160:
	v_mov_b32_e32 v3, 0
	v_or_b32_e32 v11, 0x10000, v2
	v_cmp_eq_u32_sdwa vcc_lo, v2, v3 src0_sel:WORD_0 src1_sel:DWORD
	v_cndmask_b32_e32 v3, v11, v2, vcc_lo
; %bb.161:
	s_or_b32 exec_lo, exec_lo, s5
	v_and_b32_e32 v2, 0xffff0000, v3
	s_mov_b32 s5, exec_lo
	v_fmac_f32_e32 v2, s4, v10
                                        ; implicit-def: $vgpr10
	v_and_b32_e32 v3, 0x7f800000, v2
	v_cmpx_ne_u32_e32 0x7f800000, v3
	s_xor_b32 s5, exec_lo, s5
; %bb.162:
	v_bfe_u32 v3, v2, 16, 1
	v_add3_u32 v10, v2, v3, 0x7fff
                                        ; implicit-def: $vgpr2
; %bb.163:
	s_andn2_saveexec_b32 s5, s5
; %bb.164:
	v_mov_b32_e32 v3, 0
	v_or_b32_e32 v10, 0x10000, v2
	v_cmp_eq_u32_sdwa vcc_lo, v2, v3 src0_sel:WORD_0 src1_sel:DWORD
	v_cndmask_b32_e32 v10, v10, v2, vcc_lo
; %bb.165:
	s_or_b32 exec_lo, exec_lo, s5
	v_add_co_u32 v2, vcc_lo, v14, s2
	v_add_co_ci_u32_e64 v3, null, s3, v15, vcc_lo
	global_store_short_d16_hi v[4:5], v10, off offset:96
	v_add_co_u32 v2, vcc_lo, v2, v0
	v_add_co_ci_u32_e64 v3, null, v3, v1, vcc_lo
	global_load_ushort v4, v[2:3], off
	s_waitcnt vmcnt(0)
	v_lshlrev_b32_e32 v4, 16, v4
	v_mul_f32_e32 v4, s9, v4
	v_and_b32_e32 v5, 0x7f800000, v4
	v_cmp_ne_u32_e32 vcc_lo, 0x7f800000, v5
                                        ; implicit-def: $vgpr5
	s_and_saveexec_b32 s2, vcc_lo
	s_xor_b32 s2, exec_lo, s2
; %bb.166:
	v_bfe_u32 v5, v4, 16, 1
	v_add3_u32 v5, v4, v5, 0x7fff
                                        ; implicit-def: $vgpr4
; %bb.167:
	s_andn2_saveexec_b32 s2, s2
; %bb.168:
	v_mov_b32_e32 v5, 0
	v_or_b32_e32 v10, 0x10000, v4
	v_cmp_eq_u32_sdwa vcc_lo, v4, v5 src0_sel:WORD_0 src1_sel:DWORD
	v_cndmask_b32_e32 v5, v10, v4, vcc_lo
; %bb.169:
	s_or_b32 exec_lo, exec_lo, s2
	v_and_b32_e32 v5, 0xffff0000, v5
	v_fmac_f32_e32 v5, s4, v9
	v_and_b32_e32 v4, 0x7f800000, v5
	v_cmp_ne_u32_e32 vcc_lo, 0x7f800000, v4
                                        ; implicit-def: $vgpr4
	s_and_saveexec_b32 s2, vcc_lo
	s_xor_b32 s2, exec_lo, s2
; %bb.170:
	v_bfe_u32 v4, v5, 16, 1
	v_add3_u32 v4, v5, v4, 0x7fff
                                        ; implicit-def: $vgpr5
; %bb.171:
	s_andn2_saveexec_b32 s2, s2
; %bb.172:
	v_mov_b32_e32 v4, 0
	v_or_b32_e32 v9, 0x10000, v5
	v_cmp_eq_u32_sdwa vcc_lo, v5, v4 src0_sel:WORD_0 src1_sel:DWORD
	v_cndmask_b32_e32 v4, v9, v5, vcc_lo
; %bb.173:
	s_or_b32 exec_lo, exec_lo, s2
	v_add_co_u32 v5, vcc_lo, v13, s0
	v_add_co_ci_u32_e64 v9, null, s1, v16, vcc_lo
	v_add_co_u32 v0, vcc_lo, v5, v0
	v_add_co_ci_u32_e64 v1, null, v9, v1, vcc_lo
	global_store_short_d16_hi v[0:1], v4, off
	global_load_ushort v4, v[2:3], off offset:32
	s_waitcnt vmcnt(0)
	v_lshlrev_b32_e32 v4, 16, v4
	v_mul_f32_e32 v4, s9, v4
	v_and_b32_e32 v5, 0x7f800000, v4
	v_cmp_ne_u32_e32 vcc_lo, 0x7f800000, v5
                                        ; implicit-def: $vgpr5
	s_and_saveexec_b32 s0, vcc_lo
	s_xor_b32 s0, exec_lo, s0
; %bb.174:
	v_bfe_u32 v5, v4, 16, 1
	v_add3_u32 v5, v4, v5, 0x7fff
                                        ; implicit-def: $vgpr4
; %bb.175:
	s_andn2_saveexec_b32 s0, s0
; %bb.176:
	v_mov_b32_e32 v5, 0
	v_or_b32_e32 v9, 0x10000, v4
	v_cmp_eq_u32_sdwa vcc_lo, v4, v5 src0_sel:WORD_0 src1_sel:DWORD
	v_cndmask_b32_e32 v5, v9, v4, vcc_lo
; %bb.177:
	s_or_b32 exec_lo, exec_lo, s0
	v_and_b32_e32 v4, 0xffff0000, v5
	v_fmac_f32_e32 v4, s4, v8
	v_and_b32_e32 v5, 0x7f800000, v4
	v_cmp_ne_u32_e32 vcc_lo, 0x7f800000, v5
                                        ; implicit-def: $vgpr5
	s_and_saveexec_b32 s0, vcc_lo
	s_xor_b32 s0, exec_lo, s0
; %bb.178:
	v_bfe_u32 v5, v4, 16, 1
	v_add3_u32 v5, v4, v5, 0x7fff
                                        ; implicit-def: $vgpr4
; %bb.179:
	s_andn2_saveexec_b32 s0, s0
; %bb.180:
	v_mov_b32_e32 v5, 0
	v_or_b32_e32 v8, 0x10000, v4
	v_cmp_eq_u32_sdwa vcc_lo, v4, v5 src0_sel:WORD_0 src1_sel:DWORD
	v_cndmask_b32_e32 v5, v8, v4, vcc_lo
; %bb.181:
	s_or_b32 exec_lo, exec_lo, s0
	global_store_short_d16_hi v[0:1], v5, off offset:32
	global_load_ushort v4, v[2:3], off offset:64
	s_waitcnt vmcnt(0)
	v_lshlrev_b32_e32 v4, 16, v4
	v_mul_f32_e32 v4, s9, v4
	v_and_b32_e32 v5, 0x7f800000, v4
	v_cmp_ne_u32_e32 vcc_lo, 0x7f800000, v5
                                        ; implicit-def: $vgpr5
	s_and_saveexec_b32 s0, vcc_lo
	s_xor_b32 s0, exec_lo, s0
; %bb.182:
	v_bfe_u32 v5, v4, 16, 1
	v_add3_u32 v5, v4, v5, 0x7fff
                                        ; implicit-def: $vgpr4
; %bb.183:
	s_andn2_saveexec_b32 s0, s0
; %bb.184:
	v_mov_b32_e32 v5, 0
	v_or_b32_e32 v8, 0x10000, v4
	v_cmp_eq_u32_sdwa vcc_lo, v4, v5 src0_sel:WORD_0 src1_sel:DWORD
	v_cndmask_b32_e32 v5, v8, v4, vcc_lo
; %bb.185:
	s_or_b32 exec_lo, exec_lo, s0
	v_and_b32_e32 v4, 0xffff0000, v5
	v_fmac_f32_e32 v4, s4, v7
	v_and_b32_e32 v5, 0x7f800000, v4
	v_cmp_ne_u32_e32 vcc_lo, 0x7f800000, v5
                                        ; implicit-def: $vgpr5
	s_and_saveexec_b32 s0, vcc_lo
	s_xor_b32 s0, exec_lo, s0
; %bb.186:
	v_bfe_u32 v5, v4, 16, 1
	v_add3_u32 v5, v4, v5, 0x7fff
                                        ; implicit-def: $vgpr4
; %bb.187:
	s_andn2_saveexec_b32 s0, s0
; %bb.188:
	v_mov_b32_e32 v5, 0
	v_or_b32_e32 v7, 0x10000, v4
	v_cmp_eq_u32_sdwa vcc_lo, v4, v5 src0_sel:WORD_0 src1_sel:DWORD
	v_cndmask_b32_e32 v5, v7, v4, vcc_lo
; %bb.189:
	s_or_b32 exec_lo, exec_lo, s0
	global_store_short_d16_hi v[0:1], v5, off offset:64
	global_load_ushort v2, v[2:3], off offset:96
	s_waitcnt vmcnt(0)
	v_lshlrev_b32_e32 v2, 16, v2
	v_mul_f32_e32 v2, s9, v2
	v_and_b32_e32 v3, 0x7f800000, v2
	v_cmp_ne_u32_e32 vcc_lo, 0x7f800000, v3
                                        ; implicit-def: $vgpr3
	s_and_saveexec_b32 s0, vcc_lo
	s_xor_b32 s0, exec_lo, s0
; %bb.190:
	v_bfe_u32 v3, v2, 16, 1
	v_add3_u32 v3, v2, v3, 0x7fff
                                        ; implicit-def: $vgpr2
; %bb.191:
	s_andn2_saveexec_b32 s0, s0
; %bb.192:
	v_mov_b32_e32 v3, 0
	v_or_b32_e32 v4, 0x10000, v2
	v_cmp_eq_u32_sdwa vcc_lo, v2, v3 src0_sel:WORD_0 src1_sel:DWORD
	v_cndmask_b32_e32 v3, v4, v2, vcc_lo
; %bb.193:
	s_or_b32 exec_lo, exec_lo, s0
	v_and_b32_e32 v2, 0xffff0000, v3
	v_fmac_f32_e32 v2, s4, v6
	v_and_b32_e32 v3, 0x7f800000, v2
	v_cmp_ne_u32_e32 vcc_lo, 0x7f800000, v3
                                        ; implicit-def: $vgpr3
	s_and_saveexec_b32 s0, vcc_lo
	s_xor_b32 s0, exec_lo, s0
	s_cbranch_execnz .LBB424_198
; %bb.194:
	s_andn2_saveexec_b32 s0, s0
	s_cbranch_execnz .LBB424_199
.LBB424_195:
	s_or_b32 exec_lo, exec_lo, s0
	global_store_short_d16_hi v[0:1], v3, off offset:96
	s_endpgm
.LBB424_196:
	s_cbranch_execnz .LBB424_69
.LBB424_197:
	s_endpgm
.LBB424_198:
	v_bfe_u32 v3, v2, 16, 1
	v_add3_u32 v3, v2, v3, 0x7fff
                                        ; implicit-def: $vgpr2
	s_andn2_saveexec_b32 s0, s0
	s_cbranch_execz .LBB424_195
.LBB424_199:
	v_mov_b32_e32 v3, 0
	v_or_b32_e32 v4, 0x10000, v2
	v_cmp_eq_u32_sdwa vcc_lo, v2, v3 src0_sel:WORD_0 src1_sel:DWORD
	v_cndmask_b32_e32 v3, v4, v2, vcc_lo
	s_or_b32 exec_lo, exec_lo, s0
	global_store_short_d16_hi v[0:1], v3, off offset:96
	s_endpgm
	.section	.rodata,"a",@progbits
	.p2align	6, 0x0
	.amdhsa_kernel _ZN12_GLOBAL__N_127rocblas_gemm_batched_kernelIfLi16ELi16ELi64ELi64ELi4ELi64ELi4ELi4ELi64ELc67ELc84EK16rocblas_bfloat16S2_S1_EEvlllT_PT11_llS5_llS3_PT12_llPT13_lli
		.amdhsa_group_segment_fixed_size 2048
		.amdhsa_private_segment_fixed_size 0
		.amdhsa_kernarg_size 140
		.amdhsa_user_sgpr_count 6
		.amdhsa_user_sgpr_private_segment_buffer 1
		.amdhsa_user_sgpr_dispatch_ptr 0
		.amdhsa_user_sgpr_queue_ptr 0
		.amdhsa_user_sgpr_kernarg_segment_ptr 1
		.amdhsa_user_sgpr_dispatch_id 0
		.amdhsa_user_sgpr_flat_scratch_init 0
		.amdhsa_user_sgpr_private_segment_size 0
		.amdhsa_wavefront_size32 1
		.amdhsa_uses_dynamic_stack 0
		.amdhsa_system_sgpr_private_segment_wavefront_offset 0
		.amdhsa_system_sgpr_workgroup_id_x 1
		.amdhsa_system_sgpr_workgroup_id_y 1
		.amdhsa_system_sgpr_workgroup_id_z 1
		.amdhsa_system_sgpr_workgroup_info 0
		.amdhsa_system_vgpr_workitem_id 1
		.amdhsa_next_free_vgpr 58
		.amdhsa_next_free_sgpr 22
		.amdhsa_reserve_vcc 1
		.amdhsa_reserve_flat_scratch 0
		.amdhsa_float_round_mode_32 0
		.amdhsa_float_round_mode_16_64 0
		.amdhsa_float_denorm_mode_32 3
		.amdhsa_float_denorm_mode_16_64 3
		.amdhsa_dx10_clamp 1
		.amdhsa_ieee_mode 1
		.amdhsa_fp16_overflow 0
		.amdhsa_workgroup_processor_mode 1
		.amdhsa_memory_ordered 1
		.amdhsa_forward_progress 1
		.amdhsa_shared_vgpr_count 0
		.amdhsa_exception_fp_ieee_invalid_op 0
		.amdhsa_exception_fp_denorm_src 0
		.amdhsa_exception_fp_ieee_div_zero 0
		.amdhsa_exception_fp_ieee_overflow 0
		.amdhsa_exception_fp_ieee_underflow 0
		.amdhsa_exception_fp_ieee_inexact 0
		.amdhsa_exception_int_div_zero 0
	.end_amdhsa_kernel
	.section	.text._ZN12_GLOBAL__N_127rocblas_gemm_batched_kernelIfLi16ELi16ELi64ELi64ELi4ELi64ELi4ELi4ELi64ELc67ELc84EK16rocblas_bfloat16S2_S1_EEvlllT_PT11_llS5_llS3_PT12_llPT13_lli,"axG",@progbits,_ZN12_GLOBAL__N_127rocblas_gemm_batched_kernelIfLi16ELi16ELi64ELi64ELi4ELi64ELi4ELi4ELi64ELc67ELc84EK16rocblas_bfloat16S2_S1_EEvlllT_PT11_llS5_llS3_PT12_llPT13_lli,comdat
.Lfunc_end424:
	.size	_ZN12_GLOBAL__N_127rocblas_gemm_batched_kernelIfLi16ELi16ELi64ELi64ELi4ELi64ELi4ELi4ELi64ELc67ELc84EK16rocblas_bfloat16S2_S1_EEvlllT_PT11_llS5_llS3_PT12_llPT13_lli, .Lfunc_end424-_ZN12_GLOBAL__N_127rocblas_gemm_batched_kernelIfLi16ELi16ELi64ELi64ELi4ELi64ELi4ELi4ELi64ELc67ELc84EK16rocblas_bfloat16S2_S1_EEvlllT_PT11_llS5_llS3_PT12_llPT13_lli
                                        ; -- End function
	.set _ZN12_GLOBAL__N_127rocblas_gemm_batched_kernelIfLi16ELi16ELi64ELi64ELi4ELi64ELi4ELi4ELi64ELc67ELc84EK16rocblas_bfloat16S2_S1_EEvlllT_PT11_llS5_llS3_PT12_llPT13_lli.num_vgpr, 58
	.set _ZN12_GLOBAL__N_127rocblas_gemm_batched_kernelIfLi16ELi16ELi64ELi64ELi4ELi64ELi4ELi4ELi64ELc67ELc84EK16rocblas_bfloat16S2_S1_EEvlllT_PT11_llS5_llS3_PT12_llPT13_lli.num_agpr, 0
	.set _ZN12_GLOBAL__N_127rocblas_gemm_batched_kernelIfLi16ELi16ELi64ELi64ELi4ELi64ELi4ELi4ELi64ELc67ELc84EK16rocblas_bfloat16S2_S1_EEvlllT_PT11_llS5_llS3_PT12_llPT13_lli.numbered_sgpr, 22
	.set _ZN12_GLOBAL__N_127rocblas_gemm_batched_kernelIfLi16ELi16ELi64ELi64ELi4ELi64ELi4ELi4ELi64ELc67ELc84EK16rocblas_bfloat16S2_S1_EEvlllT_PT11_llS5_llS3_PT12_llPT13_lli.num_named_barrier, 0
	.set _ZN12_GLOBAL__N_127rocblas_gemm_batched_kernelIfLi16ELi16ELi64ELi64ELi4ELi64ELi4ELi4ELi64ELc67ELc84EK16rocblas_bfloat16S2_S1_EEvlllT_PT11_llS5_llS3_PT12_llPT13_lli.private_seg_size, 0
	.set _ZN12_GLOBAL__N_127rocblas_gemm_batched_kernelIfLi16ELi16ELi64ELi64ELi4ELi64ELi4ELi4ELi64ELc67ELc84EK16rocblas_bfloat16S2_S1_EEvlllT_PT11_llS5_llS3_PT12_llPT13_lli.uses_vcc, 1
	.set _ZN12_GLOBAL__N_127rocblas_gemm_batched_kernelIfLi16ELi16ELi64ELi64ELi4ELi64ELi4ELi4ELi64ELc67ELc84EK16rocblas_bfloat16S2_S1_EEvlllT_PT11_llS5_llS3_PT12_llPT13_lli.uses_flat_scratch, 0
	.set _ZN12_GLOBAL__N_127rocblas_gemm_batched_kernelIfLi16ELi16ELi64ELi64ELi4ELi64ELi4ELi4ELi64ELc67ELc84EK16rocblas_bfloat16S2_S1_EEvlllT_PT11_llS5_llS3_PT12_llPT13_lli.has_dyn_sized_stack, 0
	.set _ZN12_GLOBAL__N_127rocblas_gemm_batched_kernelIfLi16ELi16ELi64ELi64ELi4ELi64ELi4ELi4ELi64ELc67ELc84EK16rocblas_bfloat16S2_S1_EEvlllT_PT11_llS5_llS3_PT12_llPT13_lli.has_recursion, 0
	.set _ZN12_GLOBAL__N_127rocblas_gemm_batched_kernelIfLi16ELi16ELi64ELi64ELi4ELi64ELi4ELi4ELi64ELc67ELc84EK16rocblas_bfloat16S2_S1_EEvlllT_PT11_llS5_llS3_PT12_llPT13_lli.has_indirect_call, 0
	.section	.AMDGPU.csdata,"",@progbits
; Kernel info:
; codeLenInByte = 6220
; TotalNumSgprs: 24
; NumVgprs: 58
; ScratchSize: 0
; MemoryBound: 0
; FloatMode: 240
; IeeeMode: 1
; LDSByteSize: 2048 bytes/workgroup (compile time only)
; SGPRBlocks: 0
; VGPRBlocks: 7
; NumSGPRsForWavesPerEU: 24
; NumVGPRsForWavesPerEU: 58
; Occupancy: 16
; WaveLimiterHint : 0
; COMPUTE_PGM_RSRC2:SCRATCH_EN: 0
; COMPUTE_PGM_RSRC2:USER_SGPR: 6
; COMPUTE_PGM_RSRC2:TRAP_HANDLER: 0
; COMPUTE_PGM_RSRC2:TGID_X_EN: 1
; COMPUTE_PGM_RSRC2:TGID_Y_EN: 1
; COMPUTE_PGM_RSRC2:TGID_Z_EN: 1
; COMPUTE_PGM_RSRC2:TIDIG_COMP_CNT: 1
	.section	.text._ZN12_GLOBAL__N_127rocblas_gemm_batched_kernelIfLi16ELi16ELi64ELi64ELi4ELi64ELi4ELi4ELi64ELc78ELc67EK16rocblas_bfloat16S2_S1_EEvlllT_PT11_llS5_llS3_PT12_llPT13_lli,"axG",@progbits,_ZN12_GLOBAL__N_127rocblas_gemm_batched_kernelIfLi16ELi16ELi64ELi64ELi4ELi64ELi4ELi4ELi64ELc78ELc67EK16rocblas_bfloat16S2_S1_EEvlllT_PT11_llS5_llS3_PT12_llPT13_lli,comdat
	.globl	_ZN12_GLOBAL__N_127rocblas_gemm_batched_kernelIfLi16ELi16ELi64ELi64ELi4ELi64ELi4ELi4ELi64ELc78ELc67EK16rocblas_bfloat16S2_S1_EEvlllT_PT11_llS5_llS3_PT12_llPT13_lli ; -- Begin function _ZN12_GLOBAL__N_127rocblas_gemm_batched_kernelIfLi16ELi16ELi64ELi64ELi4ELi64ELi4ELi4ELi64ELc78ELc67EK16rocblas_bfloat16S2_S1_EEvlllT_PT11_llS5_llS3_PT12_llPT13_lli
	.p2align	8
	.type	_ZN12_GLOBAL__N_127rocblas_gemm_batched_kernelIfLi16ELi16ELi64ELi64ELi4ELi64ELi4ELi4ELi64ELc78ELc67EK16rocblas_bfloat16S2_S1_EEvlllT_PT11_llS5_llS3_PT12_llPT13_lli,@function
_ZN12_GLOBAL__N_127rocblas_gemm_batched_kernelIfLi16ELi16ELi64ELi64ELi4ELi64ELi4ELi4ELi64ELc78ELc67EK16rocblas_bfloat16S2_S1_EEvlllT_PT11_llS5_llS3_PT12_llPT13_lli: ; @_ZN12_GLOBAL__N_127rocblas_gemm_batched_kernelIfLi16ELi16ELi64ELi64ELi4ELi64ELi4ELi4ELi64ELc78ELc67EK16rocblas_bfloat16S2_S1_EEvlllT_PT11_llS5_llS3_PT12_llPT13_lli
; %bb.0:
	s_load_dwordx2 s[20:21], s[4:5], 0x10
	s_mov_b32 s0, s7
	v_mov_b32_e32 v21, 0
	v_mov_b32_e32 v20, 0
	;; [unrolled: 1-line block ×16, first 2 shown]
	s_ashr_i32 s7, s6, 31
	s_ashr_i32 s1, s0, 31
	s_waitcnt lgkmcnt(0)
	v_cmp_lt_i64_e64 s2, s[20:21], 1
	s_lshl_b64 s[6:7], s[6:7], 6
	s_lshl_b64 s[10:11], s[0:1], 6
	s_and_b32 vcc_lo, exec_lo, s2
	s_cbranch_vccnz .LBB425_3
; %bb.1:
	s_load_dwordx8 s[12:19], s[4:5], 0x20
	v_lshlrev_b32_e32 v2, 4, v1
	s_load_dwordx4 s[0:3], s[4:5], 0x40
	v_and_b32_e32 v9, 3, v0
	v_mov_b32_e32 v6, 0
	v_lshlrev_b32_e32 v22, 2, v0
	v_add_nc_u32_e32 v3, v2, v0
	v_add_nc_u32_e32 v23, 0x400, v2
	v_lshlrev_b32_e32 v7, 2, v9
	v_mov_b32_e32 v14, 0
	v_mov_b32_e32 v15, 0
	v_lshrrev_b32_e32 v8, 2, v3
	v_lshrrev_b32_e32 v11, 6, v3
	v_and_b32_e32 v10, 63, v3
	v_mov_b32_e32 v16, 0
	v_mov_b32_e32 v17, 0
	v_add_co_u32 v2, s9, v8, s10
	v_add_co_ci_u32_e64 v3, null, 0, s11, s9
	s_waitcnt lgkmcnt(0)
	v_mad_u64_u32 v[4:5], null, s14, v11, s[6:7]
	v_lshl_or_b32 v13, v8, 4, v7
	v_mad_u64_u32 v[2:3], null, s0, v9, v[2:3]
	s_mul_i32 s9, s17, s8
	s_mul_hi_u32 s17, s16, s8
	s_mul_i32 s16, s16, s8
	v_mad_u64_u32 v[7:8], null, s15, v11, v[5:6]
	s_add_i32 s17, s17, s9
	v_mad_u64_u32 v[8:9], null, s1, v9, v[3:4]
	v_add_co_u32 v4, vcc_lo, v4, v10
	s_lshl_b64 s[16:17], s[16:17], 1
	v_add_co_ci_u32_e64 v5, null, 0, v7, vcc_lo
	s_mul_i32 s3, s3, s8
	v_mov_b32_e32 v3, v8
	s_mul_hi_u32 s9, s2, s8
	v_lshlrev_b64 v[4:5], 1, v[4:5]
	s_add_u32 s16, s12, s16
	s_mul_i32 s2, s2, s8
	s_addc_u32 s17, s13, s17
	s_add_i32 s3, s9, s3
	v_lshlrev_b64 v[7:8], 1, v[2:3]
	s_lshl_b64 s[12:13], s[2:3], 1
	v_lshlrev_b32_e32 v12, 2, v10
	s_lshl_b64 s[2:3], s[14:15], 3
	v_add_co_u32 v2, vcc_lo, s16, v4
	s_add_u32 s9, s18, s12
	v_add_co_ci_u32_e64 v3, null, s17, v5, vcc_lo
	s_addc_u32 s12, s19, s13
	v_add_co_u32 v4, vcc_lo, s9, v7
	v_lshl_or_b32 v24, v11, 8, v12
	v_add_nc_u32_e32 v25, 0x400, v13
	v_add_co_ci_u32_e64 v5, null, s12, v8, vcc_lo
	v_mov_b32_e32 v7, 0
	v_mov_b32_e32 v8, 0
	;; [unrolled: 1-line block ×11, first 2 shown]
	s_lshl_b64 s[0:1], s[0:1], 3
	s_mov_b64 s[12:13], 0
.LBB425_2:                              ; =>This Inner Loop Header: Depth=1
	global_load_ushort v26, v[2:3], off
	global_load_ushort v27, v[4:5], off
	s_add_u32 s12, s12, 4
	s_addc_u32 s13, s13, 0
	v_add_co_u32 v2, vcc_lo, v2, s2
	v_cmp_lt_i64_e64 s9, s[12:13], s[20:21]
	v_add_co_ci_u32_e64 v3, null, s3, v3, vcc_lo
	v_add_co_u32 v4, vcc_lo, v4, s0
	v_add_co_ci_u32_e64 v5, null, s1, v5, vcc_lo
	s_and_b32 vcc_lo, exec_lo, s9
	s_waitcnt vmcnt(1)
	v_lshlrev_b32_e32 v26, 16, v26
	s_waitcnt vmcnt(0)
	v_lshlrev_b32_e32 v27, 16, v27
	ds_write_b32 v24, v26
	ds_write_b32 v25, v27
	s_waitcnt lgkmcnt(0)
	s_barrier
	buffer_gl0_inv
	ds_read_b128 v[26:29], v23
	ds_read2_b32 v[42:43], v22 offset1:16
	ds_read2_b32 v[44:45], v22 offset0:32 offset1:48
	ds_read_b128 v[30:33], v23 offset:256
	ds_read_b128 v[34:37], v23 offset:512
	;; [unrolled: 1-line block ×3, first 2 shown]
	ds_read2_b32 v[46:47], v22 offset0:64 offset1:80
	ds_read2_b32 v[48:49], v22 offset0:96 offset1:112
	;; [unrolled: 1-line block ×6, first 2 shown]
	s_waitcnt lgkmcnt(0)
	s_barrier
	buffer_gl0_inv
	v_fmac_f32_e32 v21, v42, v26
	v_fmac_f32_e32 v20, v43, v26
	;; [unrolled: 1-line block ×64, first 2 shown]
	s_cbranch_vccnz .LBB425_2
.LBB425_3:
	s_clause 0x3
	s_load_dwordx4 s[0:3], s[4:5], 0x78
	s_load_dword s9, s[4:5], 0x50
	s_load_dwordx8 s[12:19], s[4:5], 0x58
	s_load_dword s4, s[4:5], 0x18
	v_add_co_u32 v22, s5, s10, v1
	v_add_co_ci_u32_e64 v23, null, s11, 0, s5
	s_waitcnt lgkmcnt(0)
	s_mul_i32 s3, s3, s8
	s_mul_hi_u32 s5, s2, s8
	s_mul_i32 s2, s2, s8
	s_add_i32 s3, s5, s3
	v_cmp_neq_f32_e64 s10, s9, 0
	v_add_co_u32 v0, s5, s6, v0
	s_lshl_b64 s[2:3], s[2:3], 1
	v_add_co_ci_u32_e64 v1, null, s7, 0, s5
	s_add_u32 s5, s18, s2
	s_addc_u32 s6, s19, s3
	s_and_b32 vcc_lo, exec_lo, s10
	s_cbranch_vccnz .LBB425_196
; %bb.4:
	v_mul_f32_e32 v2, s4, v21
	s_mov_b32 s2, exec_lo
                                        ; implicit-def: $vgpr26
	v_and_b32_e32 v3, 0x7f800000, v2
	v_cmpx_ne_u32_e32 0x7f800000, v3
	s_xor_b32 s2, exec_lo, s2
; %bb.5:
	v_bfe_u32 v3, v2, 16, 1
	v_add3_u32 v26, v2, v3, 0x7fff
                                        ; implicit-def: $vgpr2
; %bb.6:
	s_andn2_saveexec_b32 s2, s2
; %bb.7:
	v_mov_b32_e32 v3, 0
	v_or_b32_e32 v4, 0x10000, v2
	v_cmp_eq_u32_sdwa vcc_lo, v2, v3 src0_sel:WORD_0 src1_sel:DWORD
	v_cndmask_b32_e32 v26, v4, v2, vcc_lo
; %bb.8:
	s_or_b32 exec_lo, exec_lo, s2
	v_mul_lo_u32 v4, v23, s0
	v_mul_lo_u32 v5, v22, s1
	v_mad_u64_u32 v[2:3], null, v22, s0, 0
	v_mul_f32_e32 v27, s4, v20
	v_and_b32_e32 v28, 0x7f800000, v27
	v_add3_u32 v3, v3, v5, v4
	v_lshlrev_b64 v[4:5], 1, v[2:3]
	v_lshlrev_b64 v[2:3], 1, v[0:1]
	v_add_co_u32 v24, vcc_lo, s5, v4
	v_add_co_ci_u32_e64 v25, null, s6, v5, vcc_lo
	v_add_co_u32 v4, vcc_lo, v24, v2
	v_add_co_ci_u32_e64 v5, null, v25, v3, vcc_lo
	v_cmp_ne_u32_e32 vcc_lo, 0x7f800000, v28
                                        ; implicit-def: $vgpr28
	global_store_short_d16_hi v[4:5], v26, off
	s_and_saveexec_b32 s2, vcc_lo
	s_xor_b32 s2, exec_lo, s2
; %bb.9:
	v_bfe_u32 v26, v27, 16, 1
	v_add3_u32 v28, v27, v26, 0x7fff
                                        ; implicit-def: $vgpr27
; %bb.10:
	s_andn2_saveexec_b32 s2, s2
; %bb.11:
	v_mov_b32_e32 v26, 0
	v_or_b32_e32 v28, 0x10000, v27
	v_cmp_eq_u32_sdwa vcc_lo, v27, v26 src0_sel:WORD_0 src1_sel:DWORD
	v_cndmask_b32_e32 v28, v28, v27, vcc_lo
; %bb.12:
	s_or_b32 exec_lo, exec_lo, s2
	v_mul_f32_e32 v26, s4, v19
	global_store_short_d16_hi v[4:5], v28, off offset:32
	v_and_b32_e32 v27, 0x7f800000, v26
	v_cmp_ne_u32_e32 vcc_lo, 0x7f800000, v27
                                        ; implicit-def: $vgpr27
	s_and_saveexec_b32 s2, vcc_lo
	s_xor_b32 s2, exec_lo, s2
; %bb.13:
	v_bfe_u32 v27, v26, 16, 1
	v_add3_u32 v27, v26, v27, 0x7fff
                                        ; implicit-def: $vgpr26
; %bb.14:
	s_andn2_saveexec_b32 s2, s2
; %bb.15:
	v_mov_b32_e32 v27, 0
	v_or_b32_e32 v28, 0x10000, v26
	v_cmp_eq_u32_sdwa vcc_lo, v26, v27 src0_sel:WORD_0 src1_sel:DWORD
	v_cndmask_b32_e32 v27, v28, v26, vcc_lo
; %bb.16:
	s_or_b32 exec_lo, exec_lo, s2
	v_mul_f32_e32 v26, s4, v18
	global_store_short_d16_hi v[4:5], v27, off offset:64
	v_and_b32_e32 v28, 0x7f800000, v26
	v_cmp_ne_u32_e32 vcc_lo, 0x7f800000, v28
                                        ; implicit-def: $vgpr28
	s_and_saveexec_b32 s2, vcc_lo
	s_xor_b32 s2, exec_lo, s2
; %bb.17:
	v_bfe_u32 v27, v26, 16, 1
	v_add3_u32 v28, v26, v27, 0x7fff
                                        ; implicit-def: $vgpr26
; %bb.18:
	s_andn2_saveexec_b32 s2, s2
; %bb.19:
	v_mov_b32_e32 v27, 0
	v_or_b32_e32 v28, 0x10000, v26
	v_cmp_eq_u32_sdwa vcc_lo, v26, v27 src0_sel:WORD_0 src1_sel:DWORD
	v_cndmask_b32_e32 v28, v28, v26, vcc_lo
; %bb.20:
	s_or_b32 exec_lo, exec_lo, s2
	v_mul_f32_e32 v27, s4, v17
	global_store_short_d16_hi v[4:5], v28, off offset:96
	v_and_b32_e32 v26, 0x7f800000, v27
	v_cmp_ne_u32_e32 vcc_lo, 0x7f800000, v26
                                        ; implicit-def: $vgpr26
	s_and_saveexec_b32 s2, vcc_lo
	s_xor_b32 s2, exec_lo, s2
; %bb.21:
	v_bfe_u32 v4, v27, 16, 1
	v_add3_u32 v26, v27, v4, 0x7fff
                                        ; implicit-def: $vgpr27
; %bb.22:
	s_andn2_saveexec_b32 s2, s2
; %bb.23:
	v_mov_b32_e32 v4, 0
	v_or_b32_e32 v5, 0x10000, v27
	v_cmp_eq_u32_sdwa vcc_lo, v27, v4 src0_sel:WORD_0 src1_sel:DWORD
	v_cndmask_b32_e32 v26, v5, v27, vcc_lo
; %bb.24:
	s_or_b32 exec_lo, exec_lo, s2
	v_mul_f32_e32 v27, s4, v16
	s_lshl_b64 s[2:3], s[0:1], 5
	v_add_co_u32 v24, vcc_lo, v24, s2
	v_add_co_ci_u32_e64 v25, null, s3, v25, vcc_lo
	v_and_b32_e32 v28, 0x7f800000, v27
	v_add_co_u32 v4, vcc_lo, v24, v2
	v_add_co_ci_u32_e64 v5, null, v25, v3, vcc_lo
	v_cmp_ne_u32_e32 vcc_lo, 0x7f800000, v28
                                        ; implicit-def: $vgpr28
	global_store_short_d16_hi v[4:5], v26, off
	s_and_saveexec_b32 s2, vcc_lo
	s_xor_b32 s2, exec_lo, s2
; %bb.25:
	v_bfe_u32 v26, v27, 16, 1
	v_add3_u32 v28, v27, v26, 0x7fff
                                        ; implicit-def: $vgpr27
; %bb.26:
	s_andn2_saveexec_b32 s2, s2
; %bb.27:
	v_mov_b32_e32 v26, 0
	v_or_b32_e32 v28, 0x10000, v27
	v_cmp_eq_u32_sdwa vcc_lo, v27, v26 src0_sel:WORD_0 src1_sel:DWORD
	v_cndmask_b32_e32 v28, v28, v27, vcc_lo
; %bb.28:
	s_or_b32 exec_lo, exec_lo, s2
	v_mul_f32_e32 v26, s4, v15
	global_store_short_d16_hi v[4:5], v28, off offset:32
	v_and_b32_e32 v27, 0x7f800000, v26
	v_cmp_ne_u32_e32 vcc_lo, 0x7f800000, v27
                                        ; implicit-def: $vgpr27
	s_and_saveexec_b32 s2, vcc_lo
	s_xor_b32 s2, exec_lo, s2
; %bb.29:
	v_bfe_u32 v27, v26, 16, 1
	v_add3_u32 v27, v26, v27, 0x7fff
                                        ; implicit-def: $vgpr26
; %bb.30:
	s_andn2_saveexec_b32 s2, s2
; %bb.31:
	v_mov_b32_e32 v27, 0
	v_or_b32_e32 v28, 0x10000, v26
	v_cmp_eq_u32_sdwa vcc_lo, v26, v27 src0_sel:WORD_0 src1_sel:DWORD
	v_cndmask_b32_e32 v27, v28, v26, vcc_lo
; %bb.32:
	s_or_b32 exec_lo, exec_lo, s2
	v_mul_f32_e32 v26, s4, v14
	global_store_short_d16_hi v[4:5], v27, off offset:64
	v_and_b32_e32 v28, 0x7f800000, v26
	v_cmp_ne_u32_e32 vcc_lo, 0x7f800000, v28
                                        ; implicit-def: $vgpr28
	s_and_saveexec_b32 s2, vcc_lo
	s_xor_b32 s2, exec_lo, s2
; %bb.33:
	v_bfe_u32 v27, v26, 16, 1
	v_add3_u32 v28, v26, v27, 0x7fff
                                        ; implicit-def: $vgpr26
; %bb.34:
	s_andn2_saveexec_b32 s2, s2
; %bb.35:
	v_mov_b32_e32 v27, 0
	v_or_b32_e32 v28, 0x10000, v26
	v_cmp_eq_u32_sdwa vcc_lo, v26, v27 src0_sel:WORD_0 src1_sel:DWORD
	v_cndmask_b32_e32 v28, v28, v26, vcc_lo
; %bb.36:
	s_or_b32 exec_lo, exec_lo, s2
	v_mul_f32_e32 v27, s4, v13
	global_store_short_d16_hi v[4:5], v28, off offset:96
	v_and_b32_e32 v26, 0x7f800000, v27
	v_cmp_ne_u32_e32 vcc_lo, 0x7f800000, v26
                                        ; implicit-def: $vgpr26
	s_and_saveexec_b32 s2, vcc_lo
	s_xor_b32 s2, exec_lo, s2
; %bb.37:
	v_bfe_u32 v4, v27, 16, 1
	v_add3_u32 v26, v27, v4, 0x7fff
                                        ; implicit-def: $vgpr27
; %bb.38:
	s_or_saveexec_b32 s7, s2
	s_lshl_b64 s[2:3], s[0:1], 4
	s_xor_b32 exec_lo, exec_lo, s7
; %bb.39:
	v_mov_b32_e32 v4, 0
	v_or_b32_e32 v5, 0x10000, v27
	v_cmp_eq_u32_sdwa vcc_lo, v27, v4 src0_sel:WORD_0 src1_sel:DWORD
	v_cndmask_b32_e32 v26, v5, v27, vcc_lo
; %bb.40:
	s_or_b32 exec_lo, exec_lo, s7
	v_mul_f32_e32 v27, s4, v12
	s_lshl_b64 s[2:3], s[2:3], 1
	v_add_co_u32 v24, vcc_lo, v24, s2
	v_add_co_ci_u32_e64 v25, null, s3, v25, vcc_lo
	v_and_b32_e32 v28, 0x7f800000, v27
	v_add_co_u32 v4, vcc_lo, v24, v2
	v_add_co_ci_u32_e64 v5, null, v25, v3, vcc_lo
	v_cmp_ne_u32_e32 vcc_lo, 0x7f800000, v28
                                        ; implicit-def: $vgpr28
	global_store_short_d16_hi v[4:5], v26, off
	s_and_saveexec_b32 s7, vcc_lo
	s_xor_b32 s7, exec_lo, s7
; %bb.41:
	v_bfe_u32 v26, v27, 16, 1
	v_add3_u32 v28, v27, v26, 0x7fff
                                        ; implicit-def: $vgpr27
; %bb.42:
	s_andn2_saveexec_b32 s7, s7
; %bb.43:
	v_mov_b32_e32 v26, 0
	v_or_b32_e32 v28, 0x10000, v27
	v_cmp_eq_u32_sdwa vcc_lo, v27, v26 src0_sel:WORD_0 src1_sel:DWORD
	v_cndmask_b32_e32 v28, v28, v27, vcc_lo
; %bb.44:
	s_or_b32 exec_lo, exec_lo, s7
	v_mul_f32_e32 v26, s4, v11
	global_store_short_d16_hi v[4:5], v28, off offset:32
	v_and_b32_e32 v27, 0x7f800000, v26
	v_cmp_ne_u32_e32 vcc_lo, 0x7f800000, v27
                                        ; implicit-def: $vgpr27
	s_and_saveexec_b32 s7, vcc_lo
	s_xor_b32 s7, exec_lo, s7
; %bb.45:
	v_bfe_u32 v27, v26, 16, 1
	v_add3_u32 v27, v26, v27, 0x7fff
                                        ; implicit-def: $vgpr26
; %bb.46:
	s_andn2_saveexec_b32 s7, s7
; %bb.47:
	v_mov_b32_e32 v27, 0
	v_or_b32_e32 v28, 0x10000, v26
	v_cmp_eq_u32_sdwa vcc_lo, v26, v27 src0_sel:WORD_0 src1_sel:DWORD
	v_cndmask_b32_e32 v27, v28, v26, vcc_lo
; %bb.48:
	s_or_b32 exec_lo, exec_lo, s7
	v_mul_f32_e32 v26, s4, v10
	s_mov_b32 s7, exec_lo
	global_store_short_d16_hi v[4:5], v27, off offset:64
                                        ; implicit-def: $vgpr27
	v_and_b32_e32 v28, 0x7f800000, v26
	v_cmpx_ne_u32_e32 0x7f800000, v28
	s_xor_b32 s7, exec_lo, s7
; %bb.49:
	v_bfe_u32 v27, v26, 16, 1
	v_add3_u32 v27, v26, v27, 0x7fff
                                        ; implicit-def: $vgpr26
; %bb.50:
	s_andn2_saveexec_b32 s7, s7
; %bb.51:
	v_mov_b32_e32 v27, 0
	v_or_b32_e32 v28, 0x10000, v26
	v_cmp_eq_u32_sdwa vcc_lo, v26, v27 src0_sel:WORD_0 src1_sel:DWORD
	v_cndmask_b32_e32 v27, v28, v26, vcc_lo
; %bb.52:
	s_or_b32 exec_lo, exec_lo, s7
	v_mul_f32_e32 v26, s4, v9
	s_mov_b32 s7, exec_lo
	global_store_short_d16_hi v[4:5], v27, off offset:96
                                        ; implicit-def: $vgpr4
	v_and_b32_e32 v28, 0x7f800000, v26
	v_cmpx_ne_u32_e32 0x7f800000, v28
	s_xor_b32 s7, exec_lo, s7
; %bb.53:
	v_bfe_u32 v4, v26, 16, 1
	v_add3_u32 v4, v26, v4, 0x7fff
                                        ; implicit-def: $vgpr26
; %bb.54:
	s_andn2_saveexec_b32 s7, s7
; %bb.55:
	v_mov_b32_e32 v4, 0
	v_or_b32_e32 v5, 0x10000, v26
	v_cmp_eq_u32_sdwa vcc_lo, v26, v4 src0_sel:WORD_0 src1_sel:DWORD
	v_cndmask_b32_e32 v4, v5, v26, vcc_lo
; %bb.56:
	s_or_b32 exec_lo, exec_lo, s7
	v_add_co_u32 v24, vcc_lo, v24, s2
	v_mul_f32_e32 v5, s4, v8
	v_add_co_ci_u32_e64 v25, null, s3, v25, vcc_lo
	v_add_co_u32 v2, vcc_lo, v24, v2
	v_and_b32_e32 v26, 0x7f800000, v5
	v_add_co_ci_u32_e64 v3, null, v25, v3, vcc_lo
	s_mov_b32 s2, exec_lo
                                        ; implicit-def: $vgpr24
	global_store_short_d16_hi v[2:3], v4, off
	v_cmpx_ne_u32_e32 0x7f800000, v26
	s_xor_b32 s2, exec_lo, s2
; %bb.57:
	v_bfe_u32 v4, v5, 16, 1
	v_add3_u32 v24, v5, v4, 0x7fff
                                        ; implicit-def: $vgpr5
; %bb.58:
	s_andn2_saveexec_b32 s2, s2
; %bb.59:
	v_mov_b32_e32 v4, 0
	v_or_b32_e32 v24, 0x10000, v5
	v_cmp_eq_u32_sdwa vcc_lo, v5, v4 src0_sel:WORD_0 src1_sel:DWORD
	v_cndmask_b32_e32 v24, v24, v5, vcc_lo
; %bb.60:
	s_or_b32 exec_lo, exec_lo, s2
	v_mul_f32_e32 v4, s4, v7
	global_store_short_d16_hi v[2:3], v24, off offset:32
	v_and_b32_e32 v5, 0x7f800000, v4
	v_cmp_ne_u32_e32 vcc_lo, 0x7f800000, v5
                                        ; implicit-def: $vgpr5
	s_and_saveexec_b32 s2, vcc_lo
	s_xor_b32 s2, exec_lo, s2
; %bb.61:
	v_bfe_u32 v5, v4, 16, 1
	v_add3_u32 v5, v4, v5, 0x7fff
                                        ; implicit-def: $vgpr4
; %bb.62:
	s_andn2_saveexec_b32 s2, s2
; %bb.63:
	v_mov_b32_e32 v5, 0
	v_or_b32_e32 v24, 0x10000, v4
	v_cmp_eq_u32_sdwa vcc_lo, v4, v5 src0_sel:WORD_0 src1_sel:DWORD
	v_cndmask_b32_e32 v5, v24, v4, vcc_lo
; %bb.64:
	s_or_b32 exec_lo, exec_lo, s2
	v_mul_f32_e32 v4, s4, v6
	s_mov_b32 s2, exec_lo
	global_store_short_d16_hi v[2:3], v5, off offset:64
                                        ; implicit-def: $vgpr5
	v_and_b32_e32 v24, 0x7f800000, v4
	v_cmpx_ne_u32_e32 0x7f800000, v24
	s_xor_b32 s2, exec_lo, s2
; %bb.65:
	v_bfe_u32 v5, v4, 16, 1
	v_add3_u32 v5, v4, v5, 0x7fff
                                        ; implicit-def: $vgpr4
; %bb.66:
	s_andn2_saveexec_b32 s2, s2
; %bb.67:
	v_mov_b32_e32 v5, 0
	v_or_b32_e32 v24, 0x10000, v4
	v_cmp_eq_u32_sdwa vcc_lo, v4, v5 src0_sel:WORD_0 src1_sel:DWORD
	v_cndmask_b32_e32 v5, v24, v4, vcc_lo
; %bb.68:
	s_or_b32 exec_lo, exec_lo, s2
	global_store_short_d16_hi v[2:3], v5, off offset:96
	s_branch .LBB425_197
.LBB425_69:
	v_mul_lo_u32 v4, v23, s14
	v_mul_lo_u32 v5, v22, s15
	v_mad_u64_u32 v[2:3], null, v22, s14, 0
	s_mul_i32 s3, s17, s8
	s_mul_hi_u32 s7, s16, s8
	s_mul_i32 s2, s16, s8
	s_add_i32 s3, s7, s3
	v_lshlrev_b64 v[0:1], 1, v[0:1]
	s_lshl_b64 s[2:3], s[2:3], 1
	v_add3_u32 v3, v3, v5, v4
	s_add_u32 s2, s12, s2
	s_addc_u32 s3, s13, s3
	v_lshlrev_b64 v[2:3], 1, v[2:3]
	v_add_co_u32 v24, vcc_lo, s2, v2
	v_add_co_ci_u32_e64 v25, null, s3, v3, vcc_lo
	v_add_co_u32 v2, vcc_lo, v24, v0
	v_add_co_ci_u32_e64 v3, null, v25, v1, vcc_lo
	global_load_ushort v4, v[2:3], off
	s_waitcnt vmcnt(0)
	v_lshlrev_b32_e32 v4, 16, v4
	v_mul_f32_e32 v4, s9, v4
	v_and_b32_e32 v5, 0x7f800000, v4
	v_cmp_ne_u32_e32 vcc_lo, 0x7f800000, v5
                                        ; implicit-def: $vgpr5
	s_and_saveexec_b32 s2, vcc_lo
	s_xor_b32 s2, exec_lo, s2
; %bb.70:
	v_bfe_u32 v5, v4, 16, 1
	v_add3_u32 v5, v4, v5, 0x7fff
                                        ; implicit-def: $vgpr4
; %bb.71:
	s_andn2_saveexec_b32 s2, s2
; %bb.72:
	v_mov_b32_e32 v5, 0
	v_or_b32_e32 v26, 0x10000, v4
	v_cmp_eq_u32_sdwa vcc_lo, v4, v5 src0_sel:WORD_0 src1_sel:DWORD
	v_cndmask_b32_e32 v5, v26, v4, vcc_lo
; %bb.73:
	s_or_b32 exec_lo, exec_lo, s2
	v_and_b32_e32 v4, 0xffff0000, v5
	s_mov_b32 s2, exec_lo
                                        ; implicit-def: $vgpr26
	v_fmac_f32_e32 v4, s4, v21
	v_and_b32_e32 v5, 0x7f800000, v4
	v_cmpx_ne_u32_e32 0x7f800000, v5
	s_xor_b32 s2, exec_lo, s2
; %bb.74:
	v_bfe_u32 v5, v4, 16, 1
	v_add3_u32 v26, v4, v5, 0x7fff
                                        ; implicit-def: $vgpr4
; %bb.75:
	s_andn2_saveexec_b32 s2, s2
; %bb.76:
	v_mov_b32_e32 v5, 0
	v_or_b32_e32 v21, 0x10000, v4
	v_cmp_eq_u32_sdwa vcc_lo, v4, v5 src0_sel:WORD_0 src1_sel:DWORD
	v_cndmask_b32_e32 v26, v21, v4, vcc_lo
; %bb.77:
	s_or_b32 exec_lo, exec_lo, s2
	v_mul_lo_u32 v21, v23, s0
	v_mul_lo_u32 v23, v22, s1
	v_mad_u64_u32 v[4:5], null, v22, s0, 0
	v_add3_u32 v5, v5, v23, v21
	v_lshlrev_b64 v[4:5], 1, v[4:5]
	v_add_co_u32 v21, vcc_lo, s5, v4
	v_add_co_ci_u32_e64 v22, null, s6, v5, vcc_lo
	v_add_co_u32 v4, vcc_lo, v21, v0
	v_add_co_ci_u32_e64 v5, null, v22, v1, vcc_lo
	global_store_short_d16_hi v[4:5], v26, off
	global_load_ushort v23, v[2:3], off offset:32
	s_waitcnt vmcnt(0)
	v_lshlrev_b32_e32 v23, 16, v23
	v_mul_f32_e32 v23, s9, v23
	v_and_b32_e32 v26, 0x7f800000, v23
	v_cmp_ne_u32_e32 vcc_lo, 0x7f800000, v26
                                        ; implicit-def: $vgpr26
	s_and_saveexec_b32 s2, vcc_lo
	s_xor_b32 s2, exec_lo, s2
; %bb.78:
	v_bfe_u32 v26, v23, 16, 1
	v_add3_u32 v26, v23, v26, 0x7fff
                                        ; implicit-def: $vgpr23
; %bb.79:
	s_andn2_saveexec_b32 s2, s2
; %bb.80:
	v_mov_b32_e32 v26, 0
	v_or_b32_e32 v27, 0x10000, v23
	v_cmp_eq_u32_sdwa vcc_lo, v23, v26 src0_sel:WORD_0 src1_sel:DWORD
	v_cndmask_b32_e32 v26, v27, v23, vcc_lo
; %bb.81:
	s_or_b32 exec_lo, exec_lo, s2
	v_and_b32_e32 v23, 0xffff0000, v26
	v_fmac_f32_e32 v23, s4, v20
	v_and_b32_e32 v20, 0x7f800000, v23
	v_cmp_ne_u32_e32 vcc_lo, 0x7f800000, v20
                                        ; implicit-def: $vgpr20
	s_and_saveexec_b32 s2, vcc_lo
	s_xor_b32 s2, exec_lo, s2
; %bb.82:
	v_bfe_u32 v20, v23, 16, 1
	v_add3_u32 v20, v23, v20, 0x7fff
                                        ; implicit-def: $vgpr23
; %bb.83:
	s_andn2_saveexec_b32 s2, s2
; %bb.84:
	v_mov_b32_e32 v20, 0
	v_or_b32_e32 v26, 0x10000, v23
	v_cmp_eq_u32_sdwa vcc_lo, v23, v20 src0_sel:WORD_0 src1_sel:DWORD
	v_cndmask_b32_e32 v20, v26, v23, vcc_lo
; %bb.85:
	s_or_b32 exec_lo, exec_lo, s2
	global_store_short_d16_hi v[4:5], v20, off offset:32
	global_load_ushort v20, v[2:3], off offset:64
	s_waitcnt vmcnt(0)
	v_lshlrev_b32_e32 v20, 16, v20
	v_mul_f32_e32 v20, s9, v20
	v_and_b32_e32 v23, 0x7f800000, v20
	v_cmp_ne_u32_e32 vcc_lo, 0x7f800000, v23
                                        ; implicit-def: $vgpr23
	s_and_saveexec_b32 s2, vcc_lo
	s_xor_b32 s2, exec_lo, s2
; %bb.86:
	v_bfe_u32 v23, v20, 16, 1
	v_add3_u32 v23, v20, v23, 0x7fff
                                        ; implicit-def: $vgpr20
; %bb.87:
	s_andn2_saveexec_b32 s2, s2
; %bb.88:
	v_mov_b32_e32 v23, 0
	v_or_b32_e32 v26, 0x10000, v20
	v_cmp_eq_u32_sdwa vcc_lo, v20, v23 src0_sel:WORD_0 src1_sel:DWORD
	v_cndmask_b32_e32 v23, v26, v20, vcc_lo
; %bb.89:
	s_or_b32 exec_lo, exec_lo, s2
	v_and_b32_e32 v20, 0xffff0000, v23
	v_fmac_f32_e32 v20, s4, v19
	v_and_b32_e32 v19, 0x7f800000, v20
	v_cmp_ne_u32_e32 vcc_lo, 0x7f800000, v19
                                        ; implicit-def: $vgpr19
	s_and_saveexec_b32 s2, vcc_lo
	s_xor_b32 s2, exec_lo, s2
; %bb.90:
	v_bfe_u32 v19, v20, 16, 1
	v_add3_u32 v19, v20, v19, 0x7fff
                                        ; implicit-def: $vgpr20
; %bb.91:
	s_andn2_saveexec_b32 s2, s2
; %bb.92:
	v_mov_b32_e32 v19, 0
	v_or_b32_e32 v23, 0x10000, v20
	v_cmp_eq_u32_sdwa vcc_lo, v20, v19 src0_sel:WORD_0 src1_sel:DWORD
	v_cndmask_b32_e32 v19, v23, v20, vcc_lo
; %bb.93:
	s_or_b32 exec_lo, exec_lo, s2
	global_store_short_d16_hi v[4:5], v19, off offset:64
	global_load_ushort v2, v[2:3], off offset:96
	s_waitcnt vmcnt(0)
	v_lshlrev_b32_e32 v2, 16, v2
	v_mul_f32_e32 v2, s9, v2
	v_and_b32_e32 v3, 0x7f800000, v2
	v_cmp_ne_u32_e32 vcc_lo, 0x7f800000, v3
                                        ; implicit-def: $vgpr3
	s_and_saveexec_b32 s2, vcc_lo
	s_xor_b32 s2, exec_lo, s2
; %bb.94:
	v_bfe_u32 v3, v2, 16, 1
	v_add3_u32 v3, v2, v3, 0x7fff
                                        ; implicit-def: $vgpr2
; %bb.95:
	s_andn2_saveexec_b32 s2, s2
; %bb.96:
	v_mov_b32_e32 v3, 0
	v_or_b32_e32 v19, 0x10000, v2
	v_cmp_eq_u32_sdwa vcc_lo, v2, v3 src0_sel:WORD_0 src1_sel:DWORD
	v_cndmask_b32_e32 v3, v19, v2, vcc_lo
; %bb.97:
	s_or_b32 exec_lo, exec_lo, s2
	v_and_b32_e32 v2, 0xffff0000, v3
	s_mov_b32 s2, exec_lo
	v_fmac_f32_e32 v2, s4, v18
                                        ; implicit-def: $vgpr18
	v_and_b32_e32 v3, 0x7f800000, v2
	v_cmpx_ne_u32_e32 0x7f800000, v3
	s_xor_b32 s2, exec_lo, s2
; %bb.98:
	v_bfe_u32 v3, v2, 16, 1
	v_add3_u32 v18, v2, v3, 0x7fff
                                        ; implicit-def: $vgpr2
; %bb.99:
	s_andn2_saveexec_b32 s2, s2
; %bb.100:
	v_mov_b32_e32 v3, 0
	v_or_b32_e32 v18, 0x10000, v2
	v_cmp_eq_u32_sdwa vcc_lo, v2, v3 src0_sel:WORD_0 src1_sel:DWORD
	v_cndmask_b32_e32 v18, v18, v2, vcc_lo
; %bb.101:
	s_or_b32 exec_lo, exec_lo, s2
	s_lshl_b64 s[2:3], s[14:15], 5
	global_store_short_d16_hi v[4:5], v18, off offset:96
	v_add_co_u32 v19, vcc_lo, v24, s2
	v_add_co_ci_u32_e64 v20, null, s3, v25, vcc_lo
	v_add_co_u32 v2, vcc_lo, v19, v0
	v_add_co_ci_u32_e64 v3, null, v20, v1, vcc_lo
	global_load_ushort v4, v[2:3], off
	s_waitcnt vmcnt(0)
	v_lshlrev_b32_e32 v4, 16, v4
	v_mul_f32_e32 v4, s9, v4
	v_and_b32_e32 v5, 0x7f800000, v4
	v_cmp_ne_u32_e32 vcc_lo, 0x7f800000, v5
                                        ; implicit-def: $vgpr5
	s_and_saveexec_b32 s2, vcc_lo
	s_xor_b32 s2, exec_lo, s2
; %bb.102:
	v_bfe_u32 v5, v4, 16, 1
	v_add3_u32 v5, v4, v5, 0x7fff
                                        ; implicit-def: $vgpr4
; %bb.103:
	s_andn2_saveexec_b32 s2, s2
; %bb.104:
	v_mov_b32_e32 v5, 0
	v_or_b32_e32 v18, 0x10000, v4
	v_cmp_eq_u32_sdwa vcc_lo, v4, v5 src0_sel:WORD_0 src1_sel:DWORD
	v_cndmask_b32_e32 v5, v18, v4, vcc_lo
; %bb.105:
	s_or_b32 exec_lo, exec_lo, s2
	v_and_b32_e32 v4, 0xffff0000, v5
	s_mov_b32 s2, exec_lo
                                        ; implicit-def: $vgpr23
	v_fmac_f32_e32 v4, s4, v17
	v_and_b32_e32 v5, 0x7f800000, v4
	v_cmpx_ne_u32_e32 0x7f800000, v5
	s_xor_b32 s2, exec_lo, s2
; %bb.106:
	v_bfe_u32 v5, v4, 16, 1
	v_add3_u32 v23, v4, v5, 0x7fff
                                        ; implicit-def: $vgpr4
; %bb.107:
	s_andn2_saveexec_b32 s2, s2
; %bb.108:
	v_mov_b32_e32 v5, 0
	v_or_b32_e32 v17, 0x10000, v4
	v_cmp_eq_u32_sdwa vcc_lo, v4, v5 src0_sel:WORD_0 src1_sel:DWORD
	v_cndmask_b32_e32 v23, v17, v4, vcc_lo
; %bb.109:
	s_or_b32 exec_lo, exec_lo, s2
	s_lshl_b64 s[2:3], s[0:1], 5
	v_add_co_u32 v17, vcc_lo, v21, s2
	v_add_co_ci_u32_e64 v18, null, s3, v22, vcc_lo
	v_add_co_u32 v4, vcc_lo, v17, v0
	v_add_co_ci_u32_e64 v5, null, v18, v1, vcc_lo
	global_store_short_d16_hi v[4:5], v23, off
	global_load_ushort v21, v[2:3], off offset:32
	s_waitcnt vmcnt(0)
	v_lshlrev_b32_e32 v21, 16, v21
	v_mul_f32_e32 v21, s9, v21
	v_and_b32_e32 v22, 0x7f800000, v21
	v_cmp_ne_u32_e32 vcc_lo, 0x7f800000, v22
                                        ; implicit-def: $vgpr22
	s_and_saveexec_b32 s2, vcc_lo
	s_xor_b32 s2, exec_lo, s2
; %bb.110:
	v_bfe_u32 v22, v21, 16, 1
	v_add3_u32 v22, v21, v22, 0x7fff
                                        ; implicit-def: $vgpr21
; %bb.111:
	s_andn2_saveexec_b32 s2, s2
; %bb.112:
	v_mov_b32_e32 v22, 0
	v_or_b32_e32 v23, 0x10000, v21
	v_cmp_eq_u32_sdwa vcc_lo, v21, v22 src0_sel:WORD_0 src1_sel:DWORD
	v_cndmask_b32_e32 v22, v23, v21, vcc_lo
; %bb.113:
	s_or_b32 exec_lo, exec_lo, s2
	v_and_b32_e32 v21, 0xffff0000, v22
	v_fmac_f32_e32 v21, s4, v16
	v_and_b32_e32 v16, 0x7f800000, v21
	v_cmp_ne_u32_e32 vcc_lo, 0x7f800000, v16
                                        ; implicit-def: $vgpr16
	s_and_saveexec_b32 s2, vcc_lo
	s_xor_b32 s2, exec_lo, s2
; %bb.114:
	v_bfe_u32 v16, v21, 16, 1
	v_add3_u32 v16, v21, v16, 0x7fff
                                        ; implicit-def: $vgpr21
; %bb.115:
	s_andn2_saveexec_b32 s2, s2
; %bb.116:
	v_mov_b32_e32 v16, 0
	v_or_b32_e32 v22, 0x10000, v21
	v_cmp_eq_u32_sdwa vcc_lo, v21, v16 src0_sel:WORD_0 src1_sel:DWORD
	v_cndmask_b32_e32 v16, v22, v21, vcc_lo
; %bb.117:
	s_or_b32 exec_lo, exec_lo, s2
	global_store_short_d16_hi v[4:5], v16, off offset:32
	global_load_ushort v16, v[2:3], off offset:64
	s_waitcnt vmcnt(0)
	v_lshlrev_b32_e32 v16, 16, v16
	v_mul_f32_e32 v16, s9, v16
	v_and_b32_e32 v21, 0x7f800000, v16
	v_cmp_ne_u32_e32 vcc_lo, 0x7f800000, v21
                                        ; implicit-def: $vgpr21
	s_and_saveexec_b32 s2, vcc_lo
	s_xor_b32 s2, exec_lo, s2
; %bb.118:
	v_bfe_u32 v21, v16, 16, 1
	v_add3_u32 v21, v16, v21, 0x7fff
                                        ; implicit-def: $vgpr16
; %bb.119:
	s_andn2_saveexec_b32 s2, s2
; %bb.120:
	v_mov_b32_e32 v21, 0
	v_or_b32_e32 v22, 0x10000, v16
	v_cmp_eq_u32_sdwa vcc_lo, v16, v21 src0_sel:WORD_0 src1_sel:DWORD
	v_cndmask_b32_e32 v21, v22, v16, vcc_lo
; %bb.121:
	s_or_b32 exec_lo, exec_lo, s2
	v_and_b32_e32 v16, 0xffff0000, v21
	v_fmac_f32_e32 v16, s4, v15
	v_and_b32_e32 v15, 0x7f800000, v16
	v_cmp_ne_u32_e32 vcc_lo, 0x7f800000, v15
                                        ; implicit-def: $vgpr15
	s_and_saveexec_b32 s2, vcc_lo
	s_xor_b32 s2, exec_lo, s2
; %bb.122:
	v_bfe_u32 v15, v16, 16, 1
	v_add3_u32 v15, v16, v15, 0x7fff
                                        ; implicit-def: $vgpr16
; %bb.123:
	s_andn2_saveexec_b32 s2, s2
; %bb.124:
	v_mov_b32_e32 v15, 0
	v_or_b32_e32 v21, 0x10000, v16
	v_cmp_eq_u32_sdwa vcc_lo, v16, v15 src0_sel:WORD_0 src1_sel:DWORD
	v_cndmask_b32_e32 v15, v21, v16, vcc_lo
; %bb.125:
	s_or_b32 exec_lo, exec_lo, s2
	global_store_short_d16_hi v[4:5], v15, off offset:64
	global_load_ushort v2, v[2:3], off offset:96
	s_waitcnt vmcnt(0)
	v_lshlrev_b32_e32 v2, 16, v2
	v_mul_f32_e32 v2, s9, v2
	v_and_b32_e32 v3, 0x7f800000, v2
	v_cmp_ne_u32_e32 vcc_lo, 0x7f800000, v3
                                        ; implicit-def: $vgpr3
	s_and_saveexec_b32 s2, vcc_lo
	s_xor_b32 s2, exec_lo, s2
; %bb.126:
	v_bfe_u32 v3, v2, 16, 1
	v_add3_u32 v3, v2, v3, 0x7fff
                                        ; implicit-def: $vgpr2
; %bb.127:
	s_andn2_saveexec_b32 s2, s2
; %bb.128:
	v_mov_b32_e32 v3, 0
	v_or_b32_e32 v15, 0x10000, v2
	v_cmp_eq_u32_sdwa vcc_lo, v2, v3 src0_sel:WORD_0 src1_sel:DWORD
	v_cndmask_b32_e32 v3, v15, v2, vcc_lo
; %bb.129:
	s_or_b32 exec_lo, exec_lo, s2
	v_and_b32_e32 v2, 0xffff0000, v3
	s_mov_b32 s2, exec_lo
                                        ; implicit-def: $vgpr16
	v_fmac_f32_e32 v2, s4, v14
	v_and_b32_e32 v3, 0x7f800000, v2
	v_cmpx_ne_u32_e32 0x7f800000, v3
	s_xor_b32 s2, exec_lo, s2
; %bb.130:
	v_bfe_u32 v3, v2, 16, 1
	v_add3_u32 v16, v2, v3, 0x7fff
                                        ; implicit-def: $vgpr2
; %bb.131:
	s_or_saveexec_b32 s5, s2
	s_lshl_b64 s[2:3], s[14:15], 4
	s_xor_b32 exec_lo, exec_lo, s5
; %bb.132:
	v_mov_b32_e32 v3, 0
	v_or_b32_e32 v14, 0x10000, v2
	v_cmp_eq_u32_sdwa vcc_lo, v2, v3 src0_sel:WORD_0 src1_sel:DWORD
	v_cndmask_b32_e32 v16, v14, v2, vcc_lo
; %bb.133:
	s_or_b32 exec_lo, exec_lo, s5
	s_lshl_b64 s[2:3], s[2:3], 1
	global_store_short_d16_hi v[4:5], v16, off offset:96
	v_add_co_u32 v14, vcc_lo, v19, s2
	v_add_co_ci_u32_e64 v15, null, s3, v20, vcc_lo
	v_add_co_u32 v2, vcc_lo, v14, v0
	v_add_co_ci_u32_e64 v3, null, v15, v1, vcc_lo
	global_load_ushort v4, v[2:3], off
	s_waitcnt vmcnt(0)
	v_lshlrev_b32_e32 v4, 16, v4
	v_mul_f32_e32 v4, s9, v4
	v_and_b32_e32 v5, 0x7f800000, v4
	v_cmp_ne_u32_e32 vcc_lo, 0x7f800000, v5
                                        ; implicit-def: $vgpr5
	s_and_saveexec_b32 s5, vcc_lo
	s_xor_b32 s5, exec_lo, s5
; %bb.134:
	v_bfe_u32 v5, v4, 16, 1
	v_add3_u32 v5, v4, v5, 0x7fff
                                        ; implicit-def: $vgpr4
; %bb.135:
	s_andn2_saveexec_b32 s5, s5
; %bb.136:
	v_mov_b32_e32 v5, 0
	v_or_b32_e32 v16, 0x10000, v4
	v_cmp_eq_u32_sdwa vcc_lo, v4, v5 src0_sel:WORD_0 src1_sel:DWORD
	v_cndmask_b32_e32 v5, v16, v4, vcc_lo
; %bb.137:
	s_or_b32 exec_lo, exec_lo, s5
	v_and_b32_e32 v4, 0xffff0000, v5
	s_mov_b32 s5, exec_lo
                                        ; implicit-def: $vgpr19
	v_fmac_f32_e32 v4, s4, v13
	v_and_b32_e32 v5, 0x7f800000, v4
	v_cmpx_ne_u32_e32 0x7f800000, v5
	s_xor_b32 s5, exec_lo, s5
; %bb.138:
	v_bfe_u32 v5, v4, 16, 1
	v_add3_u32 v19, v4, v5, 0x7fff
                                        ; implicit-def: $vgpr4
; %bb.139:
	s_or_saveexec_b32 s5, s5
	s_lshl_b64 s[0:1], s[0:1], 4
	s_xor_b32 exec_lo, exec_lo, s5
; %bb.140:
	v_mov_b32_e32 v5, 0
	v_or_b32_e32 v13, 0x10000, v4
	v_cmp_eq_u32_sdwa vcc_lo, v4, v5 src0_sel:WORD_0 src1_sel:DWORD
	v_cndmask_b32_e32 v19, v13, v4, vcc_lo
; %bb.141:
	s_or_b32 exec_lo, exec_lo, s5
	s_lshl_b64 s[0:1], s[0:1], 1
	v_add_co_u32 v13, vcc_lo, v17, s0
	v_add_co_ci_u32_e64 v16, null, s1, v18, vcc_lo
	v_add_co_u32 v4, vcc_lo, v13, v0
	v_add_co_ci_u32_e64 v5, null, v16, v1, vcc_lo
	global_store_short_d16_hi v[4:5], v19, off
	global_load_ushort v17, v[2:3], off offset:32
	s_waitcnt vmcnt(0)
	v_lshlrev_b32_e32 v17, 16, v17
	v_mul_f32_e32 v17, s9, v17
	v_and_b32_e32 v18, 0x7f800000, v17
	v_cmp_ne_u32_e32 vcc_lo, 0x7f800000, v18
                                        ; implicit-def: $vgpr18
	s_and_saveexec_b32 s5, vcc_lo
	s_xor_b32 s5, exec_lo, s5
; %bb.142:
	v_bfe_u32 v18, v17, 16, 1
	v_add3_u32 v18, v17, v18, 0x7fff
                                        ; implicit-def: $vgpr17
; %bb.143:
	s_andn2_saveexec_b32 s5, s5
; %bb.144:
	v_mov_b32_e32 v18, 0
	v_or_b32_e32 v19, 0x10000, v17
	v_cmp_eq_u32_sdwa vcc_lo, v17, v18 src0_sel:WORD_0 src1_sel:DWORD
	v_cndmask_b32_e32 v18, v19, v17, vcc_lo
; %bb.145:
	s_or_b32 exec_lo, exec_lo, s5
	v_and_b32_e32 v17, 0xffff0000, v18
	v_fmac_f32_e32 v17, s4, v12
	v_and_b32_e32 v12, 0x7f800000, v17
	v_cmp_ne_u32_e32 vcc_lo, 0x7f800000, v12
                                        ; implicit-def: $vgpr12
	s_and_saveexec_b32 s5, vcc_lo
	s_xor_b32 s5, exec_lo, s5
; %bb.146:
	v_bfe_u32 v12, v17, 16, 1
	v_add3_u32 v12, v17, v12, 0x7fff
                                        ; implicit-def: $vgpr17
; %bb.147:
	s_andn2_saveexec_b32 s5, s5
; %bb.148:
	v_mov_b32_e32 v12, 0
	v_or_b32_e32 v18, 0x10000, v17
	v_cmp_eq_u32_sdwa vcc_lo, v17, v12 src0_sel:WORD_0 src1_sel:DWORD
	v_cndmask_b32_e32 v12, v18, v17, vcc_lo
; %bb.149:
	s_or_b32 exec_lo, exec_lo, s5
	global_store_short_d16_hi v[4:5], v12, off offset:32
	global_load_ushort v12, v[2:3], off offset:64
	s_waitcnt vmcnt(0)
	v_lshlrev_b32_e32 v12, 16, v12
	v_mul_f32_e32 v12, s9, v12
	v_and_b32_e32 v17, 0x7f800000, v12
	v_cmp_ne_u32_e32 vcc_lo, 0x7f800000, v17
                                        ; implicit-def: $vgpr17
	s_and_saveexec_b32 s5, vcc_lo
	s_xor_b32 s5, exec_lo, s5
; %bb.150:
	v_bfe_u32 v17, v12, 16, 1
	v_add3_u32 v17, v12, v17, 0x7fff
                                        ; implicit-def: $vgpr12
; %bb.151:
	s_andn2_saveexec_b32 s5, s5
; %bb.152:
	v_mov_b32_e32 v17, 0
	v_or_b32_e32 v18, 0x10000, v12
	v_cmp_eq_u32_sdwa vcc_lo, v12, v17 src0_sel:WORD_0 src1_sel:DWORD
	v_cndmask_b32_e32 v17, v18, v12, vcc_lo
; %bb.153:
	s_or_b32 exec_lo, exec_lo, s5
	v_and_b32_e32 v12, 0xffff0000, v17
	v_fmac_f32_e32 v12, s4, v11
	v_and_b32_e32 v11, 0x7f800000, v12
	v_cmp_ne_u32_e32 vcc_lo, 0x7f800000, v11
                                        ; implicit-def: $vgpr11
	s_and_saveexec_b32 s5, vcc_lo
	s_xor_b32 s5, exec_lo, s5
; %bb.154:
	v_bfe_u32 v11, v12, 16, 1
	v_add3_u32 v11, v12, v11, 0x7fff
                                        ; implicit-def: $vgpr12
; %bb.155:
	s_andn2_saveexec_b32 s5, s5
; %bb.156:
	v_mov_b32_e32 v11, 0
	v_or_b32_e32 v17, 0x10000, v12
	v_cmp_eq_u32_sdwa vcc_lo, v12, v11 src0_sel:WORD_0 src1_sel:DWORD
	v_cndmask_b32_e32 v11, v17, v12, vcc_lo
; %bb.157:
	s_or_b32 exec_lo, exec_lo, s5
	global_store_short_d16_hi v[4:5], v11, off offset:64
	global_load_ushort v2, v[2:3], off offset:96
	s_waitcnt vmcnt(0)
	v_lshlrev_b32_e32 v2, 16, v2
	v_mul_f32_e32 v2, s9, v2
	v_and_b32_e32 v3, 0x7f800000, v2
	v_cmp_ne_u32_e32 vcc_lo, 0x7f800000, v3
                                        ; implicit-def: $vgpr3
	s_and_saveexec_b32 s5, vcc_lo
	s_xor_b32 s5, exec_lo, s5
; %bb.158:
	v_bfe_u32 v3, v2, 16, 1
	v_add3_u32 v3, v2, v3, 0x7fff
                                        ; implicit-def: $vgpr2
; %bb.159:
	s_andn2_saveexec_b32 s5, s5
; %bb.160:
	v_mov_b32_e32 v3, 0
	v_or_b32_e32 v11, 0x10000, v2
	v_cmp_eq_u32_sdwa vcc_lo, v2, v3 src0_sel:WORD_0 src1_sel:DWORD
	v_cndmask_b32_e32 v3, v11, v2, vcc_lo
; %bb.161:
	s_or_b32 exec_lo, exec_lo, s5
	v_and_b32_e32 v2, 0xffff0000, v3
	s_mov_b32 s5, exec_lo
	v_fmac_f32_e32 v2, s4, v10
                                        ; implicit-def: $vgpr10
	v_and_b32_e32 v3, 0x7f800000, v2
	v_cmpx_ne_u32_e32 0x7f800000, v3
	s_xor_b32 s5, exec_lo, s5
; %bb.162:
	v_bfe_u32 v3, v2, 16, 1
	v_add3_u32 v10, v2, v3, 0x7fff
                                        ; implicit-def: $vgpr2
; %bb.163:
	s_andn2_saveexec_b32 s5, s5
; %bb.164:
	v_mov_b32_e32 v3, 0
	v_or_b32_e32 v10, 0x10000, v2
	v_cmp_eq_u32_sdwa vcc_lo, v2, v3 src0_sel:WORD_0 src1_sel:DWORD
	v_cndmask_b32_e32 v10, v10, v2, vcc_lo
; %bb.165:
	s_or_b32 exec_lo, exec_lo, s5
	v_add_co_u32 v2, vcc_lo, v14, s2
	v_add_co_ci_u32_e64 v3, null, s3, v15, vcc_lo
	global_store_short_d16_hi v[4:5], v10, off offset:96
	v_add_co_u32 v2, vcc_lo, v2, v0
	v_add_co_ci_u32_e64 v3, null, v3, v1, vcc_lo
	global_load_ushort v4, v[2:3], off
	s_waitcnt vmcnt(0)
	v_lshlrev_b32_e32 v4, 16, v4
	v_mul_f32_e32 v4, s9, v4
	v_and_b32_e32 v5, 0x7f800000, v4
	v_cmp_ne_u32_e32 vcc_lo, 0x7f800000, v5
                                        ; implicit-def: $vgpr5
	s_and_saveexec_b32 s2, vcc_lo
	s_xor_b32 s2, exec_lo, s2
; %bb.166:
	v_bfe_u32 v5, v4, 16, 1
	v_add3_u32 v5, v4, v5, 0x7fff
                                        ; implicit-def: $vgpr4
; %bb.167:
	s_andn2_saveexec_b32 s2, s2
; %bb.168:
	v_mov_b32_e32 v5, 0
	v_or_b32_e32 v10, 0x10000, v4
	v_cmp_eq_u32_sdwa vcc_lo, v4, v5 src0_sel:WORD_0 src1_sel:DWORD
	v_cndmask_b32_e32 v5, v10, v4, vcc_lo
; %bb.169:
	s_or_b32 exec_lo, exec_lo, s2
	v_and_b32_e32 v5, 0xffff0000, v5
	v_fmac_f32_e32 v5, s4, v9
	v_and_b32_e32 v4, 0x7f800000, v5
	v_cmp_ne_u32_e32 vcc_lo, 0x7f800000, v4
                                        ; implicit-def: $vgpr4
	s_and_saveexec_b32 s2, vcc_lo
	s_xor_b32 s2, exec_lo, s2
; %bb.170:
	v_bfe_u32 v4, v5, 16, 1
	v_add3_u32 v4, v5, v4, 0x7fff
                                        ; implicit-def: $vgpr5
; %bb.171:
	s_andn2_saveexec_b32 s2, s2
; %bb.172:
	v_mov_b32_e32 v4, 0
	v_or_b32_e32 v9, 0x10000, v5
	v_cmp_eq_u32_sdwa vcc_lo, v5, v4 src0_sel:WORD_0 src1_sel:DWORD
	v_cndmask_b32_e32 v4, v9, v5, vcc_lo
; %bb.173:
	s_or_b32 exec_lo, exec_lo, s2
	v_add_co_u32 v5, vcc_lo, v13, s0
	v_add_co_ci_u32_e64 v9, null, s1, v16, vcc_lo
	v_add_co_u32 v0, vcc_lo, v5, v0
	v_add_co_ci_u32_e64 v1, null, v9, v1, vcc_lo
	global_store_short_d16_hi v[0:1], v4, off
	global_load_ushort v4, v[2:3], off offset:32
	s_waitcnt vmcnt(0)
	v_lshlrev_b32_e32 v4, 16, v4
	v_mul_f32_e32 v4, s9, v4
	v_and_b32_e32 v5, 0x7f800000, v4
	v_cmp_ne_u32_e32 vcc_lo, 0x7f800000, v5
                                        ; implicit-def: $vgpr5
	s_and_saveexec_b32 s0, vcc_lo
	s_xor_b32 s0, exec_lo, s0
; %bb.174:
	v_bfe_u32 v5, v4, 16, 1
	v_add3_u32 v5, v4, v5, 0x7fff
                                        ; implicit-def: $vgpr4
; %bb.175:
	s_andn2_saveexec_b32 s0, s0
; %bb.176:
	v_mov_b32_e32 v5, 0
	v_or_b32_e32 v9, 0x10000, v4
	v_cmp_eq_u32_sdwa vcc_lo, v4, v5 src0_sel:WORD_0 src1_sel:DWORD
	v_cndmask_b32_e32 v5, v9, v4, vcc_lo
; %bb.177:
	s_or_b32 exec_lo, exec_lo, s0
	v_and_b32_e32 v4, 0xffff0000, v5
	v_fmac_f32_e32 v4, s4, v8
	v_and_b32_e32 v5, 0x7f800000, v4
	v_cmp_ne_u32_e32 vcc_lo, 0x7f800000, v5
                                        ; implicit-def: $vgpr5
	s_and_saveexec_b32 s0, vcc_lo
	s_xor_b32 s0, exec_lo, s0
; %bb.178:
	v_bfe_u32 v5, v4, 16, 1
	v_add3_u32 v5, v4, v5, 0x7fff
                                        ; implicit-def: $vgpr4
; %bb.179:
	s_andn2_saveexec_b32 s0, s0
; %bb.180:
	v_mov_b32_e32 v5, 0
	v_or_b32_e32 v8, 0x10000, v4
	v_cmp_eq_u32_sdwa vcc_lo, v4, v5 src0_sel:WORD_0 src1_sel:DWORD
	v_cndmask_b32_e32 v5, v8, v4, vcc_lo
; %bb.181:
	s_or_b32 exec_lo, exec_lo, s0
	global_store_short_d16_hi v[0:1], v5, off offset:32
	global_load_ushort v4, v[2:3], off offset:64
	s_waitcnt vmcnt(0)
	v_lshlrev_b32_e32 v4, 16, v4
	v_mul_f32_e32 v4, s9, v4
	v_and_b32_e32 v5, 0x7f800000, v4
	v_cmp_ne_u32_e32 vcc_lo, 0x7f800000, v5
                                        ; implicit-def: $vgpr5
	s_and_saveexec_b32 s0, vcc_lo
	s_xor_b32 s0, exec_lo, s0
; %bb.182:
	v_bfe_u32 v5, v4, 16, 1
	v_add3_u32 v5, v4, v5, 0x7fff
                                        ; implicit-def: $vgpr4
; %bb.183:
	s_andn2_saveexec_b32 s0, s0
; %bb.184:
	v_mov_b32_e32 v5, 0
	v_or_b32_e32 v8, 0x10000, v4
	v_cmp_eq_u32_sdwa vcc_lo, v4, v5 src0_sel:WORD_0 src1_sel:DWORD
	v_cndmask_b32_e32 v5, v8, v4, vcc_lo
; %bb.185:
	s_or_b32 exec_lo, exec_lo, s0
	v_and_b32_e32 v4, 0xffff0000, v5
	v_fmac_f32_e32 v4, s4, v7
	v_and_b32_e32 v5, 0x7f800000, v4
	v_cmp_ne_u32_e32 vcc_lo, 0x7f800000, v5
                                        ; implicit-def: $vgpr5
	s_and_saveexec_b32 s0, vcc_lo
	s_xor_b32 s0, exec_lo, s0
; %bb.186:
	v_bfe_u32 v5, v4, 16, 1
	v_add3_u32 v5, v4, v5, 0x7fff
                                        ; implicit-def: $vgpr4
; %bb.187:
	s_andn2_saveexec_b32 s0, s0
; %bb.188:
	v_mov_b32_e32 v5, 0
	v_or_b32_e32 v7, 0x10000, v4
	v_cmp_eq_u32_sdwa vcc_lo, v4, v5 src0_sel:WORD_0 src1_sel:DWORD
	v_cndmask_b32_e32 v5, v7, v4, vcc_lo
; %bb.189:
	s_or_b32 exec_lo, exec_lo, s0
	global_store_short_d16_hi v[0:1], v5, off offset:64
	global_load_ushort v2, v[2:3], off offset:96
	s_waitcnt vmcnt(0)
	v_lshlrev_b32_e32 v2, 16, v2
	v_mul_f32_e32 v2, s9, v2
	v_and_b32_e32 v3, 0x7f800000, v2
	v_cmp_ne_u32_e32 vcc_lo, 0x7f800000, v3
                                        ; implicit-def: $vgpr3
	s_and_saveexec_b32 s0, vcc_lo
	s_xor_b32 s0, exec_lo, s0
; %bb.190:
	v_bfe_u32 v3, v2, 16, 1
	v_add3_u32 v3, v2, v3, 0x7fff
                                        ; implicit-def: $vgpr2
; %bb.191:
	s_andn2_saveexec_b32 s0, s0
; %bb.192:
	v_mov_b32_e32 v3, 0
	v_or_b32_e32 v4, 0x10000, v2
	v_cmp_eq_u32_sdwa vcc_lo, v2, v3 src0_sel:WORD_0 src1_sel:DWORD
	v_cndmask_b32_e32 v3, v4, v2, vcc_lo
; %bb.193:
	s_or_b32 exec_lo, exec_lo, s0
	v_and_b32_e32 v2, 0xffff0000, v3
	v_fmac_f32_e32 v2, s4, v6
	v_and_b32_e32 v3, 0x7f800000, v2
	v_cmp_ne_u32_e32 vcc_lo, 0x7f800000, v3
                                        ; implicit-def: $vgpr3
	s_and_saveexec_b32 s0, vcc_lo
	s_xor_b32 s0, exec_lo, s0
	s_cbranch_execnz .LBB425_198
; %bb.194:
	s_andn2_saveexec_b32 s0, s0
	s_cbranch_execnz .LBB425_199
.LBB425_195:
	s_or_b32 exec_lo, exec_lo, s0
	global_store_short_d16_hi v[0:1], v3, off offset:96
	s_endpgm
.LBB425_196:
	s_cbranch_execnz .LBB425_69
.LBB425_197:
	s_endpgm
.LBB425_198:
	v_bfe_u32 v3, v2, 16, 1
	v_add3_u32 v3, v2, v3, 0x7fff
                                        ; implicit-def: $vgpr2
	s_andn2_saveexec_b32 s0, s0
	s_cbranch_execz .LBB425_195
.LBB425_199:
	v_mov_b32_e32 v3, 0
	v_or_b32_e32 v4, 0x10000, v2
	v_cmp_eq_u32_sdwa vcc_lo, v2, v3 src0_sel:WORD_0 src1_sel:DWORD
	v_cndmask_b32_e32 v3, v4, v2, vcc_lo
	s_or_b32 exec_lo, exec_lo, s0
	global_store_short_d16_hi v[0:1], v3, off offset:96
	s_endpgm
	.section	.rodata,"a",@progbits
	.p2align	6, 0x0
	.amdhsa_kernel _ZN12_GLOBAL__N_127rocblas_gemm_batched_kernelIfLi16ELi16ELi64ELi64ELi4ELi64ELi4ELi4ELi64ELc78ELc67EK16rocblas_bfloat16S2_S1_EEvlllT_PT11_llS5_llS3_PT12_llPT13_lli
		.amdhsa_group_segment_fixed_size 2048
		.amdhsa_private_segment_fixed_size 0
		.amdhsa_kernarg_size 140
		.amdhsa_user_sgpr_count 6
		.amdhsa_user_sgpr_private_segment_buffer 1
		.amdhsa_user_sgpr_dispatch_ptr 0
		.amdhsa_user_sgpr_queue_ptr 0
		.amdhsa_user_sgpr_kernarg_segment_ptr 1
		.amdhsa_user_sgpr_dispatch_id 0
		.amdhsa_user_sgpr_flat_scratch_init 0
		.amdhsa_user_sgpr_private_segment_size 0
		.amdhsa_wavefront_size32 1
		.amdhsa_uses_dynamic_stack 0
		.amdhsa_system_sgpr_private_segment_wavefront_offset 0
		.amdhsa_system_sgpr_workgroup_id_x 1
		.amdhsa_system_sgpr_workgroup_id_y 1
		.amdhsa_system_sgpr_workgroup_id_z 1
		.amdhsa_system_sgpr_workgroup_info 0
		.amdhsa_system_vgpr_workitem_id 1
		.amdhsa_next_free_vgpr 58
		.amdhsa_next_free_sgpr 22
		.amdhsa_reserve_vcc 1
		.amdhsa_reserve_flat_scratch 0
		.amdhsa_float_round_mode_32 0
		.amdhsa_float_round_mode_16_64 0
		.amdhsa_float_denorm_mode_32 3
		.amdhsa_float_denorm_mode_16_64 3
		.amdhsa_dx10_clamp 1
		.amdhsa_ieee_mode 1
		.amdhsa_fp16_overflow 0
		.amdhsa_workgroup_processor_mode 1
		.amdhsa_memory_ordered 1
		.amdhsa_forward_progress 1
		.amdhsa_shared_vgpr_count 0
		.amdhsa_exception_fp_ieee_invalid_op 0
		.amdhsa_exception_fp_denorm_src 0
		.amdhsa_exception_fp_ieee_div_zero 0
		.amdhsa_exception_fp_ieee_overflow 0
		.amdhsa_exception_fp_ieee_underflow 0
		.amdhsa_exception_fp_ieee_inexact 0
		.amdhsa_exception_int_div_zero 0
	.end_amdhsa_kernel
	.section	.text._ZN12_GLOBAL__N_127rocblas_gemm_batched_kernelIfLi16ELi16ELi64ELi64ELi4ELi64ELi4ELi4ELi64ELc78ELc67EK16rocblas_bfloat16S2_S1_EEvlllT_PT11_llS5_llS3_PT12_llPT13_lli,"axG",@progbits,_ZN12_GLOBAL__N_127rocblas_gemm_batched_kernelIfLi16ELi16ELi64ELi64ELi4ELi64ELi4ELi4ELi64ELc78ELc67EK16rocblas_bfloat16S2_S1_EEvlllT_PT11_llS5_llS3_PT12_llPT13_lli,comdat
.Lfunc_end425:
	.size	_ZN12_GLOBAL__N_127rocblas_gemm_batched_kernelIfLi16ELi16ELi64ELi64ELi4ELi64ELi4ELi4ELi64ELc78ELc67EK16rocblas_bfloat16S2_S1_EEvlllT_PT11_llS5_llS3_PT12_llPT13_lli, .Lfunc_end425-_ZN12_GLOBAL__N_127rocblas_gemm_batched_kernelIfLi16ELi16ELi64ELi64ELi4ELi64ELi4ELi4ELi64ELc78ELc67EK16rocblas_bfloat16S2_S1_EEvlllT_PT11_llS5_llS3_PT12_llPT13_lli
                                        ; -- End function
	.set _ZN12_GLOBAL__N_127rocblas_gemm_batched_kernelIfLi16ELi16ELi64ELi64ELi4ELi64ELi4ELi4ELi64ELc78ELc67EK16rocblas_bfloat16S2_S1_EEvlllT_PT11_llS5_llS3_PT12_llPT13_lli.num_vgpr, 58
	.set _ZN12_GLOBAL__N_127rocblas_gemm_batched_kernelIfLi16ELi16ELi64ELi64ELi4ELi64ELi4ELi4ELi64ELc78ELc67EK16rocblas_bfloat16S2_S1_EEvlllT_PT11_llS5_llS3_PT12_llPT13_lli.num_agpr, 0
	.set _ZN12_GLOBAL__N_127rocblas_gemm_batched_kernelIfLi16ELi16ELi64ELi64ELi4ELi64ELi4ELi4ELi64ELc78ELc67EK16rocblas_bfloat16S2_S1_EEvlllT_PT11_llS5_llS3_PT12_llPT13_lli.numbered_sgpr, 22
	.set _ZN12_GLOBAL__N_127rocblas_gemm_batched_kernelIfLi16ELi16ELi64ELi64ELi4ELi64ELi4ELi4ELi64ELc78ELc67EK16rocblas_bfloat16S2_S1_EEvlllT_PT11_llS5_llS3_PT12_llPT13_lli.num_named_barrier, 0
	.set _ZN12_GLOBAL__N_127rocblas_gemm_batched_kernelIfLi16ELi16ELi64ELi64ELi4ELi64ELi4ELi4ELi64ELc78ELc67EK16rocblas_bfloat16S2_S1_EEvlllT_PT11_llS5_llS3_PT12_llPT13_lli.private_seg_size, 0
	.set _ZN12_GLOBAL__N_127rocblas_gemm_batched_kernelIfLi16ELi16ELi64ELi64ELi4ELi64ELi4ELi4ELi64ELc78ELc67EK16rocblas_bfloat16S2_S1_EEvlllT_PT11_llS5_llS3_PT12_llPT13_lli.uses_vcc, 1
	.set _ZN12_GLOBAL__N_127rocblas_gemm_batched_kernelIfLi16ELi16ELi64ELi64ELi4ELi64ELi4ELi4ELi64ELc78ELc67EK16rocblas_bfloat16S2_S1_EEvlllT_PT11_llS5_llS3_PT12_llPT13_lli.uses_flat_scratch, 0
	.set _ZN12_GLOBAL__N_127rocblas_gemm_batched_kernelIfLi16ELi16ELi64ELi64ELi4ELi64ELi4ELi4ELi64ELc78ELc67EK16rocblas_bfloat16S2_S1_EEvlllT_PT11_llS5_llS3_PT12_llPT13_lli.has_dyn_sized_stack, 0
	.set _ZN12_GLOBAL__N_127rocblas_gemm_batched_kernelIfLi16ELi16ELi64ELi64ELi4ELi64ELi4ELi4ELi64ELc78ELc67EK16rocblas_bfloat16S2_S1_EEvlllT_PT11_llS5_llS3_PT12_llPT13_lli.has_recursion, 0
	.set _ZN12_GLOBAL__N_127rocblas_gemm_batched_kernelIfLi16ELi16ELi64ELi64ELi4ELi64ELi4ELi4ELi64ELc78ELc67EK16rocblas_bfloat16S2_S1_EEvlllT_PT11_llS5_llS3_PT12_llPT13_lli.has_indirect_call, 0
	.section	.AMDGPU.csdata,"",@progbits
; Kernel info:
; codeLenInByte = 6176
; TotalNumSgprs: 24
; NumVgprs: 58
; ScratchSize: 0
; MemoryBound: 0
; FloatMode: 240
; IeeeMode: 1
; LDSByteSize: 2048 bytes/workgroup (compile time only)
; SGPRBlocks: 0
; VGPRBlocks: 7
; NumSGPRsForWavesPerEU: 24
; NumVGPRsForWavesPerEU: 58
; Occupancy: 16
; WaveLimiterHint : 0
; COMPUTE_PGM_RSRC2:SCRATCH_EN: 0
; COMPUTE_PGM_RSRC2:USER_SGPR: 6
; COMPUTE_PGM_RSRC2:TRAP_HANDLER: 0
; COMPUTE_PGM_RSRC2:TGID_X_EN: 1
; COMPUTE_PGM_RSRC2:TGID_Y_EN: 1
; COMPUTE_PGM_RSRC2:TGID_Z_EN: 1
; COMPUTE_PGM_RSRC2:TIDIG_COMP_CNT: 1
	.section	.text._ZN12_GLOBAL__N_127rocblas_gemm_batched_kernelIfLi16ELi16ELi64ELi64ELi4ELi64ELi4ELi4ELi64ELc84ELc67EK16rocblas_bfloat16S2_S1_EEvlllT_PT11_llS5_llS3_PT12_llPT13_lli,"axG",@progbits,_ZN12_GLOBAL__N_127rocblas_gemm_batched_kernelIfLi16ELi16ELi64ELi64ELi4ELi64ELi4ELi4ELi64ELc84ELc67EK16rocblas_bfloat16S2_S1_EEvlllT_PT11_llS5_llS3_PT12_llPT13_lli,comdat
	.globl	_ZN12_GLOBAL__N_127rocblas_gemm_batched_kernelIfLi16ELi16ELi64ELi64ELi4ELi64ELi4ELi4ELi64ELc84ELc67EK16rocblas_bfloat16S2_S1_EEvlllT_PT11_llS5_llS3_PT12_llPT13_lli ; -- Begin function _ZN12_GLOBAL__N_127rocblas_gemm_batched_kernelIfLi16ELi16ELi64ELi64ELi4ELi64ELi4ELi4ELi64ELc84ELc67EK16rocblas_bfloat16S2_S1_EEvlllT_PT11_llS5_llS3_PT12_llPT13_lli
	.p2align	8
	.type	_ZN12_GLOBAL__N_127rocblas_gemm_batched_kernelIfLi16ELi16ELi64ELi64ELi4ELi64ELi4ELi4ELi64ELc84ELc67EK16rocblas_bfloat16S2_S1_EEvlllT_PT11_llS5_llS3_PT12_llPT13_lli,@function
_ZN12_GLOBAL__N_127rocblas_gemm_batched_kernelIfLi16ELi16ELi64ELi64ELi4ELi64ELi4ELi4ELi64ELc84ELc67EK16rocblas_bfloat16S2_S1_EEvlllT_PT11_llS5_llS3_PT12_llPT13_lli: ; @_ZN12_GLOBAL__N_127rocblas_gemm_batched_kernelIfLi16ELi16ELi64ELi64ELi4ELi64ELi4ELi4ELi64ELc84ELc67EK16rocblas_bfloat16S2_S1_EEvlllT_PT11_llS5_llS3_PT12_llPT13_lli
; %bb.0:
	s_load_dwordx2 s[20:21], s[4:5], 0x10
	s_mov_b32 s0, s7
	v_mov_b32_e32 v21, 0
	v_mov_b32_e32 v20, 0
	;; [unrolled: 1-line block ×16, first 2 shown]
	s_ashr_i32 s7, s6, 31
	s_ashr_i32 s1, s0, 31
	s_waitcnt lgkmcnt(0)
	v_cmp_lt_i64_e64 s2, s[20:21], 1
	s_lshl_b64 s[6:7], s[6:7], 6
	s_lshl_b64 s[10:11], s[0:1], 6
	s_and_b32 vcc_lo, exec_lo, s2
	s_cbranch_vccnz .LBB426_3
; %bb.1:
	v_lshlrev_b32_e32 v7, 4, v1
	s_clause 0x1
	s_load_dwordx4 s[0:3], s[4:5], 0x40
	s_load_dwordx8 s[12:19], s[4:5], 0x20
	v_and_b32_e32 v8, 3, v0
	v_mov_b32_e32 v6, 0
	v_lshlrev_b32_e32 v22, 2, v0
	v_add_nc_u32_e32 v2, v7, v0
	v_add_nc_u32_e32 v23, 0x400, v7
	v_lshlrev_b32_e32 v5, 2, v8
	v_mov_b32_e32 v15, 0
	v_mov_b32_e32 v16, 0
	v_lshrrev_b32_e32 v4, 2, v2
	v_and_b32_e32 v9, 63, v2
	v_lshrrev_b32_e32 v10, 6, v2
	v_mov_b32_e32 v17, 0
	v_mov_b32_e32 v18, 0
	v_add_co_u32 v2, s9, v4, s10
	v_add_co_ci_u32_e64 v3, null, 0, s11, s9
	v_add_co_u32 v11, s9, s6, v9
	v_add_co_ci_u32_e64 v12, null, s7, 0, s9
	v_lshl_or_b32 v13, v4, 4, v5
	s_waitcnt lgkmcnt(0)
	v_mul_lo_u32 v14, s15, v11
	v_mad_u64_u32 v[4:5], null, s14, v11, 0
	v_mul_lo_u32 v12, s14, v12
	v_mad_u64_u32 v[2:3], null, s0, v8, v[2:3]
	s_mul_i32 s9, s17, s8
	s_mul_hi_u32 s15, s16, s8
	s_mul_i32 s14, s16, s8
	s_add_i32 s15, s15, s9
	v_lshlrev_b32_e32 v11, 1, v10
	v_add3_u32 v5, v5, v12, v14
	v_mad_u64_u32 v[7:8], null, s1, v8, v[3:4]
	s_lshl_b64 s[14:15], s[14:15], 1
	s_mul_i32 s3, s3, s8
	v_lshlrev_b64 v[4:5], 1, v[4:5]
	s_mul_hi_u32 s9, s2, s8
	s_mul_i32 s2, s2, s8
	s_add_i32 s3, s9, s3
	v_mov_b32_e32 v3, v7
	s_lshl_b64 s[2:3], s[2:3], 1
	v_add_co_u32 v4, vcc_lo, v4, s14
	v_add_co_ci_u32_e64 v5, null, s15, v5, vcc_lo
	v_lshlrev_b32_e32 v9, 2, v9
	v_add_co_u32 v7, vcc_lo, v4, v11
	v_add_co_ci_u32_e64 v8, null, 0, v5, vcc_lo
	v_lshlrev_b64 v[4:5], 1, v[2:3]
	v_add_co_u32 v2, vcc_lo, s12, v7
	s_add_u32 s2, s18, s2
	v_add_co_ci_u32_e64 v3, null, s13, v8, vcc_lo
	s_addc_u32 s3, s19, s3
	v_add_co_u32 v4, vcc_lo, s2, v4
	v_lshl_or_b32 v24, v10, 8, v9
	v_add_nc_u32_e32 v25, 0x400, v13
	v_add_co_ci_u32_e64 v5, null, s3, v5, vcc_lo
	v_mov_b32_e32 v7, 0
	v_mov_b32_e32 v8, 0
	;; [unrolled: 1-line block ×11, first 2 shown]
	s_lshl_b64 s[0:1], s[0:1], 3
	s_mov_b64 s[2:3], 0
.LBB426_2:                              ; =>This Inner Loop Header: Depth=1
	global_load_ushort v26, v[2:3], off
	global_load_ushort v27, v[4:5], off
	s_add_u32 s2, s2, 4
	s_addc_u32 s3, s3, 0
	v_add_co_u32 v2, vcc_lo, v2, 8
	v_cmp_lt_i64_e64 s9, s[2:3], s[20:21]
	v_add_co_ci_u32_e64 v3, null, 0, v3, vcc_lo
	v_add_co_u32 v4, vcc_lo, v4, s0
	v_add_co_ci_u32_e64 v5, null, s1, v5, vcc_lo
	s_and_b32 vcc_lo, exec_lo, s9
	s_waitcnt vmcnt(1)
	v_lshlrev_b32_e32 v26, 16, v26
	s_waitcnt vmcnt(0)
	v_lshlrev_b32_e32 v27, 16, v27
	ds_write_b32 v24, v26
	ds_write_b32 v25, v27
	s_waitcnt lgkmcnt(0)
	s_barrier
	buffer_gl0_inv
	ds_read_b128 v[26:29], v23
	ds_read2_b32 v[42:43], v22 offset1:16
	ds_read2_b32 v[44:45], v22 offset0:32 offset1:48
	ds_read_b128 v[30:33], v23 offset:256
	ds_read_b128 v[34:37], v23 offset:512
	ds_read_b128 v[38:41], v23 offset:768
	ds_read2_b32 v[46:47], v22 offset0:64 offset1:80
	ds_read2_b32 v[48:49], v22 offset0:96 offset1:112
	;; [unrolled: 1-line block ×6, first 2 shown]
	s_waitcnt lgkmcnt(0)
	s_barrier
	buffer_gl0_inv
	v_fmac_f32_e32 v21, v42, v26
	v_fmac_f32_e32 v20, v43, v26
	;; [unrolled: 1-line block ×64, first 2 shown]
	s_cbranch_vccnz .LBB426_2
.LBB426_3:
	s_clause 0x3
	s_load_dwordx4 s[0:3], s[4:5], 0x78
	s_load_dword s9, s[4:5], 0x50
	s_load_dwordx8 s[12:19], s[4:5], 0x58
	s_load_dword s4, s[4:5], 0x18
	v_add_co_u32 v22, s5, s10, v1
	v_add_co_ci_u32_e64 v23, null, s11, 0, s5
	s_waitcnt lgkmcnt(0)
	s_mul_i32 s3, s3, s8
	s_mul_hi_u32 s5, s2, s8
	s_mul_i32 s2, s2, s8
	s_add_i32 s3, s5, s3
	v_cmp_neq_f32_e64 s10, s9, 0
	v_add_co_u32 v0, s5, s6, v0
	s_lshl_b64 s[2:3], s[2:3], 1
	v_add_co_ci_u32_e64 v1, null, s7, 0, s5
	s_add_u32 s5, s18, s2
	s_addc_u32 s6, s19, s3
	s_and_b32 vcc_lo, exec_lo, s10
	s_cbranch_vccnz .LBB426_196
; %bb.4:
	v_mul_f32_e32 v2, s4, v21
	s_mov_b32 s2, exec_lo
                                        ; implicit-def: $vgpr26
	v_and_b32_e32 v3, 0x7f800000, v2
	v_cmpx_ne_u32_e32 0x7f800000, v3
	s_xor_b32 s2, exec_lo, s2
; %bb.5:
	v_bfe_u32 v3, v2, 16, 1
	v_add3_u32 v26, v2, v3, 0x7fff
                                        ; implicit-def: $vgpr2
; %bb.6:
	s_andn2_saveexec_b32 s2, s2
; %bb.7:
	v_mov_b32_e32 v3, 0
	v_or_b32_e32 v4, 0x10000, v2
	v_cmp_eq_u32_sdwa vcc_lo, v2, v3 src0_sel:WORD_0 src1_sel:DWORD
	v_cndmask_b32_e32 v26, v4, v2, vcc_lo
; %bb.8:
	s_or_b32 exec_lo, exec_lo, s2
	v_mul_lo_u32 v4, v23, s0
	v_mul_lo_u32 v5, v22, s1
	v_mad_u64_u32 v[2:3], null, v22, s0, 0
	v_mul_f32_e32 v27, s4, v20
	v_and_b32_e32 v28, 0x7f800000, v27
	v_add3_u32 v3, v3, v5, v4
	v_lshlrev_b64 v[4:5], 1, v[2:3]
	v_lshlrev_b64 v[2:3], 1, v[0:1]
	v_add_co_u32 v24, vcc_lo, s5, v4
	v_add_co_ci_u32_e64 v25, null, s6, v5, vcc_lo
	v_add_co_u32 v4, vcc_lo, v24, v2
	v_add_co_ci_u32_e64 v5, null, v25, v3, vcc_lo
	v_cmp_ne_u32_e32 vcc_lo, 0x7f800000, v28
                                        ; implicit-def: $vgpr28
	global_store_short_d16_hi v[4:5], v26, off
	s_and_saveexec_b32 s2, vcc_lo
	s_xor_b32 s2, exec_lo, s2
; %bb.9:
	v_bfe_u32 v26, v27, 16, 1
	v_add3_u32 v28, v27, v26, 0x7fff
                                        ; implicit-def: $vgpr27
; %bb.10:
	s_andn2_saveexec_b32 s2, s2
; %bb.11:
	v_mov_b32_e32 v26, 0
	v_or_b32_e32 v28, 0x10000, v27
	v_cmp_eq_u32_sdwa vcc_lo, v27, v26 src0_sel:WORD_0 src1_sel:DWORD
	v_cndmask_b32_e32 v28, v28, v27, vcc_lo
; %bb.12:
	s_or_b32 exec_lo, exec_lo, s2
	v_mul_f32_e32 v26, s4, v19
	global_store_short_d16_hi v[4:5], v28, off offset:32
	v_and_b32_e32 v27, 0x7f800000, v26
	v_cmp_ne_u32_e32 vcc_lo, 0x7f800000, v27
                                        ; implicit-def: $vgpr27
	s_and_saveexec_b32 s2, vcc_lo
	s_xor_b32 s2, exec_lo, s2
; %bb.13:
	v_bfe_u32 v27, v26, 16, 1
	v_add3_u32 v27, v26, v27, 0x7fff
                                        ; implicit-def: $vgpr26
; %bb.14:
	s_andn2_saveexec_b32 s2, s2
; %bb.15:
	v_mov_b32_e32 v27, 0
	v_or_b32_e32 v28, 0x10000, v26
	v_cmp_eq_u32_sdwa vcc_lo, v26, v27 src0_sel:WORD_0 src1_sel:DWORD
	v_cndmask_b32_e32 v27, v28, v26, vcc_lo
; %bb.16:
	s_or_b32 exec_lo, exec_lo, s2
	v_mul_f32_e32 v26, s4, v18
	global_store_short_d16_hi v[4:5], v27, off offset:64
	v_and_b32_e32 v28, 0x7f800000, v26
	v_cmp_ne_u32_e32 vcc_lo, 0x7f800000, v28
                                        ; implicit-def: $vgpr28
	s_and_saveexec_b32 s2, vcc_lo
	s_xor_b32 s2, exec_lo, s2
; %bb.17:
	v_bfe_u32 v27, v26, 16, 1
	v_add3_u32 v28, v26, v27, 0x7fff
                                        ; implicit-def: $vgpr26
; %bb.18:
	s_andn2_saveexec_b32 s2, s2
; %bb.19:
	v_mov_b32_e32 v27, 0
	v_or_b32_e32 v28, 0x10000, v26
	v_cmp_eq_u32_sdwa vcc_lo, v26, v27 src0_sel:WORD_0 src1_sel:DWORD
	v_cndmask_b32_e32 v28, v28, v26, vcc_lo
; %bb.20:
	s_or_b32 exec_lo, exec_lo, s2
	v_mul_f32_e32 v27, s4, v17
	global_store_short_d16_hi v[4:5], v28, off offset:96
	v_and_b32_e32 v26, 0x7f800000, v27
	v_cmp_ne_u32_e32 vcc_lo, 0x7f800000, v26
                                        ; implicit-def: $vgpr26
	s_and_saveexec_b32 s2, vcc_lo
	s_xor_b32 s2, exec_lo, s2
; %bb.21:
	v_bfe_u32 v4, v27, 16, 1
	v_add3_u32 v26, v27, v4, 0x7fff
                                        ; implicit-def: $vgpr27
; %bb.22:
	s_andn2_saveexec_b32 s2, s2
; %bb.23:
	v_mov_b32_e32 v4, 0
	v_or_b32_e32 v5, 0x10000, v27
	v_cmp_eq_u32_sdwa vcc_lo, v27, v4 src0_sel:WORD_0 src1_sel:DWORD
	v_cndmask_b32_e32 v26, v5, v27, vcc_lo
; %bb.24:
	s_or_b32 exec_lo, exec_lo, s2
	v_mul_f32_e32 v27, s4, v16
	s_lshl_b64 s[2:3], s[0:1], 5
	v_add_co_u32 v24, vcc_lo, v24, s2
	v_add_co_ci_u32_e64 v25, null, s3, v25, vcc_lo
	v_and_b32_e32 v28, 0x7f800000, v27
	v_add_co_u32 v4, vcc_lo, v24, v2
	v_add_co_ci_u32_e64 v5, null, v25, v3, vcc_lo
	v_cmp_ne_u32_e32 vcc_lo, 0x7f800000, v28
                                        ; implicit-def: $vgpr28
	global_store_short_d16_hi v[4:5], v26, off
	s_and_saveexec_b32 s2, vcc_lo
	s_xor_b32 s2, exec_lo, s2
; %bb.25:
	v_bfe_u32 v26, v27, 16, 1
	v_add3_u32 v28, v27, v26, 0x7fff
                                        ; implicit-def: $vgpr27
; %bb.26:
	s_andn2_saveexec_b32 s2, s2
; %bb.27:
	v_mov_b32_e32 v26, 0
	v_or_b32_e32 v28, 0x10000, v27
	v_cmp_eq_u32_sdwa vcc_lo, v27, v26 src0_sel:WORD_0 src1_sel:DWORD
	v_cndmask_b32_e32 v28, v28, v27, vcc_lo
; %bb.28:
	s_or_b32 exec_lo, exec_lo, s2
	v_mul_f32_e32 v26, s4, v15
	global_store_short_d16_hi v[4:5], v28, off offset:32
	v_and_b32_e32 v27, 0x7f800000, v26
	v_cmp_ne_u32_e32 vcc_lo, 0x7f800000, v27
                                        ; implicit-def: $vgpr27
	s_and_saveexec_b32 s2, vcc_lo
	s_xor_b32 s2, exec_lo, s2
; %bb.29:
	v_bfe_u32 v27, v26, 16, 1
	v_add3_u32 v27, v26, v27, 0x7fff
                                        ; implicit-def: $vgpr26
; %bb.30:
	s_andn2_saveexec_b32 s2, s2
; %bb.31:
	v_mov_b32_e32 v27, 0
	v_or_b32_e32 v28, 0x10000, v26
	v_cmp_eq_u32_sdwa vcc_lo, v26, v27 src0_sel:WORD_0 src1_sel:DWORD
	v_cndmask_b32_e32 v27, v28, v26, vcc_lo
; %bb.32:
	s_or_b32 exec_lo, exec_lo, s2
	v_mul_f32_e32 v26, s4, v14
	global_store_short_d16_hi v[4:5], v27, off offset:64
	v_and_b32_e32 v28, 0x7f800000, v26
	v_cmp_ne_u32_e32 vcc_lo, 0x7f800000, v28
                                        ; implicit-def: $vgpr28
	s_and_saveexec_b32 s2, vcc_lo
	s_xor_b32 s2, exec_lo, s2
; %bb.33:
	v_bfe_u32 v27, v26, 16, 1
	v_add3_u32 v28, v26, v27, 0x7fff
                                        ; implicit-def: $vgpr26
; %bb.34:
	s_andn2_saveexec_b32 s2, s2
; %bb.35:
	v_mov_b32_e32 v27, 0
	v_or_b32_e32 v28, 0x10000, v26
	v_cmp_eq_u32_sdwa vcc_lo, v26, v27 src0_sel:WORD_0 src1_sel:DWORD
	v_cndmask_b32_e32 v28, v28, v26, vcc_lo
; %bb.36:
	s_or_b32 exec_lo, exec_lo, s2
	v_mul_f32_e32 v27, s4, v13
	global_store_short_d16_hi v[4:5], v28, off offset:96
	v_and_b32_e32 v26, 0x7f800000, v27
	v_cmp_ne_u32_e32 vcc_lo, 0x7f800000, v26
                                        ; implicit-def: $vgpr26
	s_and_saveexec_b32 s2, vcc_lo
	s_xor_b32 s2, exec_lo, s2
; %bb.37:
	v_bfe_u32 v4, v27, 16, 1
	v_add3_u32 v26, v27, v4, 0x7fff
                                        ; implicit-def: $vgpr27
; %bb.38:
	s_or_saveexec_b32 s7, s2
	s_lshl_b64 s[2:3], s[0:1], 4
	s_xor_b32 exec_lo, exec_lo, s7
; %bb.39:
	v_mov_b32_e32 v4, 0
	v_or_b32_e32 v5, 0x10000, v27
	v_cmp_eq_u32_sdwa vcc_lo, v27, v4 src0_sel:WORD_0 src1_sel:DWORD
	v_cndmask_b32_e32 v26, v5, v27, vcc_lo
; %bb.40:
	s_or_b32 exec_lo, exec_lo, s7
	v_mul_f32_e32 v27, s4, v12
	s_lshl_b64 s[2:3], s[2:3], 1
	v_add_co_u32 v24, vcc_lo, v24, s2
	v_add_co_ci_u32_e64 v25, null, s3, v25, vcc_lo
	v_and_b32_e32 v28, 0x7f800000, v27
	v_add_co_u32 v4, vcc_lo, v24, v2
	v_add_co_ci_u32_e64 v5, null, v25, v3, vcc_lo
	v_cmp_ne_u32_e32 vcc_lo, 0x7f800000, v28
                                        ; implicit-def: $vgpr28
	global_store_short_d16_hi v[4:5], v26, off
	s_and_saveexec_b32 s7, vcc_lo
	s_xor_b32 s7, exec_lo, s7
; %bb.41:
	v_bfe_u32 v26, v27, 16, 1
	v_add3_u32 v28, v27, v26, 0x7fff
                                        ; implicit-def: $vgpr27
; %bb.42:
	s_andn2_saveexec_b32 s7, s7
; %bb.43:
	v_mov_b32_e32 v26, 0
	v_or_b32_e32 v28, 0x10000, v27
	v_cmp_eq_u32_sdwa vcc_lo, v27, v26 src0_sel:WORD_0 src1_sel:DWORD
	v_cndmask_b32_e32 v28, v28, v27, vcc_lo
; %bb.44:
	s_or_b32 exec_lo, exec_lo, s7
	v_mul_f32_e32 v26, s4, v11
	global_store_short_d16_hi v[4:5], v28, off offset:32
	v_and_b32_e32 v27, 0x7f800000, v26
	v_cmp_ne_u32_e32 vcc_lo, 0x7f800000, v27
                                        ; implicit-def: $vgpr27
	s_and_saveexec_b32 s7, vcc_lo
	s_xor_b32 s7, exec_lo, s7
; %bb.45:
	v_bfe_u32 v27, v26, 16, 1
	v_add3_u32 v27, v26, v27, 0x7fff
                                        ; implicit-def: $vgpr26
; %bb.46:
	s_andn2_saveexec_b32 s7, s7
; %bb.47:
	v_mov_b32_e32 v27, 0
	v_or_b32_e32 v28, 0x10000, v26
	v_cmp_eq_u32_sdwa vcc_lo, v26, v27 src0_sel:WORD_0 src1_sel:DWORD
	v_cndmask_b32_e32 v27, v28, v26, vcc_lo
; %bb.48:
	s_or_b32 exec_lo, exec_lo, s7
	v_mul_f32_e32 v26, s4, v10
	s_mov_b32 s7, exec_lo
	global_store_short_d16_hi v[4:5], v27, off offset:64
                                        ; implicit-def: $vgpr27
	v_and_b32_e32 v28, 0x7f800000, v26
	v_cmpx_ne_u32_e32 0x7f800000, v28
	s_xor_b32 s7, exec_lo, s7
; %bb.49:
	v_bfe_u32 v27, v26, 16, 1
	v_add3_u32 v27, v26, v27, 0x7fff
                                        ; implicit-def: $vgpr26
; %bb.50:
	s_andn2_saveexec_b32 s7, s7
; %bb.51:
	v_mov_b32_e32 v27, 0
	v_or_b32_e32 v28, 0x10000, v26
	v_cmp_eq_u32_sdwa vcc_lo, v26, v27 src0_sel:WORD_0 src1_sel:DWORD
	v_cndmask_b32_e32 v27, v28, v26, vcc_lo
; %bb.52:
	s_or_b32 exec_lo, exec_lo, s7
	v_mul_f32_e32 v26, s4, v9
	s_mov_b32 s7, exec_lo
	global_store_short_d16_hi v[4:5], v27, off offset:96
                                        ; implicit-def: $vgpr4
	v_and_b32_e32 v28, 0x7f800000, v26
	v_cmpx_ne_u32_e32 0x7f800000, v28
	s_xor_b32 s7, exec_lo, s7
; %bb.53:
	v_bfe_u32 v4, v26, 16, 1
	v_add3_u32 v4, v26, v4, 0x7fff
                                        ; implicit-def: $vgpr26
; %bb.54:
	s_andn2_saveexec_b32 s7, s7
; %bb.55:
	v_mov_b32_e32 v4, 0
	v_or_b32_e32 v5, 0x10000, v26
	v_cmp_eq_u32_sdwa vcc_lo, v26, v4 src0_sel:WORD_0 src1_sel:DWORD
	v_cndmask_b32_e32 v4, v5, v26, vcc_lo
; %bb.56:
	s_or_b32 exec_lo, exec_lo, s7
	v_add_co_u32 v24, vcc_lo, v24, s2
	v_mul_f32_e32 v5, s4, v8
	v_add_co_ci_u32_e64 v25, null, s3, v25, vcc_lo
	v_add_co_u32 v2, vcc_lo, v24, v2
	v_and_b32_e32 v26, 0x7f800000, v5
	v_add_co_ci_u32_e64 v3, null, v25, v3, vcc_lo
	s_mov_b32 s2, exec_lo
                                        ; implicit-def: $vgpr24
	global_store_short_d16_hi v[2:3], v4, off
	v_cmpx_ne_u32_e32 0x7f800000, v26
	s_xor_b32 s2, exec_lo, s2
; %bb.57:
	v_bfe_u32 v4, v5, 16, 1
	v_add3_u32 v24, v5, v4, 0x7fff
                                        ; implicit-def: $vgpr5
; %bb.58:
	s_andn2_saveexec_b32 s2, s2
; %bb.59:
	v_mov_b32_e32 v4, 0
	v_or_b32_e32 v24, 0x10000, v5
	v_cmp_eq_u32_sdwa vcc_lo, v5, v4 src0_sel:WORD_0 src1_sel:DWORD
	v_cndmask_b32_e32 v24, v24, v5, vcc_lo
; %bb.60:
	s_or_b32 exec_lo, exec_lo, s2
	v_mul_f32_e32 v4, s4, v7
	global_store_short_d16_hi v[2:3], v24, off offset:32
	v_and_b32_e32 v5, 0x7f800000, v4
	v_cmp_ne_u32_e32 vcc_lo, 0x7f800000, v5
                                        ; implicit-def: $vgpr5
	s_and_saveexec_b32 s2, vcc_lo
	s_xor_b32 s2, exec_lo, s2
; %bb.61:
	v_bfe_u32 v5, v4, 16, 1
	v_add3_u32 v5, v4, v5, 0x7fff
                                        ; implicit-def: $vgpr4
; %bb.62:
	s_andn2_saveexec_b32 s2, s2
; %bb.63:
	v_mov_b32_e32 v5, 0
	v_or_b32_e32 v24, 0x10000, v4
	v_cmp_eq_u32_sdwa vcc_lo, v4, v5 src0_sel:WORD_0 src1_sel:DWORD
	v_cndmask_b32_e32 v5, v24, v4, vcc_lo
; %bb.64:
	s_or_b32 exec_lo, exec_lo, s2
	v_mul_f32_e32 v4, s4, v6
	s_mov_b32 s2, exec_lo
	global_store_short_d16_hi v[2:3], v5, off offset:64
                                        ; implicit-def: $vgpr5
	v_and_b32_e32 v24, 0x7f800000, v4
	v_cmpx_ne_u32_e32 0x7f800000, v24
	s_xor_b32 s2, exec_lo, s2
; %bb.65:
	v_bfe_u32 v5, v4, 16, 1
	v_add3_u32 v5, v4, v5, 0x7fff
                                        ; implicit-def: $vgpr4
; %bb.66:
	s_andn2_saveexec_b32 s2, s2
; %bb.67:
	v_mov_b32_e32 v5, 0
	v_or_b32_e32 v24, 0x10000, v4
	v_cmp_eq_u32_sdwa vcc_lo, v4, v5 src0_sel:WORD_0 src1_sel:DWORD
	v_cndmask_b32_e32 v5, v24, v4, vcc_lo
; %bb.68:
	s_or_b32 exec_lo, exec_lo, s2
	global_store_short_d16_hi v[2:3], v5, off offset:96
	s_branch .LBB426_197
.LBB426_69:
	v_mul_lo_u32 v4, v23, s14
	v_mul_lo_u32 v5, v22, s15
	v_mad_u64_u32 v[2:3], null, v22, s14, 0
	s_mul_i32 s3, s17, s8
	s_mul_hi_u32 s7, s16, s8
	s_mul_i32 s2, s16, s8
	s_add_i32 s3, s7, s3
	v_lshlrev_b64 v[0:1], 1, v[0:1]
	s_lshl_b64 s[2:3], s[2:3], 1
	v_add3_u32 v3, v3, v5, v4
	s_add_u32 s2, s12, s2
	s_addc_u32 s3, s13, s3
	v_lshlrev_b64 v[2:3], 1, v[2:3]
	v_add_co_u32 v24, vcc_lo, s2, v2
	v_add_co_ci_u32_e64 v25, null, s3, v3, vcc_lo
	v_add_co_u32 v2, vcc_lo, v24, v0
	v_add_co_ci_u32_e64 v3, null, v25, v1, vcc_lo
	global_load_ushort v4, v[2:3], off
	s_waitcnt vmcnt(0)
	v_lshlrev_b32_e32 v4, 16, v4
	v_mul_f32_e32 v4, s9, v4
	v_and_b32_e32 v5, 0x7f800000, v4
	v_cmp_ne_u32_e32 vcc_lo, 0x7f800000, v5
                                        ; implicit-def: $vgpr5
	s_and_saveexec_b32 s2, vcc_lo
	s_xor_b32 s2, exec_lo, s2
; %bb.70:
	v_bfe_u32 v5, v4, 16, 1
	v_add3_u32 v5, v4, v5, 0x7fff
                                        ; implicit-def: $vgpr4
; %bb.71:
	s_andn2_saveexec_b32 s2, s2
; %bb.72:
	v_mov_b32_e32 v5, 0
	v_or_b32_e32 v26, 0x10000, v4
	v_cmp_eq_u32_sdwa vcc_lo, v4, v5 src0_sel:WORD_0 src1_sel:DWORD
	v_cndmask_b32_e32 v5, v26, v4, vcc_lo
; %bb.73:
	s_or_b32 exec_lo, exec_lo, s2
	v_and_b32_e32 v4, 0xffff0000, v5
	s_mov_b32 s2, exec_lo
                                        ; implicit-def: $vgpr26
	v_fmac_f32_e32 v4, s4, v21
	v_and_b32_e32 v5, 0x7f800000, v4
	v_cmpx_ne_u32_e32 0x7f800000, v5
	s_xor_b32 s2, exec_lo, s2
; %bb.74:
	v_bfe_u32 v5, v4, 16, 1
	v_add3_u32 v26, v4, v5, 0x7fff
                                        ; implicit-def: $vgpr4
; %bb.75:
	s_andn2_saveexec_b32 s2, s2
; %bb.76:
	v_mov_b32_e32 v5, 0
	v_or_b32_e32 v21, 0x10000, v4
	v_cmp_eq_u32_sdwa vcc_lo, v4, v5 src0_sel:WORD_0 src1_sel:DWORD
	v_cndmask_b32_e32 v26, v21, v4, vcc_lo
; %bb.77:
	s_or_b32 exec_lo, exec_lo, s2
	v_mul_lo_u32 v21, v23, s0
	v_mul_lo_u32 v23, v22, s1
	v_mad_u64_u32 v[4:5], null, v22, s0, 0
	v_add3_u32 v5, v5, v23, v21
	v_lshlrev_b64 v[4:5], 1, v[4:5]
	v_add_co_u32 v21, vcc_lo, s5, v4
	v_add_co_ci_u32_e64 v22, null, s6, v5, vcc_lo
	v_add_co_u32 v4, vcc_lo, v21, v0
	v_add_co_ci_u32_e64 v5, null, v22, v1, vcc_lo
	global_store_short_d16_hi v[4:5], v26, off
	global_load_ushort v23, v[2:3], off offset:32
	s_waitcnt vmcnt(0)
	v_lshlrev_b32_e32 v23, 16, v23
	v_mul_f32_e32 v23, s9, v23
	v_and_b32_e32 v26, 0x7f800000, v23
	v_cmp_ne_u32_e32 vcc_lo, 0x7f800000, v26
                                        ; implicit-def: $vgpr26
	s_and_saveexec_b32 s2, vcc_lo
	s_xor_b32 s2, exec_lo, s2
; %bb.78:
	v_bfe_u32 v26, v23, 16, 1
	v_add3_u32 v26, v23, v26, 0x7fff
                                        ; implicit-def: $vgpr23
; %bb.79:
	s_andn2_saveexec_b32 s2, s2
; %bb.80:
	v_mov_b32_e32 v26, 0
	v_or_b32_e32 v27, 0x10000, v23
	v_cmp_eq_u32_sdwa vcc_lo, v23, v26 src0_sel:WORD_0 src1_sel:DWORD
	v_cndmask_b32_e32 v26, v27, v23, vcc_lo
; %bb.81:
	s_or_b32 exec_lo, exec_lo, s2
	v_and_b32_e32 v23, 0xffff0000, v26
	v_fmac_f32_e32 v23, s4, v20
	v_and_b32_e32 v20, 0x7f800000, v23
	v_cmp_ne_u32_e32 vcc_lo, 0x7f800000, v20
                                        ; implicit-def: $vgpr20
	s_and_saveexec_b32 s2, vcc_lo
	s_xor_b32 s2, exec_lo, s2
; %bb.82:
	v_bfe_u32 v20, v23, 16, 1
	v_add3_u32 v20, v23, v20, 0x7fff
                                        ; implicit-def: $vgpr23
; %bb.83:
	s_andn2_saveexec_b32 s2, s2
; %bb.84:
	v_mov_b32_e32 v20, 0
	v_or_b32_e32 v26, 0x10000, v23
	v_cmp_eq_u32_sdwa vcc_lo, v23, v20 src0_sel:WORD_0 src1_sel:DWORD
	v_cndmask_b32_e32 v20, v26, v23, vcc_lo
; %bb.85:
	s_or_b32 exec_lo, exec_lo, s2
	global_store_short_d16_hi v[4:5], v20, off offset:32
	global_load_ushort v20, v[2:3], off offset:64
	s_waitcnt vmcnt(0)
	v_lshlrev_b32_e32 v20, 16, v20
	v_mul_f32_e32 v20, s9, v20
	v_and_b32_e32 v23, 0x7f800000, v20
	v_cmp_ne_u32_e32 vcc_lo, 0x7f800000, v23
                                        ; implicit-def: $vgpr23
	s_and_saveexec_b32 s2, vcc_lo
	s_xor_b32 s2, exec_lo, s2
; %bb.86:
	v_bfe_u32 v23, v20, 16, 1
	v_add3_u32 v23, v20, v23, 0x7fff
                                        ; implicit-def: $vgpr20
; %bb.87:
	s_andn2_saveexec_b32 s2, s2
; %bb.88:
	v_mov_b32_e32 v23, 0
	v_or_b32_e32 v26, 0x10000, v20
	v_cmp_eq_u32_sdwa vcc_lo, v20, v23 src0_sel:WORD_0 src1_sel:DWORD
	v_cndmask_b32_e32 v23, v26, v20, vcc_lo
; %bb.89:
	s_or_b32 exec_lo, exec_lo, s2
	v_and_b32_e32 v20, 0xffff0000, v23
	v_fmac_f32_e32 v20, s4, v19
	v_and_b32_e32 v19, 0x7f800000, v20
	v_cmp_ne_u32_e32 vcc_lo, 0x7f800000, v19
                                        ; implicit-def: $vgpr19
	s_and_saveexec_b32 s2, vcc_lo
	s_xor_b32 s2, exec_lo, s2
; %bb.90:
	v_bfe_u32 v19, v20, 16, 1
	v_add3_u32 v19, v20, v19, 0x7fff
                                        ; implicit-def: $vgpr20
; %bb.91:
	s_andn2_saveexec_b32 s2, s2
; %bb.92:
	v_mov_b32_e32 v19, 0
	v_or_b32_e32 v23, 0x10000, v20
	v_cmp_eq_u32_sdwa vcc_lo, v20, v19 src0_sel:WORD_0 src1_sel:DWORD
	v_cndmask_b32_e32 v19, v23, v20, vcc_lo
; %bb.93:
	s_or_b32 exec_lo, exec_lo, s2
	global_store_short_d16_hi v[4:5], v19, off offset:64
	global_load_ushort v2, v[2:3], off offset:96
	s_waitcnt vmcnt(0)
	v_lshlrev_b32_e32 v2, 16, v2
	v_mul_f32_e32 v2, s9, v2
	v_and_b32_e32 v3, 0x7f800000, v2
	v_cmp_ne_u32_e32 vcc_lo, 0x7f800000, v3
                                        ; implicit-def: $vgpr3
	s_and_saveexec_b32 s2, vcc_lo
	s_xor_b32 s2, exec_lo, s2
; %bb.94:
	v_bfe_u32 v3, v2, 16, 1
	v_add3_u32 v3, v2, v3, 0x7fff
                                        ; implicit-def: $vgpr2
; %bb.95:
	s_andn2_saveexec_b32 s2, s2
; %bb.96:
	v_mov_b32_e32 v3, 0
	v_or_b32_e32 v19, 0x10000, v2
	v_cmp_eq_u32_sdwa vcc_lo, v2, v3 src0_sel:WORD_0 src1_sel:DWORD
	v_cndmask_b32_e32 v3, v19, v2, vcc_lo
; %bb.97:
	s_or_b32 exec_lo, exec_lo, s2
	v_and_b32_e32 v2, 0xffff0000, v3
	s_mov_b32 s2, exec_lo
	v_fmac_f32_e32 v2, s4, v18
                                        ; implicit-def: $vgpr18
	v_and_b32_e32 v3, 0x7f800000, v2
	v_cmpx_ne_u32_e32 0x7f800000, v3
	s_xor_b32 s2, exec_lo, s2
; %bb.98:
	v_bfe_u32 v3, v2, 16, 1
	v_add3_u32 v18, v2, v3, 0x7fff
                                        ; implicit-def: $vgpr2
; %bb.99:
	s_andn2_saveexec_b32 s2, s2
; %bb.100:
	v_mov_b32_e32 v3, 0
	v_or_b32_e32 v18, 0x10000, v2
	v_cmp_eq_u32_sdwa vcc_lo, v2, v3 src0_sel:WORD_0 src1_sel:DWORD
	v_cndmask_b32_e32 v18, v18, v2, vcc_lo
; %bb.101:
	s_or_b32 exec_lo, exec_lo, s2
	s_lshl_b64 s[2:3], s[14:15], 5
	global_store_short_d16_hi v[4:5], v18, off offset:96
	v_add_co_u32 v19, vcc_lo, v24, s2
	v_add_co_ci_u32_e64 v20, null, s3, v25, vcc_lo
	v_add_co_u32 v2, vcc_lo, v19, v0
	v_add_co_ci_u32_e64 v3, null, v20, v1, vcc_lo
	global_load_ushort v4, v[2:3], off
	s_waitcnt vmcnt(0)
	v_lshlrev_b32_e32 v4, 16, v4
	v_mul_f32_e32 v4, s9, v4
	v_and_b32_e32 v5, 0x7f800000, v4
	v_cmp_ne_u32_e32 vcc_lo, 0x7f800000, v5
                                        ; implicit-def: $vgpr5
	s_and_saveexec_b32 s2, vcc_lo
	s_xor_b32 s2, exec_lo, s2
; %bb.102:
	v_bfe_u32 v5, v4, 16, 1
	v_add3_u32 v5, v4, v5, 0x7fff
                                        ; implicit-def: $vgpr4
; %bb.103:
	s_andn2_saveexec_b32 s2, s2
; %bb.104:
	v_mov_b32_e32 v5, 0
	v_or_b32_e32 v18, 0x10000, v4
	v_cmp_eq_u32_sdwa vcc_lo, v4, v5 src0_sel:WORD_0 src1_sel:DWORD
	v_cndmask_b32_e32 v5, v18, v4, vcc_lo
; %bb.105:
	s_or_b32 exec_lo, exec_lo, s2
	v_and_b32_e32 v4, 0xffff0000, v5
	s_mov_b32 s2, exec_lo
                                        ; implicit-def: $vgpr23
	v_fmac_f32_e32 v4, s4, v17
	v_and_b32_e32 v5, 0x7f800000, v4
	v_cmpx_ne_u32_e32 0x7f800000, v5
	s_xor_b32 s2, exec_lo, s2
; %bb.106:
	v_bfe_u32 v5, v4, 16, 1
	v_add3_u32 v23, v4, v5, 0x7fff
                                        ; implicit-def: $vgpr4
; %bb.107:
	s_andn2_saveexec_b32 s2, s2
; %bb.108:
	v_mov_b32_e32 v5, 0
	v_or_b32_e32 v17, 0x10000, v4
	v_cmp_eq_u32_sdwa vcc_lo, v4, v5 src0_sel:WORD_0 src1_sel:DWORD
	v_cndmask_b32_e32 v23, v17, v4, vcc_lo
; %bb.109:
	s_or_b32 exec_lo, exec_lo, s2
	s_lshl_b64 s[2:3], s[0:1], 5
	v_add_co_u32 v17, vcc_lo, v21, s2
	v_add_co_ci_u32_e64 v18, null, s3, v22, vcc_lo
	v_add_co_u32 v4, vcc_lo, v17, v0
	v_add_co_ci_u32_e64 v5, null, v18, v1, vcc_lo
	global_store_short_d16_hi v[4:5], v23, off
	global_load_ushort v21, v[2:3], off offset:32
	s_waitcnt vmcnt(0)
	v_lshlrev_b32_e32 v21, 16, v21
	v_mul_f32_e32 v21, s9, v21
	v_and_b32_e32 v22, 0x7f800000, v21
	v_cmp_ne_u32_e32 vcc_lo, 0x7f800000, v22
                                        ; implicit-def: $vgpr22
	s_and_saveexec_b32 s2, vcc_lo
	s_xor_b32 s2, exec_lo, s2
; %bb.110:
	v_bfe_u32 v22, v21, 16, 1
	v_add3_u32 v22, v21, v22, 0x7fff
                                        ; implicit-def: $vgpr21
; %bb.111:
	s_andn2_saveexec_b32 s2, s2
; %bb.112:
	v_mov_b32_e32 v22, 0
	v_or_b32_e32 v23, 0x10000, v21
	v_cmp_eq_u32_sdwa vcc_lo, v21, v22 src0_sel:WORD_0 src1_sel:DWORD
	v_cndmask_b32_e32 v22, v23, v21, vcc_lo
; %bb.113:
	s_or_b32 exec_lo, exec_lo, s2
	v_and_b32_e32 v21, 0xffff0000, v22
	v_fmac_f32_e32 v21, s4, v16
	v_and_b32_e32 v16, 0x7f800000, v21
	v_cmp_ne_u32_e32 vcc_lo, 0x7f800000, v16
                                        ; implicit-def: $vgpr16
	s_and_saveexec_b32 s2, vcc_lo
	s_xor_b32 s2, exec_lo, s2
; %bb.114:
	v_bfe_u32 v16, v21, 16, 1
	v_add3_u32 v16, v21, v16, 0x7fff
                                        ; implicit-def: $vgpr21
; %bb.115:
	s_andn2_saveexec_b32 s2, s2
; %bb.116:
	v_mov_b32_e32 v16, 0
	v_or_b32_e32 v22, 0x10000, v21
	v_cmp_eq_u32_sdwa vcc_lo, v21, v16 src0_sel:WORD_0 src1_sel:DWORD
	v_cndmask_b32_e32 v16, v22, v21, vcc_lo
; %bb.117:
	s_or_b32 exec_lo, exec_lo, s2
	global_store_short_d16_hi v[4:5], v16, off offset:32
	global_load_ushort v16, v[2:3], off offset:64
	s_waitcnt vmcnt(0)
	v_lshlrev_b32_e32 v16, 16, v16
	v_mul_f32_e32 v16, s9, v16
	v_and_b32_e32 v21, 0x7f800000, v16
	v_cmp_ne_u32_e32 vcc_lo, 0x7f800000, v21
                                        ; implicit-def: $vgpr21
	s_and_saveexec_b32 s2, vcc_lo
	s_xor_b32 s2, exec_lo, s2
; %bb.118:
	v_bfe_u32 v21, v16, 16, 1
	v_add3_u32 v21, v16, v21, 0x7fff
                                        ; implicit-def: $vgpr16
; %bb.119:
	s_andn2_saveexec_b32 s2, s2
; %bb.120:
	v_mov_b32_e32 v21, 0
	v_or_b32_e32 v22, 0x10000, v16
	v_cmp_eq_u32_sdwa vcc_lo, v16, v21 src0_sel:WORD_0 src1_sel:DWORD
	v_cndmask_b32_e32 v21, v22, v16, vcc_lo
; %bb.121:
	s_or_b32 exec_lo, exec_lo, s2
	v_and_b32_e32 v16, 0xffff0000, v21
	v_fmac_f32_e32 v16, s4, v15
	v_and_b32_e32 v15, 0x7f800000, v16
	v_cmp_ne_u32_e32 vcc_lo, 0x7f800000, v15
                                        ; implicit-def: $vgpr15
	s_and_saveexec_b32 s2, vcc_lo
	s_xor_b32 s2, exec_lo, s2
; %bb.122:
	v_bfe_u32 v15, v16, 16, 1
	v_add3_u32 v15, v16, v15, 0x7fff
                                        ; implicit-def: $vgpr16
; %bb.123:
	s_andn2_saveexec_b32 s2, s2
; %bb.124:
	v_mov_b32_e32 v15, 0
	v_or_b32_e32 v21, 0x10000, v16
	v_cmp_eq_u32_sdwa vcc_lo, v16, v15 src0_sel:WORD_0 src1_sel:DWORD
	v_cndmask_b32_e32 v15, v21, v16, vcc_lo
; %bb.125:
	s_or_b32 exec_lo, exec_lo, s2
	global_store_short_d16_hi v[4:5], v15, off offset:64
	global_load_ushort v2, v[2:3], off offset:96
	s_waitcnt vmcnt(0)
	v_lshlrev_b32_e32 v2, 16, v2
	v_mul_f32_e32 v2, s9, v2
	v_and_b32_e32 v3, 0x7f800000, v2
	v_cmp_ne_u32_e32 vcc_lo, 0x7f800000, v3
                                        ; implicit-def: $vgpr3
	s_and_saveexec_b32 s2, vcc_lo
	s_xor_b32 s2, exec_lo, s2
; %bb.126:
	v_bfe_u32 v3, v2, 16, 1
	v_add3_u32 v3, v2, v3, 0x7fff
                                        ; implicit-def: $vgpr2
; %bb.127:
	s_andn2_saveexec_b32 s2, s2
; %bb.128:
	v_mov_b32_e32 v3, 0
	v_or_b32_e32 v15, 0x10000, v2
	v_cmp_eq_u32_sdwa vcc_lo, v2, v3 src0_sel:WORD_0 src1_sel:DWORD
	v_cndmask_b32_e32 v3, v15, v2, vcc_lo
; %bb.129:
	s_or_b32 exec_lo, exec_lo, s2
	v_and_b32_e32 v2, 0xffff0000, v3
	s_mov_b32 s2, exec_lo
                                        ; implicit-def: $vgpr16
	v_fmac_f32_e32 v2, s4, v14
	v_and_b32_e32 v3, 0x7f800000, v2
	v_cmpx_ne_u32_e32 0x7f800000, v3
	s_xor_b32 s2, exec_lo, s2
; %bb.130:
	v_bfe_u32 v3, v2, 16, 1
	v_add3_u32 v16, v2, v3, 0x7fff
                                        ; implicit-def: $vgpr2
; %bb.131:
	s_or_saveexec_b32 s5, s2
	s_lshl_b64 s[2:3], s[14:15], 4
	s_xor_b32 exec_lo, exec_lo, s5
; %bb.132:
	v_mov_b32_e32 v3, 0
	v_or_b32_e32 v14, 0x10000, v2
	v_cmp_eq_u32_sdwa vcc_lo, v2, v3 src0_sel:WORD_0 src1_sel:DWORD
	v_cndmask_b32_e32 v16, v14, v2, vcc_lo
; %bb.133:
	s_or_b32 exec_lo, exec_lo, s5
	s_lshl_b64 s[2:3], s[2:3], 1
	global_store_short_d16_hi v[4:5], v16, off offset:96
	v_add_co_u32 v14, vcc_lo, v19, s2
	v_add_co_ci_u32_e64 v15, null, s3, v20, vcc_lo
	v_add_co_u32 v2, vcc_lo, v14, v0
	v_add_co_ci_u32_e64 v3, null, v15, v1, vcc_lo
	global_load_ushort v4, v[2:3], off
	s_waitcnt vmcnt(0)
	v_lshlrev_b32_e32 v4, 16, v4
	v_mul_f32_e32 v4, s9, v4
	v_and_b32_e32 v5, 0x7f800000, v4
	v_cmp_ne_u32_e32 vcc_lo, 0x7f800000, v5
                                        ; implicit-def: $vgpr5
	s_and_saveexec_b32 s5, vcc_lo
	s_xor_b32 s5, exec_lo, s5
; %bb.134:
	v_bfe_u32 v5, v4, 16, 1
	v_add3_u32 v5, v4, v5, 0x7fff
                                        ; implicit-def: $vgpr4
; %bb.135:
	s_andn2_saveexec_b32 s5, s5
; %bb.136:
	v_mov_b32_e32 v5, 0
	v_or_b32_e32 v16, 0x10000, v4
	v_cmp_eq_u32_sdwa vcc_lo, v4, v5 src0_sel:WORD_0 src1_sel:DWORD
	v_cndmask_b32_e32 v5, v16, v4, vcc_lo
; %bb.137:
	s_or_b32 exec_lo, exec_lo, s5
	v_and_b32_e32 v4, 0xffff0000, v5
	s_mov_b32 s5, exec_lo
                                        ; implicit-def: $vgpr19
	v_fmac_f32_e32 v4, s4, v13
	v_and_b32_e32 v5, 0x7f800000, v4
	v_cmpx_ne_u32_e32 0x7f800000, v5
	s_xor_b32 s5, exec_lo, s5
; %bb.138:
	v_bfe_u32 v5, v4, 16, 1
	v_add3_u32 v19, v4, v5, 0x7fff
                                        ; implicit-def: $vgpr4
; %bb.139:
	s_or_saveexec_b32 s5, s5
	s_lshl_b64 s[0:1], s[0:1], 4
	s_xor_b32 exec_lo, exec_lo, s5
; %bb.140:
	v_mov_b32_e32 v5, 0
	v_or_b32_e32 v13, 0x10000, v4
	v_cmp_eq_u32_sdwa vcc_lo, v4, v5 src0_sel:WORD_0 src1_sel:DWORD
	v_cndmask_b32_e32 v19, v13, v4, vcc_lo
; %bb.141:
	s_or_b32 exec_lo, exec_lo, s5
	s_lshl_b64 s[0:1], s[0:1], 1
	v_add_co_u32 v13, vcc_lo, v17, s0
	v_add_co_ci_u32_e64 v16, null, s1, v18, vcc_lo
	v_add_co_u32 v4, vcc_lo, v13, v0
	v_add_co_ci_u32_e64 v5, null, v16, v1, vcc_lo
	global_store_short_d16_hi v[4:5], v19, off
	global_load_ushort v17, v[2:3], off offset:32
	s_waitcnt vmcnt(0)
	v_lshlrev_b32_e32 v17, 16, v17
	v_mul_f32_e32 v17, s9, v17
	v_and_b32_e32 v18, 0x7f800000, v17
	v_cmp_ne_u32_e32 vcc_lo, 0x7f800000, v18
                                        ; implicit-def: $vgpr18
	s_and_saveexec_b32 s5, vcc_lo
	s_xor_b32 s5, exec_lo, s5
; %bb.142:
	v_bfe_u32 v18, v17, 16, 1
	v_add3_u32 v18, v17, v18, 0x7fff
                                        ; implicit-def: $vgpr17
; %bb.143:
	s_andn2_saveexec_b32 s5, s5
; %bb.144:
	v_mov_b32_e32 v18, 0
	v_or_b32_e32 v19, 0x10000, v17
	v_cmp_eq_u32_sdwa vcc_lo, v17, v18 src0_sel:WORD_0 src1_sel:DWORD
	v_cndmask_b32_e32 v18, v19, v17, vcc_lo
; %bb.145:
	s_or_b32 exec_lo, exec_lo, s5
	v_and_b32_e32 v17, 0xffff0000, v18
	v_fmac_f32_e32 v17, s4, v12
	v_and_b32_e32 v12, 0x7f800000, v17
	v_cmp_ne_u32_e32 vcc_lo, 0x7f800000, v12
                                        ; implicit-def: $vgpr12
	s_and_saveexec_b32 s5, vcc_lo
	s_xor_b32 s5, exec_lo, s5
; %bb.146:
	v_bfe_u32 v12, v17, 16, 1
	v_add3_u32 v12, v17, v12, 0x7fff
                                        ; implicit-def: $vgpr17
; %bb.147:
	s_andn2_saveexec_b32 s5, s5
; %bb.148:
	v_mov_b32_e32 v12, 0
	v_or_b32_e32 v18, 0x10000, v17
	v_cmp_eq_u32_sdwa vcc_lo, v17, v12 src0_sel:WORD_0 src1_sel:DWORD
	v_cndmask_b32_e32 v12, v18, v17, vcc_lo
; %bb.149:
	s_or_b32 exec_lo, exec_lo, s5
	global_store_short_d16_hi v[4:5], v12, off offset:32
	global_load_ushort v12, v[2:3], off offset:64
	s_waitcnt vmcnt(0)
	v_lshlrev_b32_e32 v12, 16, v12
	v_mul_f32_e32 v12, s9, v12
	v_and_b32_e32 v17, 0x7f800000, v12
	v_cmp_ne_u32_e32 vcc_lo, 0x7f800000, v17
                                        ; implicit-def: $vgpr17
	s_and_saveexec_b32 s5, vcc_lo
	s_xor_b32 s5, exec_lo, s5
; %bb.150:
	v_bfe_u32 v17, v12, 16, 1
	v_add3_u32 v17, v12, v17, 0x7fff
                                        ; implicit-def: $vgpr12
; %bb.151:
	s_andn2_saveexec_b32 s5, s5
; %bb.152:
	v_mov_b32_e32 v17, 0
	v_or_b32_e32 v18, 0x10000, v12
	v_cmp_eq_u32_sdwa vcc_lo, v12, v17 src0_sel:WORD_0 src1_sel:DWORD
	v_cndmask_b32_e32 v17, v18, v12, vcc_lo
; %bb.153:
	s_or_b32 exec_lo, exec_lo, s5
	v_and_b32_e32 v12, 0xffff0000, v17
	v_fmac_f32_e32 v12, s4, v11
	v_and_b32_e32 v11, 0x7f800000, v12
	v_cmp_ne_u32_e32 vcc_lo, 0x7f800000, v11
                                        ; implicit-def: $vgpr11
	s_and_saveexec_b32 s5, vcc_lo
	s_xor_b32 s5, exec_lo, s5
; %bb.154:
	v_bfe_u32 v11, v12, 16, 1
	v_add3_u32 v11, v12, v11, 0x7fff
                                        ; implicit-def: $vgpr12
; %bb.155:
	s_andn2_saveexec_b32 s5, s5
; %bb.156:
	v_mov_b32_e32 v11, 0
	v_or_b32_e32 v17, 0x10000, v12
	v_cmp_eq_u32_sdwa vcc_lo, v12, v11 src0_sel:WORD_0 src1_sel:DWORD
	v_cndmask_b32_e32 v11, v17, v12, vcc_lo
; %bb.157:
	s_or_b32 exec_lo, exec_lo, s5
	global_store_short_d16_hi v[4:5], v11, off offset:64
	global_load_ushort v2, v[2:3], off offset:96
	s_waitcnt vmcnt(0)
	v_lshlrev_b32_e32 v2, 16, v2
	v_mul_f32_e32 v2, s9, v2
	v_and_b32_e32 v3, 0x7f800000, v2
	v_cmp_ne_u32_e32 vcc_lo, 0x7f800000, v3
                                        ; implicit-def: $vgpr3
	s_and_saveexec_b32 s5, vcc_lo
	s_xor_b32 s5, exec_lo, s5
; %bb.158:
	v_bfe_u32 v3, v2, 16, 1
	v_add3_u32 v3, v2, v3, 0x7fff
                                        ; implicit-def: $vgpr2
; %bb.159:
	s_andn2_saveexec_b32 s5, s5
; %bb.160:
	v_mov_b32_e32 v3, 0
	v_or_b32_e32 v11, 0x10000, v2
	v_cmp_eq_u32_sdwa vcc_lo, v2, v3 src0_sel:WORD_0 src1_sel:DWORD
	v_cndmask_b32_e32 v3, v11, v2, vcc_lo
; %bb.161:
	s_or_b32 exec_lo, exec_lo, s5
	v_and_b32_e32 v2, 0xffff0000, v3
	s_mov_b32 s5, exec_lo
	v_fmac_f32_e32 v2, s4, v10
                                        ; implicit-def: $vgpr10
	v_and_b32_e32 v3, 0x7f800000, v2
	v_cmpx_ne_u32_e32 0x7f800000, v3
	s_xor_b32 s5, exec_lo, s5
; %bb.162:
	v_bfe_u32 v3, v2, 16, 1
	v_add3_u32 v10, v2, v3, 0x7fff
                                        ; implicit-def: $vgpr2
; %bb.163:
	s_andn2_saveexec_b32 s5, s5
; %bb.164:
	v_mov_b32_e32 v3, 0
	v_or_b32_e32 v10, 0x10000, v2
	v_cmp_eq_u32_sdwa vcc_lo, v2, v3 src0_sel:WORD_0 src1_sel:DWORD
	v_cndmask_b32_e32 v10, v10, v2, vcc_lo
; %bb.165:
	s_or_b32 exec_lo, exec_lo, s5
	v_add_co_u32 v2, vcc_lo, v14, s2
	v_add_co_ci_u32_e64 v3, null, s3, v15, vcc_lo
	global_store_short_d16_hi v[4:5], v10, off offset:96
	v_add_co_u32 v2, vcc_lo, v2, v0
	v_add_co_ci_u32_e64 v3, null, v3, v1, vcc_lo
	global_load_ushort v4, v[2:3], off
	s_waitcnt vmcnt(0)
	v_lshlrev_b32_e32 v4, 16, v4
	v_mul_f32_e32 v4, s9, v4
	v_and_b32_e32 v5, 0x7f800000, v4
	v_cmp_ne_u32_e32 vcc_lo, 0x7f800000, v5
                                        ; implicit-def: $vgpr5
	s_and_saveexec_b32 s2, vcc_lo
	s_xor_b32 s2, exec_lo, s2
; %bb.166:
	v_bfe_u32 v5, v4, 16, 1
	v_add3_u32 v5, v4, v5, 0x7fff
                                        ; implicit-def: $vgpr4
; %bb.167:
	s_andn2_saveexec_b32 s2, s2
; %bb.168:
	v_mov_b32_e32 v5, 0
	v_or_b32_e32 v10, 0x10000, v4
	v_cmp_eq_u32_sdwa vcc_lo, v4, v5 src0_sel:WORD_0 src1_sel:DWORD
	v_cndmask_b32_e32 v5, v10, v4, vcc_lo
; %bb.169:
	s_or_b32 exec_lo, exec_lo, s2
	v_and_b32_e32 v5, 0xffff0000, v5
	v_fmac_f32_e32 v5, s4, v9
	v_and_b32_e32 v4, 0x7f800000, v5
	v_cmp_ne_u32_e32 vcc_lo, 0x7f800000, v4
                                        ; implicit-def: $vgpr4
	s_and_saveexec_b32 s2, vcc_lo
	s_xor_b32 s2, exec_lo, s2
; %bb.170:
	v_bfe_u32 v4, v5, 16, 1
	v_add3_u32 v4, v5, v4, 0x7fff
                                        ; implicit-def: $vgpr5
; %bb.171:
	s_andn2_saveexec_b32 s2, s2
; %bb.172:
	v_mov_b32_e32 v4, 0
	v_or_b32_e32 v9, 0x10000, v5
	v_cmp_eq_u32_sdwa vcc_lo, v5, v4 src0_sel:WORD_0 src1_sel:DWORD
	v_cndmask_b32_e32 v4, v9, v5, vcc_lo
; %bb.173:
	s_or_b32 exec_lo, exec_lo, s2
	v_add_co_u32 v5, vcc_lo, v13, s0
	v_add_co_ci_u32_e64 v9, null, s1, v16, vcc_lo
	v_add_co_u32 v0, vcc_lo, v5, v0
	v_add_co_ci_u32_e64 v1, null, v9, v1, vcc_lo
	global_store_short_d16_hi v[0:1], v4, off
	global_load_ushort v4, v[2:3], off offset:32
	s_waitcnt vmcnt(0)
	v_lshlrev_b32_e32 v4, 16, v4
	v_mul_f32_e32 v4, s9, v4
	v_and_b32_e32 v5, 0x7f800000, v4
	v_cmp_ne_u32_e32 vcc_lo, 0x7f800000, v5
                                        ; implicit-def: $vgpr5
	s_and_saveexec_b32 s0, vcc_lo
	s_xor_b32 s0, exec_lo, s0
; %bb.174:
	v_bfe_u32 v5, v4, 16, 1
	v_add3_u32 v5, v4, v5, 0x7fff
                                        ; implicit-def: $vgpr4
; %bb.175:
	s_andn2_saveexec_b32 s0, s0
; %bb.176:
	v_mov_b32_e32 v5, 0
	v_or_b32_e32 v9, 0x10000, v4
	v_cmp_eq_u32_sdwa vcc_lo, v4, v5 src0_sel:WORD_0 src1_sel:DWORD
	v_cndmask_b32_e32 v5, v9, v4, vcc_lo
; %bb.177:
	s_or_b32 exec_lo, exec_lo, s0
	v_and_b32_e32 v4, 0xffff0000, v5
	v_fmac_f32_e32 v4, s4, v8
	v_and_b32_e32 v5, 0x7f800000, v4
	v_cmp_ne_u32_e32 vcc_lo, 0x7f800000, v5
                                        ; implicit-def: $vgpr5
	s_and_saveexec_b32 s0, vcc_lo
	s_xor_b32 s0, exec_lo, s0
; %bb.178:
	v_bfe_u32 v5, v4, 16, 1
	v_add3_u32 v5, v4, v5, 0x7fff
                                        ; implicit-def: $vgpr4
; %bb.179:
	s_andn2_saveexec_b32 s0, s0
; %bb.180:
	v_mov_b32_e32 v5, 0
	v_or_b32_e32 v8, 0x10000, v4
	v_cmp_eq_u32_sdwa vcc_lo, v4, v5 src0_sel:WORD_0 src1_sel:DWORD
	v_cndmask_b32_e32 v5, v8, v4, vcc_lo
; %bb.181:
	s_or_b32 exec_lo, exec_lo, s0
	global_store_short_d16_hi v[0:1], v5, off offset:32
	global_load_ushort v4, v[2:3], off offset:64
	s_waitcnt vmcnt(0)
	v_lshlrev_b32_e32 v4, 16, v4
	v_mul_f32_e32 v4, s9, v4
	v_and_b32_e32 v5, 0x7f800000, v4
	v_cmp_ne_u32_e32 vcc_lo, 0x7f800000, v5
                                        ; implicit-def: $vgpr5
	s_and_saveexec_b32 s0, vcc_lo
	s_xor_b32 s0, exec_lo, s0
; %bb.182:
	v_bfe_u32 v5, v4, 16, 1
	v_add3_u32 v5, v4, v5, 0x7fff
                                        ; implicit-def: $vgpr4
; %bb.183:
	s_andn2_saveexec_b32 s0, s0
; %bb.184:
	v_mov_b32_e32 v5, 0
	v_or_b32_e32 v8, 0x10000, v4
	v_cmp_eq_u32_sdwa vcc_lo, v4, v5 src0_sel:WORD_0 src1_sel:DWORD
	v_cndmask_b32_e32 v5, v8, v4, vcc_lo
; %bb.185:
	s_or_b32 exec_lo, exec_lo, s0
	v_and_b32_e32 v4, 0xffff0000, v5
	v_fmac_f32_e32 v4, s4, v7
	v_and_b32_e32 v5, 0x7f800000, v4
	v_cmp_ne_u32_e32 vcc_lo, 0x7f800000, v5
                                        ; implicit-def: $vgpr5
	s_and_saveexec_b32 s0, vcc_lo
	s_xor_b32 s0, exec_lo, s0
; %bb.186:
	v_bfe_u32 v5, v4, 16, 1
	v_add3_u32 v5, v4, v5, 0x7fff
                                        ; implicit-def: $vgpr4
; %bb.187:
	s_andn2_saveexec_b32 s0, s0
; %bb.188:
	v_mov_b32_e32 v5, 0
	v_or_b32_e32 v7, 0x10000, v4
	v_cmp_eq_u32_sdwa vcc_lo, v4, v5 src0_sel:WORD_0 src1_sel:DWORD
	v_cndmask_b32_e32 v5, v7, v4, vcc_lo
; %bb.189:
	s_or_b32 exec_lo, exec_lo, s0
	global_store_short_d16_hi v[0:1], v5, off offset:64
	global_load_ushort v2, v[2:3], off offset:96
	s_waitcnt vmcnt(0)
	v_lshlrev_b32_e32 v2, 16, v2
	v_mul_f32_e32 v2, s9, v2
	v_and_b32_e32 v3, 0x7f800000, v2
	v_cmp_ne_u32_e32 vcc_lo, 0x7f800000, v3
                                        ; implicit-def: $vgpr3
	s_and_saveexec_b32 s0, vcc_lo
	s_xor_b32 s0, exec_lo, s0
; %bb.190:
	v_bfe_u32 v3, v2, 16, 1
	v_add3_u32 v3, v2, v3, 0x7fff
                                        ; implicit-def: $vgpr2
; %bb.191:
	s_andn2_saveexec_b32 s0, s0
; %bb.192:
	v_mov_b32_e32 v3, 0
	v_or_b32_e32 v4, 0x10000, v2
	v_cmp_eq_u32_sdwa vcc_lo, v2, v3 src0_sel:WORD_0 src1_sel:DWORD
	v_cndmask_b32_e32 v3, v4, v2, vcc_lo
; %bb.193:
	s_or_b32 exec_lo, exec_lo, s0
	v_and_b32_e32 v2, 0xffff0000, v3
	v_fmac_f32_e32 v2, s4, v6
	v_and_b32_e32 v3, 0x7f800000, v2
	v_cmp_ne_u32_e32 vcc_lo, 0x7f800000, v3
                                        ; implicit-def: $vgpr3
	s_and_saveexec_b32 s0, vcc_lo
	s_xor_b32 s0, exec_lo, s0
	s_cbranch_execnz .LBB426_198
; %bb.194:
	s_andn2_saveexec_b32 s0, s0
	s_cbranch_execnz .LBB426_199
.LBB426_195:
	s_or_b32 exec_lo, exec_lo, s0
	global_store_short_d16_hi v[0:1], v3, off offset:96
	s_endpgm
.LBB426_196:
	s_cbranch_execnz .LBB426_69
.LBB426_197:
	s_endpgm
.LBB426_198:
	v_bfe_u32 v3, v2, 16, 1
	v_add3_u32 v3, v2, v3, 0x7fff
                                        ; implicit-def: $vgpr2
	s_andn2_saveexec_b32 s0, s0
	s_cbranch_execz .LBB426_195
.LBB426_199:
	v_mov_b32_e32 v3, 0
	v_or_b32_e32 v4, 0x10000, v2
	v_cmp_eq_u32_sdwa vcc_lo, v2, v3 src0_sel:WORD_0 src1_sel:DWORD
	v_cndmask_b32_e32 v3, v4, v2, vcc_lo
	s_or_b32 exec_lo, exec_lo, s0
	global_store_short_d16_hi v[0:1], v3, off offset:96
	s_endpgm
	.section	.rodata,"a",@progbits
	.p2align	6, 0x0
	.amdhsa_kernel _ZN12_GLOBAL__N_127rocblas_gemm_batched_kernelIfLi16ELi16ELi64ELi64ELi4ELi64ELi4ELi4ELi64ELc84ELc67EK16rocblas_bfloat16S2_S1_EEvlllT_PT11_llS5_llS3_PT12_llPT13_lli
		.amdhsa_group_segment_fixed_size 2048
		.amdhsa_private_segment_fixed_size 0
		.amdhsa_kernarg_size 140
		.amdhsa_user_sgpr_count 6
		.amdhsa_user_sgpr_private_segment_buffer 1
		.amdhsa_user_sgpr_dispatch_ptr 0
		.amdhsa_user_sgpr_queue_ptr 0
		.amdhsa_user_sgpr_kernarg_segment_ptr 1
		.amdhsa_user_sgpr_dispatch_id 0
		.amdhsa_user_sgpr_flat_scratch_init 0
		.amdhsa_user_sgpr_private_segment_size 0
		.amdhsa_wavefront_size32 1
		.amdhsa_uses_dynamic_stack 0
		.amdhsa_system_sgpr_private_segment_wavefront_offset 0
		.amdhsa_system_sgpr_workgroup_id_x 1
		.amdhsa_system_sgpr_workgroup_id_y 1
		.amdhsa_system_sgpr_workgroup_id_z 1
		.amdhsa_system_sgpr_workgroup_info 0
		.amdhsa_system_vgpr_workitem_id 1
		.amdhsa_next_free_vgpr 58
		.amdhsa_next_free_sgpr 22
		.amdhsa_reserve_vcc 1
		.amdhsa_reserve_flat_scratch 0
		.amdhsa_float_round_mode_32 0
		.amdhsa_float_round_mode_16_64 0
		.amdhsa_float_denorm_mode_32 3
		.amdhsa_float_denorm_mode_16_64 3
		.amdhsa_dx10_clamp 1
		.amdhsa_ieee_mode 1
		.amdhsa_fp16_overflow 0
		.amdhsa_workgroup_processor_mode 1
		.amdhsa_memory_ordered 1
		.amdhsa_forward_progress 1
		.amdhsa_shared_vgpr_count 0
		.amdhsa_exception_fp_ieee_invalid_op 0
		.amdhsa_exception_fp_denorm_src 0
		.amdhsa_exception_fp_ieee_div_zero 0
		.amdhsa_exception_fp_ieee_overflow 0
		.amdhsa_exception_fp_ieee_underflow 0
		.amdhsa_exception_fp_ieee_inexact 0
		.amdhsa_exception_int_div_zero 0
	.end_amdhsa_kernel
	.section	.text._ZN12_GLOBAL__N_127rocblas_gemm_batched_kernelIfLi16ELi16ELi64ELi64ELi4ELi64ELi4ELi4ELi64ELc84ELc67EK16rocblas_bfloat16S2_S1_EEvlllT_PT11_llS5_llS3_PT12_llPT13_lli,"axG",@progbits,_ZN12_GLOBAL__N_127rocblas_gemm_batched_kernelIfLi16ELi16ELi64ELi64ELi4ELi64ELi4ELi4ELi64ELc84ELc67EK16rocblas_bfloat16S2_S1_EEvlllT_PT11_llS5_llS3_PT12_llPT13_lli,comdat
.Lfunc_end426:
	.size	_ZN12_GLOBAL__N_127rocblas_gemm_batched_kernelIfLi16ELi16ELi64ELi64ELi4ELi64ELi4ELi4ELi64ELc84ELc67EK16rocblas_bfloat16S2_S1_EEvlllT_PT11_llS5_llS3_PT12_llPT13_lli, .Lfunc_end426-_ZN12_GLOBAL__N_127rocblas_gemm_batched_kernelIfLi16ELi16ELi64ELi64ELi4ELi64ELi4ELi4ELi64ELc84ELc67EK16rocblas_bfloat16S2_S1_EEvlllT_PT11_llS5_llS3_PT12_llPT13_lli
                                        ; -- End function
	.set _ZN12_GLOBAL__N_127rocblas_gemm_batched_kernelIfLi16ELi16ELi64ELi64ELi4ELi64ELi4ELi4ELi64ELc84ELc67EK16rocblas_bfloat16S2_S1_EEvlllT_PT11_llS5_llS3_PT12_llPT13_lli.num_vgpr, 58
	.set _ZN12_GLOBAL__N_127rocblas_gemm_batched_kernelIfLi16ELi16ELi64ELi64ELi4ELi64ELi4ELi4ELi64ELc84ELc67EK16rocblas_bfloat16S2_S1_EEvlllT_PT11_llS5_llS3_PT12_llPT13_lli.num_agpr, 0
	.set _ZN12_GLOBAL__N_127rocblas_gemm_batched_kernelIfLi16ELi16ELi64ELi64ELi4ELi64ELi4ELi4ELi64ELc84ELc67EK16rocblas_bfloat16S2_S1_EEvlllT_PT11_llS5_llS3_PT12_llPT13_lli.numbered_sgpr, 22
	.set _ZN12_GLOBAL__N_127rocblas_gemm_batched_kernelIfLi16ELi16ELi64ELi64ELi4ELi64ELi4ELi4ELi64ELc84ELc67EK16rocblas_bfloat16S2_S1_EEvlllT_PT11_llS5_llS3_PT12_llPT13_lli.num_named_barrier, 0
	.set _ZN12_GLOBAL__N_127rocblas_gemm_batched_kernelIfLi16ELi16ELi64ELi64ELi4ELi64ELi4ELi4ELi64ELc84ELc67EK16rocblas_bfloat16S2_S1_EEvlllT_PT11_llS5_llS3_PT12_llPT13_lli.private_seg_size, 0
	.set _ZN12_GLOBAL__N_127rocblas_gemm_batched_kernelIfLi16ELi16ELi64ELi64ELi4ELi64ELi4ELi4ELi64ELc84ELc67EK16rocblas_bfloat16S2_S1_EEvlllT_PT11_llS5_llS3_PT12_llPT13_lli.uses_vcc, 1
	.set _ZN12_GLOBAL__N_127rocblas_gemm_batched_kernelIfLi16ELi16ELi64ELi64ELi4ELi64ELi4ELi4ELi64ELc84ELc67EK16rocblas_bfloat16S2_S1_EEvlllT_PT11_llS5_llS3_PT12_llPT13_lli.uses_flat_scratch, 0
	.set _ZN12_GLOBAL__N_127rocblas_gemm_batched_kernelIfLi16ELi16ELi64ELi64ELi4ELi64ELi4ELi4ELi64ELc84ELc67EK16rocblas_bfloat16S2_S1_EEvlllT_PT11_llS5_llS3_PT12_llPT13_lli.has_dyn_sized_stack, 0
	.set _ZN12_GLOBAL__N_127rocblas_gemm_batched_kernelIfLi16ELi16ELi64ELi64ELi4ELi64ELi4ELi4ELi64ELc84ELc67EK16rocblas_bfloat16S2_S1_EEvlllT_PT11_llS5_llS3_PT12_llPT13_lli.has_recursion, 0
	.set _ZN12_GLOBAL__N_127rocblas_gemm_batched_kernelIfLi16ELi16ELi64ELi64ELi4ELi64ELi4ELi4ELi64ELc84ELc67EK16rocblas_bfloat16S2_S1_EEvlllT_PT11_llS5_llS3_PT12_llPT13_lli.has_indirect_call, 0
	.section	.AMDGPU.csdata,"",@progbits
; Kernel info:
; codeLenInByte = 6220
; TotalNumSgprs: 24
; NumVgprs: 58
; ScratchSize: 0
; MemoryBound: 0
; FloatMode: 240
; IeeeMode: 1
; LDSByteSize: 2048 bytes/workgroup (compile time only)
; SGPRBlocks: 0
; VGPRBlocks: 7
; NumSGPRsForWavesPerEU: 24
; NumVGPRsForWavesPerEU: 58
; Occupancy: 16
; WaveLimiterHint : 0
; COMPUTE_PGM_RSRC2:SCRATCH_EN: 0
; COMPUTE_PGM_RSRC2:USER_SGPR: 6
; COMPUTE_PGM_RSRC2:TRAP_HANDLER: 0
; COMPUTE_PGM_RSRC2:TGID_X_EN: 1
; COMPUTE_PGM_RSRC2:TGID_Y_EN: 1
; COMPUTE_PGM_RSRC2:TGID_Z_EN: 1
; COMPUTE_PGM_RSRC2:TIDIG_COMP_CNT: 1
	.section	.text._ZN12_GLOBAL__N_127rocblas_gemm_batched_kernelIfLi16ELi16ELi32ELi32ELi8ELi32ELi8ELi8ELi32ELc78ELc78EK16rocblas_bfloat16S2_S1_EEvlllT_PT11_llS5_llS3_PT12_llPT13_lli,"axG",@progbits,_ZN12_GLOBAL__N_127rocblas_gemm_batched_kernelIfLi16ELi16ELi32ELi32ELi8ELi32ELi8ELi8ELi32ELc78ELc78EK16rocblas_bfloat16S2_S1_EEvlllT_PT11_llS5_llS3_PT12_llPT13_lli,comdat
	.globl	_ZN12_GLOBAL__N_127rocblas_gemm_batched_kernelIfLi16ELi16ELi32ELi32ELi8ELi32ELi8ELi8ELi32ELc78ELc78EK16rocblas_bfloat16S2_S1_EEvlllT_PT11_llS5_llS3_PT12_llPT13_lli ; -- Begin function _ZN12_GLOBAL__N_127rocblas_gemm_batched_kernelIfLi16ELi16ELi32ELi32ELi8ELi32ELi8ELi8ELi32ELc78ELc78EK16rocblas_bfloat16S2_S1_EEvlllT_PT11_llS5_llS3_PT12_llPT13_lli
	.p2align	8
	.type	_ZN12_GLOBAL__N_127rocblas_gemm_batched_kernelIfLi16ELi16ELi32ELi32ELi8ELi32ELi8ELi8ELi32ELc78ELc78EK16rocblas_bfloat16S2_S1_EEvlllT_PT11_llS5_llS3_PT12_llPT13_lli,@function
_ZN12_GLOBAL__N_127rocblas_gemm_batched_kernelIfLi16ELi16ELi32ELi32ELi8ELi32ELi8ELi8ELi32ELc78ELc78EK16rocblas_bfloat16S2_S1_EEvlllT_PT11_llS5_llS3_PT12_llPT13_lli: ; @_ZN12_GLOBAL__N_127rocblas_gemm_batched_kernelIfLi16ELi16ELi32ELi32ELi8ELi32ELi8ELi8ELi32ELc78ELc78EK16rocblas_bfloat16S2_S1_EEvlllT_PT11_llS5_llS3_PT12_llPT13_lli
; %bb.0:
	s_load_dwordx2 s[20:21], s[4:5], 0x10
	s_mov_b32 s0, s7
	v_mov_b32_e32 v9, 0
	v_mov_b32_e32 v8, 0
	;; [unrolled: 1-line block ×4, first 2 shown]
	s_ashr_i32 s7, s6, 31
	s_ashr_i32 s1, s0, 31
	s_lshl_b64 s[6:7], s[6:7], 5
	s_lshl_b64 s[10:11], s[0:1], 5
	s_waitcnt lgkmcnt(0)
	v_cmp_lt_i64_e64 s2, s[20:21], 1
	s_and_b32 vcc_lo, exec_lo, s2
	s_cbranch_vccnz .LBB427_3
; %bb.1:
	s_clause 0x1
	s_load_dwordx8 s[12:19], s[4:5], 0x20
	s_load_dwordx4 s[0:3], s[4:5], 0x40
	v_lshl_add_u32 v2, v1, 4, v0
	v_and_b32_e32 v14, 7, v0
	v_mov_b32_e32 v6, 0
	v_lshlrev_b32_e32 v10, 2, v0
	v_lshl_add_u32 v11, v1, 5, 0x400
	v_lshrrev_b32_e32 v3, 3, v2
	v_and_b32_e32 v9, 31, v2
	v_lshrrev_b32_e32 v7, 5, v2
	v_lshlrev_b32_e32 v2, 2, v14
	v_add_co_u32 v5, s9, v3, s10
	v_lshlrev_b32_e32 v4, 2, v9
	v_add_co_ci_u32_e64 v8, null, 0, s11, s9
	v_lshl_or_b32 v13, v3, 5, v2
	v_lshl_or_b32 v12, v7, 7, v4
	s_waitcnt lgkmcnt(0)
	v_mad_u64_u32 v[2:3], null, s14, v7, s[6:7]
	v_mul_lo_u32 v15, s1, v5
	v_mul_lo_u32 v8, s0, v8
	v_mad_u64_u32 v[4:5], null, s0, v5, 0
	s_mul_i32 s1, s17, s8
	s_mul_hi_u32 s9, s16, s8
	s_mul_i32 s0, s16, s8
	s_add_i32 s1, s9, s1
	v_add_nc_u32_e32 v13, 0x400, v13
	s_lshl_b64 s[0:1], s[0:1], 1
	v_add3_u32 v5, v5, v8, v15
	v_mad_u64_u32 v[7:8], null, s15, v7, v[3:4]
	s_add_u32 s9, s12, s0
	s_addc_u32 s12, s13, s1
	s_mul_i32 s0, s3, s8
	s_mul_hi_u32 s1, s2, s8
	v_lshlrev_b64 v[3:4], 1, v[4:5]
	v_add_co_u32 v8, vcc_lo, v2, v9
	s_add_i32 s1, s1, s0
	s_mul_i32 s0, s2, s8
	v_add_co_ci_u32_e64 v9, null, 0, v7, vcc_lo
	s_lshl_b64 s[0:1], s[0:1], 1
	v_lshlrev_b32_e32 v5, 1, v14
	v_add_co_u32 v7, vcc_lo, v3, s0
	v_add_co_ci_u32_e64 v4, null, s1, v4, vcc_lo
	v_lshlrev_b64 v[2:3], 1, v[8:9]
	v_add_co_u32 v5, vcc_lo, v7, v5
	v_add_co_ci_u32_e64 v7, null, 0, v4, vcc_lo
	v_mov_b32_e32 v8, 0
	v_add_co_u32 v2, vcc_lo, s9, v2
	v_add_co_ci_u32_e64 v3, null, s12, v3, vcc_lo
	v_add_co_u32 v4, vcc_lo, s18, v5
	v_add_co_ci_u32_e64 v5, null, s19, v7, vcc_lo
	v_mov_b32_e32 v7, 0
	v_mov_b32_e32 v9, 0
	s_lshl_b64 s[0:1], s[14:15], 4
	s_mov_b64 s[2:3], 0
.LBB427_2:                              ; =>This Inner Loop Header: Depth=1
	global_load_ushort v14, v[2:3], off
	global_load_ushort v15, v[4:5], off
	s_add_u32 s2, s2, 8
	s_addc_u32 s3, s3, 0
	v_add_co_u32 v2, vcc_lo, v2, s0
	v_cmp_lt_i64_e64 s9, s[2:3], s[20:21]
	v_add_co_ci_u32_e64 v3, null, s1, v3, vcc_lo
	v_add_co_u32 v4, vcc_lo, v4, 16
	v_add_co_ci_u32_e64 v5, null, 0, v5, vcc_lo
	s_and_b32 vcc_lo, exec_lo, s9
	s_waitcnt vmcnt(1)
	v_lshlrev_b32_e32 v14, 16, v14
	s_waitcnt vmcnt(0)
	v_lshlrev_b32_e32 v15, 16, v15
	ds_write_b32 v12, v14
	ds_write_b32 v13, v15
	s_waitcnt lgkmcnt(0)
	s_barrier
	buffer_gl0_inv
	ds_read_b128 v[14:17], v11
	ds_read2_b32 v[30:31], v10 offset1:16
	ds_read_b128 v[18:21], v11 offset:512
	ds_read2_b32 v[32:33], v10 offset0:32 offset1:48
	ds_read2_b32 v[34:35], v10 offset0:64 offset1:80
	ds_read_b128 v[22:25], v11 offset:16
	ds_read2_b32 v[36:37], v10 offset0:96 offset1:112
	ds_read2_b32 v[38:39], v10 offset0:128 offset1:144
	;; [unrolled: 3-line block ×3, first 2 shown]
	ds_read2_b32 v[44:45], v10 offset0:224 offset1:240
	s_waitcnt lgkmcnt(0)
	s_barrier
	buffer_gl0_inv
	v_fmac_f32_e32 v9, v30, v14
	v_fmac_f32_e32 v8, v31, v14
	;; [unrolled: 1-line block ×32, first 2 shown]
	s_cbranch_vccnz .LBB427_2
.LBB427_3:
	s_clause 0x3
	s_load_dwordx4 s[0:3], s[4:5], 0x78
	s_load_dword s9, s[4:5], 0x50
	s_load_dwordx8 s[12:19], s[4:5], 0x58
	s_load_dword s4, s[4:5], 0x18
	v_add_co_u32 v10, s5, s10, v1
	v_add_co_ci_u32_e64 v11, null, s11, 0, s5
	v_add_co_u32 v0, s6, s6, v0
	v_add_co_ci_u32_e64 v1, null, s7, 0, s6
	s_waitcnt lgkmcnt(0)
	s_mul_i32 s3, s3, s8
	s_mul_hi_u32 s5, s2, s8
	s_mul_i32 s2, s2, s8
	s_add_i32 s3, s5, s3
	v_cmp_neq_f32_e64 s5, s9, 0
	s_lshl_b64 s[2:3], s[2:3], 1
	s_add_u32 s2, s18, s2
	s_addc_u32 s3, s19, s3
	s_and_b32 vcc_lo, exec_lo, s5
	s_cbranch_vccnz .LBB427_52
; %bb.4:
	v_mul_f32_e32 v2, s4, v9
	s_mov_b32 s5, exec_lo
                                        ; implicit-def: $vgpr14
	v_and_b32_e32 v3, 0x7f800000, v2
	v_cmpx_ne_u32_e32 0x7f800000, v3
	s_xor_b32 s5, exec_lo, s5
; %bb.5:
	v_bfe_u32 v3, v2, 16, 1
	v_add3_u32 v14, v2, v3, 0x7fff
                                        ; implicit-def: $vgpr2
; %bb.6:
	s_andn2_saveexec_b32 s5, s5
; %bb.7:
	v_mov_b32_e32 v3, 0
	v_or_b32_e32 v4, 0x10000, v2
	v_cmp_eq_u32_sdwa vcc_lo, v2, v3 src0_sel:WORD_0 src1_sel:DWORD
	v_cndmask_b32_e32 v14, v4, v2, vcc_lo
; %bb.8:
	s_or_b32 exec_lo, exec_lo, s5
	v_mul_lo_u32 v4, v11, s0
	v_mul_lo_u32 v5, v10, s1
	v_mad_u64_u32 v[2:3], null, v10, s0, 0
	v_mul_f32_e32 v15, s4, v8
	v_and_b32_e32 v16, 0x7f800000, v15
	v_add3_u32 v3, v3, v5, v4
	v_lshlrev_b64 v[4:5], 1, v[2:3]
	v_lshlrev_b64 v[2:3], 1, v[0:1]
	v_add_co_u32 v12, vcc_lo, s2, v4
	v_add_co_ci_u32_e64 v13, null, s3, v5, vcc_lo
	v_add_co_u32 v4, vcc_lo, v12, v2
	v_add_co_ci_u32_e64 v5, null, v13, v3, vcc_lo
	v_cmp_ne_u32_e32 vcc_lo, 0x7f800000, v16
                                        ; implicit-def: $vgpr16
	global_store_short_d16_hi v[4:5], v14, off
	s_and_saveexec_b32 s5, vcc_lo
	s_xor_b32 s5, exec_lo, s5
; %bb.9:
	v_bfe_u32 v14, v15, 16, 1
	v_add3_u32 v16, v15, v14, 0x7fff
                                        ; implicit-def: $vgpr15
; %bb.10:
	s_andn2_saveexec_b32 s5, s5
; %bb.11:
	v_mov_b32_e32 v14, 0
	v_or_b32_e32 v16, 0x10000, v15
	v_cmp_eq_u32_sdwa vcc_lo, v15, v14 src0_sel:WORD_0 src1_sel:DWORD
	v_cndmask_b32_e32 v16, v16, v15, vcc_lo
; %bb.12:
	s_or_b32 exec_lo, exec_lo, s5
	v_mul_f32_e32 v14, s4, v7
	s_mov_b32 s5, exec_lo
	global_store_short_d16_hi v[4:5], v16, off offset:32
                                        ; implicit-def: $vgpr4
	v_and_b32_e32 v15, 0x7f800000, v14
	v_cmpx_ne_u32_e32 0x7f800000, v15
	s_xor_b32 s5, exec_lo, s5
; %bb.13:
	v_bfe_u32 v4, v14, 16, 1
	v_add3_u32 v4, v14, v4, 0x7fff
                                        ; implicit-def: $vgpr14
; %bb.14:
	s_andn2_saveexec_b32 s5, s5
; %bb.15:
	v_mov_b32_e32 v4, 0
	v_or_b32_e32 v5, 0x10000, v14
	v_cmp_eq_u32_sdwa vcc_lo, v14, v4 src0_sel:WORD_0 src1_sel:DWORD
	v_cndmask_b32_e32 v4, v5, v14, vcc_lo
; %bb.16:
	s_or_b32 exec_lo, exec_lo, s5
	s_lshl_b64 s[6:7], s[0:1], 5
	v_mul_f32_e32 v5, s4, v6
	v_add_co_u32 v12, vcc_lo, v12, s6
	v_add_co_ci_u32_e64 v13, null, s7, v13, vcc_lo
	v_and_b32_e32 v14, 0x7f800000, v5
	v_add_co_u32 v2, vcc_lo, v12, v2
	v_add_co_ci_u32_e64 v3, null, v13, v3, vcc_lo
	s_mov_b32 s5, exec_lo
	global_store_short_d16_hi v[2:3], v4, off
                                        ; implicit-def: $vgpr4
	v_cmpx_ne_u32_e32 0x7f800000, v14
	s_xor_b32 s5, exec_lo, s5
; %bb.17:
	v_bfe_u32 v4, v5, 16, 1
	v_add3_u32 v4, v5, v4, 0x7fff
                                        ; implicit-def: $vgpr5
; %bb.18:
	s_andn2_saveexec_b32 s5, s5
; %bb.19:
	v_mov_b32_e32 v4, 0
	v_or_b32_e32 v12, 0x10000, v5
	v_cmp_eq_u32_sdwa vcc_lo, v5, v4 src0_sel:WORD_0 src1_sel:DWORD
	v_cndmask_b32_e32 v4, v12, v5, vcc_lo
; %bb.20:
	s_or_b32 exec_lo, exec_lo, s5
	global_store_short_d16_hi v[2:3], v4, off offset:32
	s_branch .LBB427_53
.LBB427_21:
	v_mul_lo_u32 v4, v11, s14
	v_mul_lo_u32 v5, v10, s15
	v_mad_u64_u32 v[2:3], null, v10, s14, 0
	s_mul_i32 s5, s17, s8
	s_mul_hi_u32 s7, s16, s8
	s_mul_i32 s6, s16, s8
	s_add_i32 s7, s7, s5
	v_lshlrev_b64 v[0:1], 1, v[0:1]
	s_lshl_b64 s[6:7], s[6:7], 1
	v_add3_u32 v3, v3, v5, v4
	s_add_u32 s5, s12, s6
	s_addc_u32 s6, s13, s7
	v_lshlrev_b64 v[2:3], 1, v[2:3]
	v_add_co_u32 v12, vcc_lo, s5, v2
	v_add_co_ci_u32_e64 v13, null, s6, v3, vcc_lo
	v_add_co_u32 v2, vcc_lo, v12, v0
	v_add_co_ci_u32_e64 v3, null, v13, v1, vcc_lo
	global_load_ushort v4, v[2:3], off
	s_waitcnt vmcnt(0)
	v_lshlrev_b32_e32 v4, 16, v4
	v_mul_f32_e32 v4, s9, v4
	v_and_b32_e32 v5, 0x7f800000, v4
	v_cmp_ne_u32_e32 vcc_lo, 0x7f800000, v5
                                        ; implicit-def: $vgpr5
	s_and_saveexec_b32 s5, vcc_lo
	s_xor_b32 s5, exec_lo, s5
; %bb.22:
	v_bfe_u32 v5, v4, 16, 1
	v_add3_u32 v5, v4, v5, 0x7fff
                                        ; implicit-def: $vgpr4
; %bb.23:
	s_andn2_saveexec_b32 s5, s5
; %bb.24:
	v_mov_b32_e32 v5, 0
	v_or_b32_e32 v14, 0x10000, v4
	v_cmp_eq_u32_sdwa vcc_lo, v4, v5 src0_sel:WORD_0 src1_sel:DWORD
	v_cndmask_b32_e32 v5, v14, v4, vcc_lo
; %bb.25:
	s_or_b32 exec_lo, exec_lo, s5
	v_and_b32_e32 v4, 0xffff0000, v5
	s_mov_b32 s5, exec_lo
                                        ; implicit-def: $vgpr14
	v_fmac_f32_e32 v4, s4, v9
	v_and_b32_e32 v5, 0x7f800000, v4
	v_cmpx_ne_u32_e32 0x7f800000, v5
	s_xor_b32 s5, exec_lo, s5
; %bb.26:
	v_bfe_u32 v5, v4, 16, 1
	v_add3_u32 v14, v4, v5, 0x7fff
                                        ; implicit-def: $vgpr4
; %bb.27:
	s_andn2_saveexec_b32 s5, s5
; %bb.28:
	v_mov_b32_e32 v5, 0
	v_or_b32_e32 v9, 0x10000, v4
	v_cmp_eq_u32_sdwa vcc_lo, v4, v5 src0_sel:WORD_0 src1_sel:DWORD
	v_cndmask_b32_e32 v14, v9, v4, vcc_lo
; %bb.29:
	s_or_b32 exec_lo, exec_lo, s5
	v_mul_lo_u32 v9, v11, s0
	v_mul_lo_u32 v11, v10, s1
	v_mad_u64_u32 v[4:5], null, v10, s0, 0
	v_add3_u32 v5, v5, v11, v9
	v_lshlrev_b64 v[4:5], 1, v[4:5]
	v_add_co_u32 v9, vcc_lo, s2, v4
	v_add_co_ci_u32_e64 v10, null, s3, v5, vcc_lo
	v_add_co_u32 v4, vcc_lo, v9, v0
	v_add_co_ci_u32_e64 v5, null, v10, v1, vcc_lo
	global_store_short_d16_hi v[4:5], v14, off
	global_load_ushort v2, v[2:3], off offset:32
	s_waitcnt vmcnt(0)
	v_lshlrev_b32_e32 v2, 16, v2
	v_mul_f32_e32 v2, s9, v2
	v_and_b32_e32 v3, 0x7f800000, v2
	v_cmp_ne_u32_e32 vcc_lo, 0x7f800000, v3
                                        ; implicit-def: $vgpr3
	s_and_saveexec_b32 s2, vcc_lo
	s_xor_b32 s2, exec_lo, s2
; %bb.30:
	v_bfe_u32 v3, v2, 16, 1
	v_add3_u32 v3, v2, v3, 0x7fff
                                        ; implicit-def: $vgpr2
; %bb.31:
	s_andn2_saveexec_b32 s2, s2
; %bb.32:
	v_mov_b32_e32 v3, 0
	v_or_b32_e32 v11, 0x10000, v2
	v_cmp_eq_u32_sdwa vcc_lo, v2, v3 src0_sel:WORD_0 src1_sel:DWORD
	v_cndmask_b32_e32 v3, v11, v2, vcc_lo
; %bb.33:
	s_or_b32 exec_lo, exec_lo, s2
	v_and_b32_e32 v2, 0xffff0000, v3
	s_mov_b32 s2, exec_lo
	v_fmac_f32_e32 v2, s4, v8
                                        ; implicit-def: $vgpr8
	v_and_b32_e32 v3, 0x7f800000, v2
	v_cmpx_ne_u32_e32 0x7f800000, v3
	s_xor_b32 s2, exec_lo, s2
; %bb.34:
	v_bfe_u32 v3, v2, 16, 1
	v_add3_u32 v8, v2, v3, 0x7fff
                                        ; implicit-def: $vgpr2
; %bb.35:
	s_andn2_saveexec_b32 s2, s2
; %bb.36:
	v_mov_b32_e32 v3, 0
	v_or_b32_e32 v8, 0x10000, v2
	v_cmp_eq_u32_sdwa vcc_lo, v2, v3 src0_sel:WORD_0 src1_sel:DWORD
	v_cndmask_b32_e32 v8, v8, v2, vcc_lo
; %bb.37:
	s_or_b32 exec_lo, exec_lo, s2
	s_lshl_b64 s[2:3], s[14:15], 5
	global_store_short_d16_hi v[4:5], v8, off offset:32
	v_add_co_u32 v2, vcc_lo, v12, s2
	v_add_co_ci_u32_e64 v3, null, s3, v13, vcc_lo
	v_add_co_u32 v2, vcc_lo, v2, v0
	v_add_co_ci_u32_e64 v3, null, v3, v1, vcc_lo
	global_load_ushort v4, v[2:3], off
	s_waitcnt vmcnt(0)
	v_lshlrev_b32_e32 v4, 16, v4
	v_mul_f32_e32 v4, s9, v4
	v_and_b32_e32 v5, 0x7f800000, v4
	v_cmp_ne_u32_e32 vcc_lo, 0x7f800000, v5
                                        ; implicit-def: $vgpr5
	s_and_saveexec_b32 s2, vcc_lo
	s_xor_b32 s2, exec_lo, s2
; %bb.38:
	v_bfe_u32 v5, v4, 16, 1
	v_add3_u32 v5, v4, v5, 0x7fff
                                        ; implicit-def: $vgpr4
; %bb.39:
	s_andn2_saveexec_b32 s2, s2
; %bb.40:
	v_mov_b32_e32 v5, 0
	v_or_b32_e32 v8, 0x10000, v4
	v_cmp_eq_u32_sdwa vcc_lo, v4, v5 src0_sel:WORD_0 src1_sel:DWORD
	v_cndmask_b32_e32 v5, v8, v4, vcc_lo
; %bb.41:
	s_or_b32 exec_lo, exec_lo, s2
	v_and_b32_e32 v5, 0xffff0000, v5
	v_fmac_f32_e32 v5, s4, v7
	v_and_b32_e32 v4, 0x7f800000, v5
	v_cmp_ne_u32_e32 vcc_lo, 0x7f800000, v4
                                        ; implicit-def: $vgpr4
	s_and_saveexec_b32 s2, vcc_lo
	s_xor_b32 s2, exec_lo, s2
; %bb.42:
	v_bfe_u32 v4, v5, 16, 1
	v_add3_u32 v4, v5, v4, 0x7fff
                                        ; implicit-def: $vgpr5
; %bb.43:
	s_andn2_saveexec_b32 s2, s2
; %bb.44:
	v_mov_b32_e32 v4, 0
	v_or_b32_e32 v7, 0x10000, v5
	v_cmp_eq_u32_sdwa vcc_lo, v5, v4 src0_sel:WORD_0 src1_sel:DWORD
	v_cndmask_b32_e32 v4, v7, v5, vcc_lo
; %bb.45:
	s_or_b32 exec_lo, exec_lo, s2
	s_lshl_b64 s[0:1], s[0:1], 5
	v_add_co_u32 v5, vcc_lo, v9, s0
	v_add_co_ci_u32_e64 v7, null, s1, v10, vcc_lo
	v_add_co_u32 v0, vcc_lo, v5, v0
	v_add_co_ci_u32_e64 v1, null, v7, v1, vcc_lo
	global_store_short_d16_hi v[0:1], v4, off
	global_load_ushort v2, v[2:3], off offset:32
	s_waitcnt vmcnt(0)
	v_lshlrev_b32_e32 v2, 16, v2
	v_mul_f32_e32 v2, s9, v2
	v_and_b32_e32 v3, 0x7f800000, v2
	v_cmp_ne_u32_e32 vcc_lo, 0x7f800000, v3
                                        ; implicit-def: $vgpr3
	s_and_saveexec_b32 s0, vcc_lo
	s_xor_b32 s0, exec_lo, s0
; %bb.46:
	v_bfe_u32 v3, v2, 16, 1
	v_add3_u32 v3, v2, v3, 0x7fff
                                        ; implicit-def: $vgpr2
; %bb.47:
	s_andn2_saveexec_b32 s0, s0
; %bb.48:
	v_mov_b32_e32 v3, 0
	v_or_b32_e32 v4, 0x10000, v2
	v_cmp_eq_u32_sdwa vcc_lo, v2, v3 src0_sel:WORD_0 src1_sel:DWORD
	v_cndmask_b32_e32 v3, v4, v2, vcc_lo
; %bb.49:
	s_or_b32 exec_lo, exec_lo, s0
	v_and_b32_e32 v2, 0xffff0000, v3
	v_fmac_f32_e32 v2, s4, v6
	v_and_b32_e32 v3, 0x7f800000, v2
	v_cmp_ne_u32_e32 vcc_lo, 0x7f800000, v3
                                        ; implicit-def: $vgpr3
	s_and_saveexec_b32 s0, vcc_lo
	s_xor_b32 s0, exec_lo, s0
	s_cbranch_execnz .LBB427_54
; %bb.50:
	s_andn2_saveexec_b32 s0, s0
	s_cbranch_execnz .LBB427_55
.LBB427_51:
	s_or_b32 exec_lo, exec_lo, s0
	global_store_short_d16_hi v[0:1], v3, off offset:32
	s_endpgm
.LBB427_52:
	s_cbranch_execnz .LBB427_21
.LBB427_53:
	s_endpgm
.LBB427_54:
	v_bfe_u32 v3, v2, 16, 1
	v_add3_u32 v3, v2, v3, 0x7fff
                                        ; implicit-def: $vgpr2
	s_andn2_saveexec_b32 s0, s0
	s_cbranch_execz .LBB427_51
.LBB427_55:
	v_mov_b32_e32 v3, 0
	v_or_b32_e32 v4, 0x10000, v2
	v_cmp_eq_u32_sdwa vcc_lo, v2, v3 src0_sel:WORD_0 src1_sel:DWORD
	v_cndmask_b32_e32 v3, v4, v2, vcc_lo
	s_or_b32 exec_lo, exec_lo, s0
	global_store_short_d16_hi v[0:1], v3, off offset:32
	s_endpgm
	.section	.rodata,"a",@progbits
	.p2align	6, 0x0
	.amdhsa_kernel _ZN12_GLOBAL__N_127rocblas_gemm_batched_kernelIfLi16ELi16ELi32ELi32ELi8ELi32ELi8ELi8ELi32ELc78ELc78EK16rocblas_bfloat16S2_S1_EEvlllT_PT11_llS5_llS3_PT12_llPT13_lli
		.amdhsa_group_segment_fixed_size 2048
		.amdhsa_private_segment_fixed_size 0
		.amdhsa_kernarg_size 140
		.amdhsa_user_sgpr_count 6
		.amdhsa_user_sgpr_private_segment_buffer 1
		.amdhsa_user_sgpr_dispatch_ptr 0
		.amdhsa_user_sgpr_queue_ptr 0
		.amdhsa_user_sgpr_kernarg_segment_ptr 1
		.amdhsa_user_sgpr_dispatch_id 0
		.amdhsa_user_sgpr_flat_scratch_init 0
		.amdhsa_user_sgpr_private_segment_size 0
		.amdhsa_wavefront_size32 1
		.amdhsa_uses_dynamic_stack 0
		.amdhsa_system_sgpr_private_segment_wavefront_offset 0
		.amdhsa_system_sgpr_workgroup_id_x 1
		.amdhsa_system_sgpr_workgroup_id_y 1
		.amdhsa_system_sgpr_workgroup_id_z 1
		.amdhsa_system_sgpr_workgroup_info 0
		.amdhsa_system_vgpr_workitem_id 1
		.amdhsa_next_free_vgpr 46
		.amdhsa_next_free_sgpr 22
		.amdhsa_reserve_vcc 1
		.amdhsa_reserve_flat_scratch 0
		.amdhsa_float_round_mode_32 0
		.amdhsa_float_round_mode_16_64 0
		.amdhsa_float_denorm_mode_32 3
		.amdhsa_float_denorm_mode_16_64 3
		.amdhsa_dx10_clamp 1
		.amdhsa_ieee_mode 1
		.amdhsa_fp16_overflow 0
		.amdhsa_workgroup_processor_mode 1
		.amdhsa_memory_ordered 1
		.amdhsa_forward_progress 1
		.amdhsa_shared_vgpr_count 0
		.amdhsa_exception_fp_ieee_invalid_op 0
		.amdhsa_exception_fp_denorm_src 0
		.amdhsa_exception_fp_ieee_div_zero 0
		.amdhsa_exception_fp_ieee_overflow 0
		.amdhsa_exception_fp_ieee_underflow 0
		.amdhsa_exception_fp_ieee_inexact 0
		.amdhsa_exception_int_div_zero 0
	.end_amdhsa_kernel
	.section	.text._ZN12_GLOBAL__N_127rocblas_gemm_batched_kernelIfLi16ELi16ELi32ELi32ELi8ELi32ELi8ELi8ELi32ELc78ELc78EK16rocblas_bfloat16S2_S1_EEvlllT_PT11_llS5_llS3_PT12_llPT13_lli,"axG",@progbits,_ZN12_GLOBAL__N_127rocblas_gemm_batched_kernelIfLi16ELi16ELi32ELi32ELi8ELi32ELi8ELi8ELi32ELc78ELc78EK16rocblas_bfloat16S2_S1_EEvlllT_PT11_llS5_llS3_PT12_llPT13_lli,comdat
.Lfunc_end427:
	.size	_ZN12_GLOBAL__N_127rocblas_gemm_batched_kernelIfLi16ELi16ELi32ELi32ELi8ELi32ELi8ELi8ELi32ELc78ELc78EK16rocblas_bfloat16S2_S1_EEvlllT_PT11_llS5_llS3_PT12_llPT13_lli, .Lfunc_end427-_ZN12_GLOBAL__N_127rocblas_gemm_batched_kernelIfLi16ELi16ELi32ELi32ELi8ELi32ELi8ELi8ELi32ELc78ELc78EK16rocblas_bfloat16S2_S1_EEvlllT_PT11_llS5_llS3_PT12_llPT13_lli
                                        ; -- End function
	.set _ZN12_GLOBAL__N_127rocblas_gemm_batched_kernelIfLi16ELi16ELi32ELi32ELi8ELi32ELi8ELi8ELi32ELc78ELc78EK16rocblas_bfloat16S2_S1_EEvlllT_PT11_llS5_llS3_PT12_llPT13_lli.num_vgpr, 46
	.set _ZN12_GLOBAL__N_127rocblas_gemm_batched_kernelIfLi16ELi16ELi32ELi32ELi8ELi32ELi8ELi8ELi32ELc78ELc78EK16rocblas_bfloat16S2_S1_EEvlllT_PT11_llS5_llS3_PT12_llPT13_lli.num_agpr, 0
	.set _ZN12_GLOBAL__N_127rocblas_gemm_batched_kernelIfLi16ELi16ELi32ELi32ELi8ELi32ELi8ELi8ELi32ELc78ELc78EK16rocblas_bfloat16S2_S1_EEvlllT_PT11_llS5_llS3_PT12_llPT13_lli.numbered_sgpr, 22
	.set _ZN12_GLOBAL__N_127rocblas_gemm_batched_kernelIfLi16ELi16ELi32ELi32ELi8ELi32ELi8ELi8ELi32ELc78ELc78EK16rocblas_bfloat16S2_S1_EEvlllT_PT11_llS5_llS3_PT12_llPT13_lli.num_named_barrier, 0
	.set _ZN12_GLOBAL__N_127rocblas_gemm_batched_kernelIfLi16ELi16ELi32ELi32ELi8ELi32ELi8ELi8ELi32ELc78ELc78EK16rocblas_bfloat16S2_S1_EEvlllT_PT11_llS5_llS3_PT12_llPT13_lli.private_seg_size, 0
	.set _ZN12_GLOBAL__N_127rocblas_gemm_batched_kernelIfLi16ELi16ELi32ELi32ELi8ELi32ELi8ELi8ELi32ELc78ELc78EK16rocblas_bfloat16S2_S1_EEvlllT_PT11_llS5_llS3_PT12_llPT13_lli.uses_vcc, 1
	.set _ZN12_GLOBAL__N_127rocblas_gemm_batched_kernelIfLi16ELi16ELi32ELi32ELi8ELi32ELi8ELi8ELi32ELc78ELc78EK16rocblas_bfloat16S2_S1_EEvlllT_PT11_llS5_llS3_PT12_llPT13_lli.uses_flat_scratch, 0
	.set _ZN12_GLOBAL__N_127rocblas_gemm_batched_kernelIfLi16ELi16ELi32ELi32ELi8ELi32ELi8ELi8ELi32ELc78ELc78EK16rocblas_bfloat16S2_S1_EEvlllT_PT11_llS5_llS3_PT12_llPT13_lli.has_dyn_sized_stack, 0
	.set _ZN12_GLOBAL__N_127rocblas_gemm_batched_kernelIfLi16ELi16ELi32ELi32ELi8ELi32ELi8ELi8ELi32ELc78ELc78EK16rocblas_bfloat16S2_S1_EEvlllT_PT11_llS5_llS3_PT12_llPT13_lli.has_recursion, 0
	.set _ZN12_GLOBAL__N_127rocblas_gemm_batched_kernelIfLi16ELi16ELi32ELi32ELi8ELi32ELi8ELi8ELi32ELc78ELc78EK16rocblas_bfloat16S2_S1_EEvlllT_PT11_llS5_llS3_PT12_llPT13_lli.has_indirect_call, 0
	.section	.AMDGPU.csdata,"",@progbits
; Kernel info:
; codeLenInByte = 2408
; TotalNumSgprs: 24
; NumVgprs: 46
; ScratchSize: 0
; MemoryBound: 0
; FloatMode: 240
; IeeeMode: 1
; LDSByteSize: 2048 bytes/workgroup (compile time only)
; SGPRBlocks: 0
; VGPRBlocks: 5
; NumSGPRsForWavesPerEU: 24
; NumVGPRsForWavesPerEU: 46
; Occupancy: 16
; WaveLimiterHint : 0
; COMPUTE_PGM_RSRC2:SCRATCH_EN: 0
; COMPUTE_PGM_RSRC2:USER_SGPR: 6
; COMPUTE_PGM_RSRC2:TRAP_HANDLER: 0
; COMPUTE_PGM_RSRC2:TGID_X_EN: 1
; COMPUTE_PGM_RSRC2:TGID_Y_EN: 1
; COMPUTE_PGM_RSRC2:TGID_Z_EN: 1
; COMPUTE_PGM_RSRC2:TIDIG_COMP_CNT: 1
	.section	.text._ZN12_GLOBAL__N_127rocblas_gemm_batched_kernelIfLi16ELi16ELi32ELi32ELi8ELi32ELi8ELi8ELi32ELc84ELc78EK16rocblas_bfloat16S2_S1_EEvlllT_PT11_llS5_llS3_PT12_llPT13_lli,"axG",@progbits,_ZN12_GLOBAL__N_127rocblas_gemm_batched_kernelIfLi16ELi16ELi32ELi32ELi8ELi32ELi8ELi8ELi32ELc84ELc78EK16rocblas_bfloat16S2_S1_EEvlllT_PT11_llS5_llS3_PT12_llPT13_lli,comdat
	.globl	_ZN12_GLOBAL__N_127rocblas_gemm_batched_kernelIfLi16ELi16ELi32ELi32ELi8ELi32ELi8ELi8ELi32ELc84ELc78EK16rocblas_bfloat16S2_S1_EEvlllT_PT11_llS5_llS3_PT12_llPT13_lli ; -- Begin function _ZN12_GLOBAL__N_127rocblas_gemm_batched_kernelIfLi16ELi16ELi32ELi32ELi8ELi32ELi8ELi8ELi32ELc84ELc78EK16rocblas_bfloat16S2_S1_EEvlllT_PT11_llS5_llS3_PT12_llPT13_lli
	.p2align	8
	.type	_ZN12_GLOBAL__N_127rocblas_gemm_batched_kernelIfLi16ELi16ELi32ELi32ELi8ELi32ELi8ELi8ELi32ELc84ELc78EK16rocblas_bfloat16S2_S1_EEvlllT_PT11_llS5_llS3_PT12_llPT13_lli,@function
_ZN12_GLOBAL__N_127rocblas_gemm_batched_kernelIfLi16ELi16ELi32ELi32ELi8ELi32ELi8ELi8ELi32ELc84ELc78EK16rocblas_bfloat16S2_S1_EEvlllT_PT11_llS5_llS3_PT12_llPT13_lli: ; @_ZN12_GLOBAL__N_127rocblas_gemm_batched_kernelIfLi16ELi16ELi32ELi32ELi8ELi32ELi8ELi8ELi32ELc84ELc78EK16rocblas_bfloat16S2_S1_EEvlllT_PT11_llS5_llS3_PT12_llPT13_lli
; %bb.0:
	s_load_dwordx2 s[20:21], s[4:5], 0x10
	s_mov_b32 s0, s7
	v_mov_b32_e32 v9, 0
	v_mov_b32_e32 v8, 0
	;; [unrolled: 1-line block ×4, first 2 shown]
	s_ashr_i32 s7, s6, 31
	s_ashr_i32 s1, s0, 31
	s_lshl_b64 s[6:7], s[6:7], 5
	s_lshl_b64 s[10:11], s[0:1], 5
	s_waitcnt lgkmcnt(0)
	v_cmp_lt_i64_e64 s2, s[20:21], 1
	s_and_b32 vcc_lo, exec_lo, s2
	s_cbranch_vccnz .LBB428_3
; %bb.1:
	s_load_dwordx8 s[12:19], s[4:5], 0x20
	v_lshl_add_u32 v2, v1, 4, v0
	s_load_dwordx4 s[0:3], s[4:5], 0x40
	v_and_b32_e32 v7, 7, v0
	v_mov_b32_e32 v6, 0
	v_lshlrev_b32_e32 v10, 2, v0
	v_and_b32_e32 v3, 31, v2
	v_lshrrev_b32_e32 v4, 3, v2
	v_lshlrev_b32_e32 v5, 2, v7
	v_lshrrev_b32_e32 v14, 5, v2
	v_add_co_u32 v8, s9, s6, v3
	v_add_co_ci_u32_e64 v9, null, s7, 0, s9
	v_lshlrev_b32_e32 v11, 2, v3
	v_lshl_or_b32 v5, v4, 5, v5
	v_add_co_u32 v4, s9, v4, s10
	v_lshl_or_b32 v11, v14, 7, v11
	s_waitcnt lgkmcnt(0)
	v_mul_lo_u32 v13, s15, v8
	v_mul_lo_u32 v9, s14, v9
	v_mad_u64_u32 v[2:3], null, s14, v8, 0
	v_add_co_ci_u32_e64 v8, null, 0, s11, s9
	v_add_nc_u32_e32 v12, 0x400, v5
	v_mul_lo_u32 v15, s1, v4
	v_mad_u64_u32 v[4:5], null, s0, v4, 0
	v_mul_lo_u32 v8, s0, v8
	v_add3_u32 v3, v3, v9, v13
	s_mul_i32 s0, s17, s8
	s_mul_hi_u32 s1, s16, s8
	v_lshl_add_u32 v13, v1, 5, 0x400
	s_add_i32 s1, s1, s0
	v_lshlrev_b64 v[2:3], 1, v[2:3]
	s_mul_i32 s0, s16, s8
	v_add3_u32 v5, v5, v8, v15
	s_lshl_b64 s[0:1], s[0:1], 1
	v_add_co_u32 v8, vcc_lo, v2, s0
	v_add_co_ci_u32_e64 v9, null, s1, v3, vcc_lo
	s_mul_i32 s0, s3, s8
	s_mul_hi_u32 s1, s2, s8
	v_lshlrev_b64 v[2:3], 1, v[4:5]
	s_add_i32 s1, s1, s0
	s_mul_i32 s0, s2, s8
	v_lshlrev_b32_e32 v4, 1, v14
	s_lshl_b64 s[0:1], s[0:1], 1
	v_lshlrev_b32_e32 v5, 1, v7
	v_add_co_u32 v2, vcc_lo, v2, s0
	v_add_co_ci_u32_e64 v3, null, s1, v3, vcc_lo
	v_add_co_u32 v4, vcc_lo, v8, v4
	v_add_co_ci_u32_e64 v7, null, 0, v9, vcc_lo
	;; [unrolled: 2-line block ×5, first 2 shown]
	v_mov_b32_e32 v7, 0
	v_mov_b32_e32 v8, 0
	;; [unrolled: 1-line block ×3, first 2 shown]
	s_mov_b64 s[0:1], 0
.LBB428_2:                              ; =>This Inner Loop Header: Depth=1
	global_load_ushort v14, v[2:3], off
	global_load_ushort v15, v[4:5], off
	s_add_u32 s0, s0, 8
	s_addc_u32 s1, s1, 0
	v_add_co_u32 v2, vcc_lo, v2, 16
	v_cmp_lt_i64_e64 s2, s[0:1], s[20:21]
	v_add_co_ci_u32_e64 v3, null, 0, v3, vcc_lo
	v_add_co_u32 v4, vcc_lo, v4, 16
	v_add_co_ci_u32_e64 v5, null, 0, v5, vcc_lo
	s_and_b32 vcc_lo, exec_lo, s2
	s_waitcnt vmcnt(1)
	v_lshlrev_b32_e32 v14, 16, v14
	s_waitcnt vmcnt(0)
	v_lshlrev_b32_e32 v15, 16, v15
	ds_write_b32 v11, v14
	ds_write_b32 v12, v15
	s_waitcnt lgkmcnt(0)
	s_barrier
	buffer_gl0_inv
	ds_read_b128 v[14:17], v13
	ds_read2_b32 v[30:31], v10 offset1:16
	ds_read_b128 v[18:21], v13 offset:512
	ds_read2_b32 v[32:33], v10 offset0:32 offset1:48
	ds_read2_b32 v[34:35], v10 offset0:64 offset1:80
	ds_read_b128 v[22:25], v13 offset:16
	ds_read2_b32 v[36:37], v10 offset0:96 offset1:112
	ds_read2_b32 v[38:39], v10 offset0:128 offset1:144
	;; [unrolled: 3-line block ×3, first 2 shown]
	ds_read2_b32 v[44:45], v10 offset0:224 offset1:240
	s_waitcnt lgkmcnt(0)
	s_barrier
	buffer_gl0_inv
	v_fmac_f32_e32 v9, v30, v14
	v_fmac_f32_e32 v8, v31, v14
	;; [unrolled: 1-line block ×32, first 2 shown]
	s_cbranch_vccnz .LBB428_2
.LBB428_3:
	s_clause 0x3
	s_load_dwordx4 s[0:3], s[4:5], 0x78
	s_load_dword s9, s[4:5], 0x50
	s_load_dwordx8 s[12:19], s[4:5], 0x58
	s_load_dword s4, s[4:5], 0x18
	v_add_co_u32 v10, s5, s10, v1
	v_add_co_ci_u32_e64 v11, null, s11, 0, s5
	v_add_co_u32 v0, s6, s6, v0
	v_add_co_ci_u32_e64 v1, null, s7, 0, s6
	s_waitcnt lgkmcnt(0)
	s_mul_i32 s3, s3, s8
	s_mul_hi_u32 s5, s2, s8
	s_mul_i32 s2, s2, s8
	s_add_i32 s3, s5, s3
	v_cmp_neq_f32_e64 s5, s9, 0
	s_lshl_b64 s[2:3], s[2:3], 1
	s_add_u32 s2, s18, s2
	s_addc_u32 s3, s19, s3
	s_and_b32 vcc_lo, exec_lo, s5
	s_cbranch_vccnz .LBB428_52
; %bb.4:
	v_mul_f32_e32 v2, s4, v9
	s_mov_b32 s5, exec_lo
                                        ; implicit-def: $vgpr14
	v_and_b32_e32 v3, 0x7f800000, v2
	v_cmpx_ne_u32_e32 0x7f800000, v3
	s_xor_b32 s5, exec_lo, s5
; %bb.5:
	v_bfe_u32 v3, v2, 16, 1
	v_add3_u32 v14, v2, v3, 0x7fff
                                        ; implicit-def: $vgpr2
; %bb.6:
	s_andn2_saveexec_b32 s5, s5
; %bb.7:
	v_mov_b32_e32 v3, 0
	v_or_b32_e32 v4, 0x10000, v2
	v_cmp_eq_u32_sdwa vcc_lo, v2, v3 src0_sel:WORD_0 src1_sel:DWORD
	v_cndmask_b32_e32 v14, v4, v2, vcc_lo
; %bb.8:
	s_or_b32 exec_lo, exec_lo, s5
	v_mul_lo_u32 v4, v11, s0
	v_mul_lo_u32 v5, v10, s1
	v_mad_u64_u32 v[2:3], null, v10, s0, 0
	v_mul_f32_e32 v15, s4, v8
	v_and_b32_e32 v16, 0x7f800000, v15
	v_add3_u32 v3, v3, v5, v4
	v_lshlrev_b64 v[4:5], 1, v[2:3]
	v_lshlrev_b64 v[2:3], 1, v[0:1]
	v_add_co_u32 v12, vcc_lo, s2, v4
	v_add_co_ci_u32_e64 v13, null, s3, v5, vcc_lo
	v_add_co_u32 v4, vcc_lo, v12, v2
	v_add_co_ci_u32_e64 v5, null, v13, v3, vcc_lo
	v_cmp_ne_u32_e32 vcc_lo, 0x7f800000, v16
                                        ; implicit-def: $vgpr16
	global_store_short_d16_hi v[4:5], v14, off
	s_and_saveexec_b32 s5, vcc_lo
	s_xor_b32 s5, exec_lo, s5
; %bb.9:
	v_bfe_u32 v14, v15, 16, 1
	v_add3_u32 v16, v15, v14, 0x7fff
                                        ; implicit-def: $vgpr15
; %bb.10:
	s_andn2_saveexec_b32 s5, s5
; %bb.11:
	v_mov_b32_e32 v14, 0
	v_or_b32_e32 v16, 0x10000, v15
	v_cmp_eq_u32_sdwa vcc_lo, v15, v14 src0_sel:WORD_0 src1_sel:DWORD
	v_cndmask_b32_e32 v16, v16, v15, vcc_lo
; %bb.12:
	s_or_b32 exec_lo, exec_lo, s5
	v_mul_f32_e32 v14, s4, v7
	s_mov_b32 s5, exec_lo
	global_store_short_d16_hi v[4:5], v16, off offset:32
                                        ; implicit-def: $vgpr4
	v_and_b32_e32 v15, 0x7f800000, v14
	v_cmpx_ne_u32_e32 0x7f800000, v15
	s_xor_b32 s5, exec_lo, s5
; %bb.13:
	v_bfe_u32 v4, v14, 16, 1
	v_add3_u32 v4, v14, v4, 0x7fff
                                        ; implicit-def: $vgpr14
; %bb.14:
	s_andn2_saveexec_b32 s5, s5
; %bb.15:
	v_mov_b32_e32 v4, 0
	v_or_b32_e32 v5, 0x10000, v14
	v_cmp_eq_u32_sdwa vcc_lo, v14, v4 src0_sel:WORD_0 src1_sel:DWORD
	v_cndmask_b32_e32 v4, v5, v14, vcc_lo
; %bb.16:
	s_or_b32 exec_lo, exec_lo, s5
	s_lshl_b64 s[6:7], s[0:1], 5
	v_mul_f32_e32 v5, s4, v6
	v_add_co_u32 v12, vcc_lo, v12, s6
	v_add_co_ci_u32_e64 v13, null, s7, v13, vcc_lo
	v_and_b32_e32 v14, 0x7f800000, v5
	v_add_co_u32 v2, vcc_lo, v12, v2
	v_add_co_ci_u32_e64 v3, null, v13, v3, vcc_lo
	s_mov_b32 s5, exec_lo
	global_store_short_d16_hi v[2:3], v4, off
                                        ; implicit-def: $vgpr4
	v_cmpx_ne_u32_e32 0x7f800000, v14
	s_xor_b32 s5, exec_lo, s5
; %bb.17:
	v_bfe_u32 v4, v5, 16, 1
	v_add3_u32 v4, v5, v4, 0x7fff
                                        ; implicit-def: $vgpr5
; %bb.18:
	s_andn2_saveexec_b32 s5, s5
; %bb.19:
	v_mov_b32_e32 v4, 0
	v_or_b32_e32 v12, 0x10000, v5
	v_cmp_eq_u32_sdwa vcc_lo, v5, v4 src0_sel:WORD_0 src1_sel:DWORD
	v_cndmask_b32_e32 v4, v12, v5, vcc_lo
; %bb.20:
	s_or_b32 exec_lo, exec_lo, s5
	global_store_short_d16_hi v[2:3], v4, off offset:32
	s_branch .LBB428_53
.LBB428_21:
	v_mul_lo_u32 v4, v11, s14
	v_mul_lo_u32 v5, v10, s15
	v_mad_u64_u32 v[2:3], null, v10, s14, 0
	s_mul_i32 s5, s17, s8
	s_mul_hi_u32 s7, s16, s8
	s_mul_i32 s6, s16, s8
	s_add_i32 s7, s7, s5
	v_lshlrev_b64 v[0:1], 1, v[0:1]
	s_lshl_b64 s[6:7], s[6:7], 1
	v_add3_u32 v3, v3, v5, v4
	s_add_u32 s5, s12, s6
	s_addc_u32 s6, s13, s7
	v_lshlrev_b64 v[2:3], 1, v[2:3]
	v_add_co_u32 v12, vcc_lo, s5, v2
	v_add_co_ci_u32_e64 v13, null, s6, v3, vcc_lo
	v_add_co_u32 v2, vcc_lo, v12, v0
	v_add_co_ci_u32_e64 v3, null, v13, v1, vcc_lo
	global_load_ushort v4, v[2:3], off
	s_waitcnt vmcnt(0)
	v_lshlrev_b32_e32 v4, 16, v4
	v_mul_f32_e32 v4, s9, v4
	v_and_b32_e32 v5, 0x7f800000, v4
	v_cmp_ne_u32_e32 vcc_lo, 0x7f800000, v5
                                        ; implicit-def: $vgpr5
	s_and_saveexec_b32 s5, vcc_lo
	s_xor_b32 s5, exec_lo, s5
; %bb.22:
	v_bfe_u32 v5, v4, 16, 1
	v_add3_u32 v5, v4, v5, 0x7fff
                                        ; implicit-def: $vgpr4
; %bb.23:
	s_andn2_saveexec_b32 s5, s5
; %bb.24:
	v_mov_b32_e32 v5, 0
	v_or_b32_e32 v14, 0x10000, v4
	v_cmp_eq_u32_sdwa vcc_lo, v4, v5 src0_sel:WORD_0 src1_sel:DWORD
	v_cndmask_b32_e32 v5, v14, v4, vcc_lo
; %bb.25:
	s_or_b32 exec_lo, exec_lo, s5
	v_and_b32_e32 v4, 0xffff0000, v5
	s_mov_b32 s5, exec_lo
                                        ; implicit-def: $vgpr14
	v_fmac_f32_e32 v4, s4, v9
	v_and_b32_e32 v5, 0x7f800000, v4
	v_cmpx_ne_u32_e32 0x7f800000, v5
	s_xor_b32 s5, exec_lo, s5
; %bb.26:
	v_bfe_u32 v5, v4, 16, 1
	v_add3_u32 v14, v4, v5, 0x7fff
                                        ; implicit-def: $vgpr4
; %bb.27:
	s_andn2_saveexec_b32 s5, s5
; %bb.28:
	v_mov_b32_e32 v5, 0
	v_or_b32_e32 v9, 0x10000, v4
	v_cmp_eq_u32_sdwa vcc_lo, v4, v5 src0_sel:WORD_0 src1_sel:DWORD
	v_cndmask_b32_e32 v14, v9, v4, vcc_lo
; %bb.29:
	s_or_b32 exec_lo, exec_lo, s5
	v_mul_lo_u32 v9, v11, s0
	v_mul_lo_u32 v11, v10, s1
	v_mad_u64_u32 v[4:5], null, v10, s0, 0
	v_add3_u32 v5, v5, v11, v9
	v_lshlrev_b64 v[4:5], 1, v[4:5]
	v_add_co_u32 v9, vcc_lo, s2, v4
	v_add_co_ci_u32_e64 v10, null, s3, v5, vcc_lo
	v_add_co_u32 v4, vcc_lo, v9, v0
	v_add_co_ci_u32_e64 v5, null, v10, v1, vcc_lo
	global_store_short_d16_hi v[4:5], v14, off
	global_load_ushort v2, v[2:3], off offset:32
	s_waitcnt vmcnt(0)
	v_lshlrev_b32_e32 v2, 16, v2
	v_mul_f32_e32 v2, s9, v2
	v_and_b32_e32 v3, 0x7f800000, v2
	v_cmp_ne_u32_e32 vcc_lo, 0x7f800000, v3
                                        ; implicit-def: $vgpr3
	s_and_saveexec_b32 s2, vcc_lo
	s_xor_b32 s2, exec_lo, s2
; %bb.30:
	v_bfe_u32 v3, v2, 16, 1
	v_add3_u32 v3, v2, v3, 0x7fff
                                        ; implicit-def: $vgpr2
; %bb.31:
	s_andn2_saveexec_b32 s2, s2
; %bb.32:
	v_mov_b32_e32 v3, 0
	v_or_b32_e32 v11, 0x10000, v2
	v_cmp_eq_u32_sdwa vcc_lo, v2, v3 src0_sel:WORD_0 src1_sel:DWORD
	v_cndmask_b32_e32 v3, v11, v2, vcc_lo
; %bb.33:
	s_or_b32 exec_lo, exec_lo, s2
	v_and_b32_e32 v2, 0xffff0000, v3
	s_mov_b32 s2, exec_lo
	v_fmac_f32_e32 v2, s4, v8
                                        ; implicit-def: $vgpr8
	v_and_b32_e32 v3, 0x7f800000, v2
	v_cmpx_ne_u32_e32 0x7f800000, v3
	s_xor_b32 s2, exec_lo, s2
; %bb.34:
	v_bfe_u32 v3, v2, 16, 1
	v_add3_u32 v8, v2, v3, 0x7fff
                                        ; implicit-def: $vgpr2
; %bb.35:
	s_andn2_saveexec_b32 s2, s2
; %bb.36:
	v_mov_b32_e32 v3, 0
	v_or_b32_e32 v8, 0x10000, v2
	v_cmp_eq_u32_sdwa vcc_lo, v2, v3 src0_sel:WORD_0 src1_sel:DWORD
	v_cndmask_b32_e32 v8, v8, v2, vcc_lo
; %bb.37:
	s_or_b32 exec_lo, exec_lo, s2
	s_lshl_b64 s[2:3], s[14:15], 5
	global_store_short_d16_hi v[4:5], v8, off offset:32
	v_add_co_u32 v2, vcc_lo, v12, s2
	v_add_co_ci_u32_e64 v3, null, s3, v13, vcc_lo
	v_add_co_u32 v2, vcc_lo, v2, v0
	v_add_co_ci_u32_e64 v3, null, v3, v1, vcc_lo
	global_load_ushort v4, v[2:3], off
	s_waitcnt vmcnt(0)
	v_lshlrev_b32_e32 v4, 16, v4
	v_mul_f32_e32 v4, s9, v4
	v_and_b32_e32 v5, 0x7f800000, v4
	v_cmp_ne_u32_e32 vcc_lo, 0x7f800000, v5
                                        ; implicit-def: $vgpr5
	s_and_saveexec_b32 s2, vcc_lo
	s_xor_b32 s2, exec_lo, s2
; %bb.38:
	v_bfe_u32 v5, v4, 16, 1
	v_add3_u32 v5, v4, v5, 0x7fff
                                        ; implicit-def: $vgpr4
; %bb.39:
	s_andn2_saveexec_b32 s2, s2
; %bb.40:
	v_mov_b32_e32 v5, 0
	v_or_b32_e32 v8, 0x10000, v4
	v_cmp_eq_u32_sdwa vcc_lo, v4, v5 src0_sel:WORD_0 src1_sel:DWORD
	v_cndmask_b32_e32 v5, v8, v4, vcc_lo
; %bb.41:
	s_or_b32 exec_lo, exec_lo, s2
	v_and_b32_e32 v5, 0xffff0000, v5
	v_fmac_f32_e32 v5, s4, v7
	v_and_b32_e32 v4, 0x7f800000, v5
	v_cmp_ne_u32_e32 vcc_lo, 0x7f800000, v4
                                        ; implicit-def: $vgpr4
	s_and_saveexec_b32 s2, vcc_lo
	s_xor_b32 s2, exec_lo, s2
; %bb.42:
	v_bfe_u32 v4, v5, 16, 1
	v_add3_u32 v4, v5, v4, 0x7fff
                                        ; implicit-def: $vgpr5
; %bb.43:
	s_andn2_saveexec_b32 s2, s2
; %bb.44:
	v_mov_b32_e32 v4, 0
	v_or_b32_e32 v7, 0x10000, v5
	v_cmp_eq_u32_sdwa vcc_lo, v5, v4 src0_sel:WORD_0 src1_sel:DWORD
	v_cndmask_b32_e32 v4, v7, v5, vcc_lo
; %bb.45:
	s_or_b32 exec_lo, exec_lo, s2
	s_lshl_b64 s[0:1], s[0:1], 5
	v_add_co_u32 v5, vcc_lo, v9, s0
	v_add_co_ci_u32_e64 v7, null, s1, v10, vcc_lo
	v_add_co_u32 v0, vcc_lo, v5, v0
	v_add_co_ci_u32_e64 v1, null, v7, v1, vcc_lo
	global_store_short_d16_hi v[0:1], v4, off
	global_load_ushort v2, v[2:3], off offset:32
	s_waitcnt vmcnt(0)
	v_lshlrev_b32_e32 v2, 16, v2
	v_mul_f32_e32 v2, s9, v2
	v_and_b32_e32 v3, 0x7f800000, v2
	v_cmp_ne_u32_e32 vcc_lo, 0x7f800000, v3
                                        ; implicit-def: $vgpr3
	s_and_saveexec_b32 s0, vcc_lo
	s_xor_b32 s0, exec_lo, s0
; %bb.46:
	v_bfe_u32 v3, v2, 16, 1
	v_add3_u32 v3, v2, v3, 0x7fff
                                        ; implicit-def: $vgpr2
; %bb.47:
	s_andn2_saveexec_b32 s0, s0
; %bb.48:
	v_mov_b32_e32 v3, 0
	v_or_b32_e32 v4, 0x10000, v2
	v_cmp_eq_u32_sdwa vcc_lo, v2, v3 src0_sel:WORD_0 src1_sel:DWORD
	v_cndmask_b32_e32 v3, v4, v2, vcc_lo
; %bb.49:
	s_or_b32 exec_lo, exec_lo, s0
	v_and_b32_e32 v2, 0xffff0000, v3
	v_fmac_f32_e32 v2, s4, v6
	v_and_b32_e32 v3, 0x7f800000, v2
	v_cmp_ne_u32_e32 vcc_lo, 0x7f800000, v3
                                        ; implicit-def: $vgpr3
	s_and_saveexec_b32 s0, vcc_lo
	s_xor_b32 s0, exec_lo, s0
	s_cbranch_execnz .LBB428_54
; %bb.50:
	s_andn2_saveexec_b32 s0, s0
	s_cbranch_execnz .LBB428_55
.LBB428_51:
	s_or_b32 exec_lo, exec_lo, s0
	global_store_short_d16_hi v[0:1], v3, off offset:32
	s_endpgm
.LBB428_52:
	s_cbranch_execnz .LBB428_21
.LBB428_53:
	s_endpgm
.LBB428_54:
	v_bfe_u32 v3, v2, 16, 1
	v_add3_u32 v3, v2, v3, 0x7fff
                                        ; implicit-def: $vgpr2
	s_andn2_saveexec_b32 s0, s0
	s_cbranch_execz .LBB428_51
.LBB428_55:
	v_mov_b32_e32 v3, 0
	v_or_b32_e32 v4, 0x10000, v2
	v_cmp_eq_u32_sdwa vcc_lo, v2, v3 src0_sel:WORD_0 src1_sel:DWORD
	v_cndmask_b32_e32 v3, v4, v2, vcc_lo
	s_or_b32 exec_lo, exec_lo, s0
	global_store_short_d16_hi v[0:1], v3, off offset:32
	s_endpgm
	.section	.rodata,"a",@progbits
	.p2align	6, 0x0
	.amdhsa_kernel _ZN12_GLOBAL__N_127rocblas_gemm_batched_kernelIfLi16ELi16ELi32ELi32ELi8ELi32ELi8ELi8ELi32ELc84ELc78EK16rocblas_bfloat16S2_S1_EEvlllT_PT11_llS5_llS3_PT12_llPT13_lli
		.amdhsa_group_segment_fixed_size 2048
		.amdhsa_private_segment_fixed_size 0
		.amdhsa_kernarg_size 140
		.amdhsa_user_sgpr_count 6
		.amdhsa_user_sgpr_private_segment_buffer 1
		.amdhsa_user_sgpr_dispatch_ptr 0
		.amdhsa_user_sgpr_queue_ptr 0
		.amdhsa_user_sgpr_kernarg_segment_ptr 1
		.amdhsa_user_sgpr_dispatch_id 0
		.amdhsa_user_sgpr_flat_scratch_init 0
		.amdhsa_user_sgpr_private_segment_size 0
		.amdhsa_wavefront_size32 1
		.amdhsa_uses_dynamic_stack 0
		.amdhsa_system_sgpr_private_segment_wavefront_offset 0
		.amdhsa_system_sgpr_workgroup_id_x 1
		.amdhsa_system_sgpr_workgroup_id_y 1
		.amdhsa_system_sgpr_workgroup_id_z 1
		.amdhsa_system_sgpr_workgroup_info 0
		.amdhsa_system_vgpr_workitem_id 1
		.amdhsa_next_free_vgpr 46
		.amdhsa_next_free_sgpr 22
		.amdhsa_reserve_vcc 1
		.amdhsa_reserve_flat_scratch 0
		.amdhsa_float_round_mode_32 0
		.amdhsa_float_round_mode_16_64 0
		.amdhsa_float_denorm_mode_32 3
		.amdhsa_float_denorm_mode_16_64 3
		.amdhsa_dx10_clamp 1
		.amdhsa_ieee_mode 1
		.amdhsa_fp16_overflow 0
		.amdhsa_workgroup_processor_mode 1
		.amdhsa_memory_ordered 1
		.amdhsa_forward_progress 1
		.amdhsa_shared_vgpr_count 0
		.amdhsa_exception_fp_ieee_invalid_op 0
		.amdhsa_exception_fp_denorm_src 0
		.amdhsa_exception_fp_ieee_div_zero 0
		.amdhsa_exception_fp_ieee_overflow 0
		.amdhsa_exception_fp_ieee_underflow 0
		.amdhsa_exception_fp_ieee_inexact 0
		.amdhsa_exception_int_div_zero 0
	.end_amdhsa_kernel
	.section	.text._ZN12_GLOBAL__N_127rocblas_gemm_batched_kernelIfLi16ELi16ELi32ELi32ELi8ELi32ELi8ELi8ELi32ELc84ELc78EK16rocblas_bfloat16S2_S1_EEvlllT_PT11_llS5_llS3_PT12_llPT13_lli,"axG",@progbits,_ZN12_GLOBAL__N_127rocblas_gemm_batched_kernelIfLi16ELi16ELi32ELi32ELi8ELi32ELi8ELi8ELi32ELc84ELc78EK16rocblas_bfloat16S2_S1_EEvlllT_PT11_llS5_llS3_PT12_llPT13_lli,comdat
.Lfunc_end428:
	.size	_ZN12_GLOBAL__N_127rocblas_gemm_batched_kernelIfLi16ELi16ELi32ELi32ELi8ELi32ELi8ELi8ELi32ELc84ELc78EK16rocblas_bfloat16S2_S1_EEvlllT_PT11_llS5_llS3_PT12_llPT13_lli, .Lfunc_end428-_ZN12_GLOBAL__N_127rocblas_gemm_batched_kernelIfLi16ELi16ELi32ELi32ELi8ELi32ELi8ELi8ELi32ELc84ELc78EK16rocblas_bfloat16S2_S1_EEvlllT_PT11_llS5_llS3_PT12_llPT13_lli
                                        ; -- End function
	.set _ZN12_GLOBAL__N_127rocblas_gemm_batched_kernelIfLi16ELi16ELi32ELi32ELi8ELi32ELi8ELi8ELi32ELc84ELc78EK16rocblas_bfloat16S2_S1_EEvlllT_PT11_llS5_llS3_PT12_llPT13_lli.num_vgpr, 46
	.set _ZN12_GLOBAL__N_127rocblas_gemm_batched_kernelIfLi16ELi16ELi32ELi32ELi8ELi32ELi8ELi8ELi32ELc84ELc78EK16rocblas_bfloat16S2_S1_EEvlllT_PT11_llS5_llS3_PT12_llPT13_lli.num_agpr, 0
	.set _ZN12_GLOBAL__N_127rocblas_gemm_batched_kernelIfLi16ELi16ELi32ELi32ELi8ELi32ELi8ELi8ELi32ELc84ELc78EK16rocblas_bfloat16S2_S1_EEvlllT_PT11_llS5_llS3_PT12_llPT13_lli.numbered_sgpr, 22
	.set _ZN12_GLOBAL__N_127rocblas_gemm_batched_kernelIfLi16ELi16ELi32ELi32ELi8ELi32ELi8ELi8ELi32ELc84ELc78EK16rocblas_bfloat16S2_S1_EEvlllT_PT11_llS5_llS3_PT12_llPT13_lli.num_named_barrier, 0
	.set _ZN12_GLOBAL__N_127rocblas_gemm_batched_kernelIfLi16ELi16ELi32ELi32ELi8ELi32ELi8ELi8ELi32ELc84ELc78EK16rocblas_bfloat16S2_S1_EEvlllT_PT11_llS5_llS3_PT12_llPT13_lli.private_seg_size, 0
	.set _ZN12_GLOBAL__N_127rocblas_gemm_batched_kernelIfLi16ELi16ELi32ELi32ELi8ELi32ELi8ELi8ELi32ELc84ELc78EK16rocblas_bfloat16S2_S1_EEvlllT_PT11_llS5_llS3_PT12_llPT13_lli.uses_vcc, 1
	.set _ZN12_GLOBAL__N_127rocblas_gemm_batched_kernelIfLi16ELi16ELi32ELi32ELi8ELi32ELi8ELi8ELi32ELc84ELc78EK16rocblas_bfloat16S2_S1_EEvlllT_PT11_llS5_llS3_PT12_llPT13_lli.uses_flat_scratch, 0
	.set _ZN12_GLOBAL__N_127rocblas_gemm_batched_kernelIfLi16ELi16ELi32ELi32ELi8ELi32ELi8ELi8ELi32ELc84ELc78EK16rocblas_bfloat16S2_S1_EEvlllT_PT11_llS5_llS3_PT12_llPT13_lli.has_dyn_sized_stack, 0
	.set _ZN12_GLOBAL__N_127rocblas_gemm_batched_kernelIfLi16ELi16ELi32ELi32ELi8ELi32ELi8ELi8ELi32ELc84ELc78EK16rocblas_bfloat16S2_S1_EEvlllT_PT11_llS5_llS3_PT12_llPT13_lli.has_recursion, 0
	.set _ZN12_GLOBAL__N_127rocblas_gemm_batched_kernelIfLi16ELi16ELi32ELi32ELi8ELi32ELi8ELi8ELi32ELc84ELc78EK16rocblas_bfloat16S2_S1_EEvlllT_PT11_llS5_llS3_PT12_llPT13_lli.has_indirect_call, 0
	.section	.AMDGPU.csdata,"",@progbits
; Kernel info:
; codeLenInByte = 2444
; TotalNumSgprs: 24
; NumVgprs: 46
; ScratchSize: 0
; MemoryBound: 0
; FloatMode: 240
; IeeeMode: 1
; LDSByteSize: 2048 bytes/workgroup (compile time only)
; SGPRBlocks: 0
; VGPRBlocks: 5
; NumSGPRsForWavesPerEU: 24
; NumVGPRsForWavesPerEU: 46
; Occupancy: 16
; WaveLimiterHint : 0
; COMPUTE_PGM_RSRC2:SCRATCH_EN: 0
; COMPUTE_PGM_RSRC2:USER_SGPR: 6
; COMPUTE_PGM_RSRC2:TRAP_HANDLER: 0
; COMPUTE_PGM_RSRC2:TGID_X_EN: 1
; COMPUTE_PGM_RSRC2:TGID_Y_EN: 1
; COMPUTE_PGM_RSRC2:TGID_Z_EN: 1
; COMPUTE_PGM_RSRC2:TIDIG_COMP_CNT: 1
	.section	.text._ZN12_GLOBAL__N_127rocblas_gemm_batched_kernelIfLi16ELi16ELi32ELi32ELi8ELi32ELi8ELi8ELi32ELc78ELc84EK16rocblas_bfloat16S2_S1_EEvlllT_PT11_llS5_llS3_PT12_llPT13_lli,"axG",@progbits,_ZN12_GLOBAL__N_127rocblas_gemm_batched_kernelIfLi16ELi16ELi32ELi32ELi8ELi32ELi8ELi8ELi32ELc78ELc84EK16rocblas_bfloat16S2_S1_EEvlllT_PT11_llS5_llS3_PT12_llPT13_lli,comdat
	.globl	_ZN12_GLOBAL__N_127rocblas_gemm_batched_kernelIfLi16ELi16ELi32ELi32ELi8ELi32ELi8ELi8ELi32ELc78ELc84EK16rocblas_bfloat16S2_S1_EEvlllT_PT11_llS5_llS3_PT12_llPT13_lli ; -- Begin function _ZN12_GLOBAL__N_127rocblas_gemm_batched_kernelIfLi16ELi16ELi32ELi32ELi8ELi32ELi8ELi8ELi32ELc78ELc84EK16rocblas_bfloat16S2_S1_EEvlllT_PT11_llS5_llS3_PT12_llPT13_lli
	.p2align	8
	.type	_ZN12_GLOBAL__N_127rocblas_gemm_batched_kernelIfLi16ELi16ELi32ELi32ELi8ELi32ELi8ELi8ELi32ELc78ELc84EK16rocblas_bfloat16S2_S1_EEvlllT_PT11_llS5_llS3_PT12_llPT13_lli,@function
_ZN12_GLOBAL__N_127rocblas_gemm_batched_kernelIfLi16ELi16ELi32ELi32ELi8ELi32ELi8ELi8ELi32ELc78ELc84EK16rocblas_bfloat16S2_S1_EEvlllT_PT11_llS5_llS3_PT12_llPT13_lli: ; @_ZN12_GLOBAL__N_127rocblas_gemm_batched_kernelIfLi16ELi16ELi32ELi32ELi8ELi32ELi8ELi8ELi32ELc78ELc84EK16rocblas_bfloat16S2_S1_EEvlllT_PT11_llS5_llS3_PT12_llPT13_lli
; %bb.0:
	s_load_dwordx2 s[20:21], s[4:5], 0x10
	s_mov_b32 s0, s7
	v_mov_b32_e32 v9, 0
	v_mov_b32_e32 v8, 0
	;; [unrolled: 1-line block ×4, first 2 shown]
	s_ashr_i32 s7, s6, 31
	s_ashr_i32 s1, s0, 31
	s_lshl_b64 s[6:7], s[6:7], 5
	s_lshl_b64 s[10:11], s[0:1], 5
	s_waitcnt lgkmcnt(0)
	v_cmp_lt_i64_e64 s2, s[20:21], 1
	s_and_b32 vcc_lo, exec_lo, s2
	s_cbranch_vccnz .LBB429_3
; %bb.1:
	s_clause 0x1
	s_load_dwordx8 s[12:19], s[4:5], 0x20
	s_load_dwordx4 s[0:3], s[4:5], 0x40
	v_lshl_add_u32 v2, v1, 4, v0
	v_and_b32_e32 v9, 7, v0
	v_mov_b32_e32 v6, 0
	v_lshlrev_b32_e32 v10, 2, v0
	v_lshl_add_u32 v11, v1, 5, 0x400
	v_lshrrev_b32_e32 v4, 3, v2
	v_and_b32_e32 v14, 31, v2
	v_lshrrev_b32_e32 v7, 5, v2
	v_lshlrev_b32_e32 v5, 2, v9
	v_add_co_u32 v2, s9, v4, s10
	v_add_co_ci_u32_e64 v3, null, 0, s11, s9
	v_lshl_or_b32 v13, v4, 5, v5
	v_lshlrev_b32_e32 v8, 2, v14
	s_waitcnt lgkmcnt(0)
	v_mad_u64_u32 v[4:5], null, s14, v7, s[6:7]
	v_mad_u64_u32 v[2:3], null, s0, v9, v[2:3]
	v_lshl_or_b32 v12, v7, 7, v8
	s_mul_i32 s9, s17, s8
	s_mul_hi_u32 s17, s16, s8
	s_mul_i32 s16, s16, s8
	v_mad_u64_u32 v[7:8], null, s15, v7, v[5:6]
	v_mad_u64_u32 v[8:9], null, s1, v9, v[3:4]
	v_add_co_u32 v4, vcc_lo, v4, v14
	s_add_i32 s17, s17, s9
	s_mul_i32 s3, s3, s8
	v_add_co_ci_u32_e64 v5, null, 0, v7, vcc_lo
	v_mov_b32_e32 v3, v8
	s_lshl_b64 s[16:17], s[16:17], 1
	s_mul_hi_u32 s9, s2, s8
	v_lshlrev_b64 v[4:5], 1, v[4:5]
	s_add_u32 s16, s12, s16
	s_mul_i32 s22, s2, s8
	s_addc_u32 s17, s13, s17
	s_add_i32 s23, s9, s3
	v_lshlrev_b64 v[7:8], 1, v[2:3]
	s_lshl_b64 s[12:13], s[22:23], 1
	s_lshl_b64 s[2:3], s[14:15], 4
	v_add_co_u32 v2, vcc_lo, s16, v4
	s_add_u32 s9, s18, s12
	v_add_co_ci_u32_e64 v3, null, s17, v5, vcc_lo
	s_addc_u32 s12, s19, s13
	v_add_co_u32 v4, vcc_lo, s9, v7
	v_add_nc_u32_e32 v13, 0x400, v13
	v_add_co_ci_u32_e64 v5, null, s12, v8, vcc_lo
	v_mov_b32_e32 v7, 0
	v_mov_b32_e32 v8, 0
	;; [unrolled: 1-line block ×3, first 2 shown]
	s_lshl_b64 s[0:1], s[0:1], 4
	s_mov_b64 s[12:13], 0
.LBB429_2:                              ; =>This Inner Loop Header: Depth=1
	global_load_ushort v14, v[2:3], off
	global_load_ushort v15, v[4:5], off
	s_add_u32 s12, s12, 8
	s_addc_u32 s13, s13, 0
	v_add_co_u32 v2, vcc_lo, v2, s2
	v_cmp_lt_i64_e64 s9, s[12:13], s[20:21]
	v_add_co_ci_u32_e64 v3, null, s3, v3, vcc_lo
	v_add_co_u32 v4, vcc_lo, v4, s0
	v_add_co_ci_u32_e64 v5, null, s1, v5, vcc_lo
	s_and_b32 vcc_lo, exec_lo, s9
	s_waitcnt vmcnt(1)
	v_lshlrev_b32_e32 v14, 16, v14
	s_waitcnt vmcnt(0)
	v_lshlrev_b32_e32 v15, 16, v15
	ds_write_b32 v12, v14
	ds_write_b32 v13, v15
	s_waitcnt lgkmcnt(0)
	s_barrier
	buffer_gl0_inv
	ds_read_b128 v[14:17], v11
	ds_read2_b32 v[30:31], v10 offset1:16
	ds_read_b128 v[18:21], v11 offset:512
	ds_read2_b32 v[32:33], v10 offset0:32 offset1:48
	ds_read2_b32 v[34:35], v10 offset0:64 offset1:80
	ds_read_b128 v[22:25], v11 offset:16
	ds_read2_b32 v[36:37], v10 offset0:96 offset1:112
	ds_read2_b32 v[38:39], v10 offset0:128 offset1:144
	;; [unrolled: 3-line block ×3, first 2 shown]
	ds_read2_b32 v[44:45], v10 offset0:224 offset1:240
	s_waitcnt lgkmcnt(0)
	s_barrier
	buffer_gl0_inv
	v_fmac_f32_e32 v9, v30, v14
	v_fmac_f32_e32 v8, v31, v14
	;; [unrolled: 1-line block ×32, first 2 shown]
	s_cbranch_vccnz .LBB429_2
.LBB429_3:
	s_clause 0x3
	s_load_dwordx4 s[0:3], s[4:5], 0x78
	s_load_dword s9, s[4:5], 0x50
	s_load_dwordx8 s[12:19], s[4:5], 0x58
	s_load_dword s4, s[4:5], 0x18
	v_add_co_u32 v10, s5, s10, v1
	v_add_co_ci_u32_e64 v11, null, s11, 0, s5
	v_add_co_u32 v0, s6, s6, v0
	v_add_co_ci_u32_e64 v1, null, s7, 0, s6
	s_waitcnt lgkmcnt(0)
	s_mul_i32 s3, s3, s8
	s_mul_hi_u32 s5, s2, s8
	s_mul_i32 s2, s2, s8
	s_add_i32 s3, s5, s3
	v_cmp_neq_f32_e64 s5, s9, 0
	s_lshl_b64 s[2:3], s[2:3], 1
	s_add_u32 s2, s18, s2
	s_addc_u32 s3, s19, s3
	s_and_b32 vcc_lo, exec_lo, s5
	s_cbranch_vccnz .LBB429_52
; %bb.4:
	v_mul_f32_e32 v2, s4, v9
	s_mov_b32 s5, exec_lo
                                        ; implicit-def: $vgpr14
	v_and_b32_e32 v3, 0x7f800000, v2
	v_cmpx_ne_u32_e32 0x7f800000, v3
	s_xor_b32 s5, exec_lo, s5
; %bb.5:
	v_bfe_u32 v3, v2, 16, 1
	v_add3_u32 v14, v2, v3, 0x7fff
                                        ; implicit-def: $vgpr2
; %bb.6:
	s_andn2_saveexec_b32 s5, s5
; %bb.7:
	v_mov_b32_e32 v3, 0
	v_or_b32_e32 v4, 0x10000, v2
	v_cmp_eq_u32_sdwa vcc_lo, v2, v3 src0_sel:WORD_0 src1_sel:DWORD
	v_cndmask_b32_e32 v14, v4, v2, vcc_lo
; %bb.8:
	s_or_b32 exec_lo, exec_lo, s5
	v_mul_lo_u32 v4, v11, s0
	v_mul_lo_u32 v5, v10, s1
	v_mad_u64_u32 v[2:3], null, v10, s0, 0
	v_mul_f32_e32 v15, s4, v8
	v_and_b32_e32 v16, 0x7f800000, v15
	v_add3_u32 v3, v3, v5, v4
	v_lshlrev_b64 v[4:5], 1, v[2:3]
	v_lshlrev_b64 v[2:3], 1, v[0:1]
	v_add_co_u32 v12, vcc_lo, s2, v4
	v_add_co_ci_u32_e64 v13, null, s3, v5, vcc_lo
	v_add_co_u32 v4, vcc_lo, v12, v2
	v_add_co_ci_u32_e64 v5, null, v13, v3, vcc_lo
	v_cmp_ne_u32_e32 vcc_lo, 0x7f800000, v16
                                        ; implicit-def: $vgpr16
	global_store_short_d16_hi v[4:5], v14, off
	s_and_saveexec_b32 s5, vcc_lo
	s_xor_b32 s5, exec_lo, s5
; %bb.9:
	v_bfe_u32 v14, v15, 16, 1
	v_add3_u32 v16, v15, v14, 0x7fff
                                        ; implicit-def: $vgpr15
; %bb.10:
	s_andn2_saveexec_b32 s5, s5
; %bb.11:
	v_mov_b32_e32 v14, 0
	v_or_b32_e32 v16, 0x10000, v15
	v_cmp_eq_u32_sdwa vcc_lo, v15, v14 src0_sel:WORD_0 src1_sel:DWORD
	v_cndmask_b32_e32 v16, v16, v15, vcc_lo
; %bb.12:
	s_or_b32 exec_lo, exec_lo, s5
	v_mul_f32_e32 v14, s4, v7
	s_mov_b32 s5, exec_lo
	global_store_short_d16_hi v[4:5], v16, off offset:32
                                        ; implicit-def: $vgpr4
	v_and_b32_e32 v15, 0x7f800000, v14
	v_cmpx_ne_u32_e32 0x7f800000, v15
	s_xor_b32 s5, exec_lo, s5
; %bb.13:
	v_bfe_u32 v4, v14, 16, 1
	v_add3_u32 v4, v14, v4, 0x7fff
                                        ; implicit-def: $vgpr14
; %bb.14:
	s_andn2_saveexec_b32 s5, s5
; %bb.15:
	v_mov_b32_e32 v4, 0
	v_or_b32_e32 v5, 0x10000, v14
	v_cmp_eq_u32_sdwa vcc_lo, v14, v4 src0_sel:WORD_0 src1_sel:DWORD
	v_cndmask_b32_e32 v4, v5, v14, vcc_lo
; %bb.16:
	s_or_b32 exec_lo, exec_lo, s5
	s_lshl_b64 s[6:7], s[0:1], 5
	v_mul_f32_e32 v5, s4, v6
	v_add_co_u32 v12, vcc_lo, v12, s6
	v_add_co_ci_u32_e64 v13, null, s7, v13, vcc_lo
	v_and_b32_e32 v14, 0x7f800000, v5
	v_add_co_u32 v2, vcc_lo, v12, v2
	v_add_co_ci_u32_e64 v3, null, v13, v3, vcc_lo
	s_mov_b32 s5, exec_lo
	global_store_short_d16_hi v[2:3], v4, off
                                        ; implicit-def: $vgpr4
	v_cmpx_ne_u32_e32 0x7f800000, v14
	s_xor_b32 s5, exec_lo, s5
; %bb.17:
	v_bfe_u32 v4, v5, 16, 1
	v_add3_u32 v4, v5, v4, 0x7fff
                                        ; implicit-def: $vgpr5
; %bb.18:
	s_andn2_saveexec_b32 s5, s5
; %bb.19:
	v_mov_b32_e32 v4, 0
	v_or_b32_e32 v12, 0x10000, v5
	v_cmp_eq_u32_sdwa vcc_lo, v5, v4 src0_sel:WORD_0 src1_sel:DWORD
	v_cndmask_b32_e32 v4, v12, v5, vcc_lo
; %bb.20:
	s_or_b32 exec_lo, exec_lo, s5
	global_store_short_d16_hi v[2:3], v4, off offset:32
	s_branch .LBB429_53
.LBB429_21:
	v_mul_lo_u32 v4, v11, s14
	v_mul_lo_u32 v5, v10, s15
	v_mad_u64_u32 v[2:3], null, v10, s14, 0
	s_mul_i32 s5, s17, s8
	s_mul_hi_u32 s7, s16, s8
	s_mul_i32 s6, s16, s8
	s_add_i32 s7, s7, s5
	v_lshlrev_b64 v[0:1], 1, v[0:1]
	s_lshl_b64 s[6:7], s[6:7], 1
	v_add3_u32 v3, v3, v5, v4
	s_add_u32 s5, s12, s6
	s_addc_u32 s6, s13, s7
	v_lshlrev_b64 v[2:3], 1, v[2:3]
	v_add_co_u32 v12, vcc_lo, s5, v2
	v_add_co_ci_u32_e64 v13, null, s6, v3, vcc_lo
	v_add_co_u32 v2, vcc_lo, v12, v0
	v_add_co_ci_u32_e64 v3, null, v13, v1, vcc_lo
	global_load_ushort v4, v[2:3], off
	s_waitcnt vmcnt(0)
	v_lshlrev_b32_e32 v4, 16, v4
	v_mul_f32_e32 v4, s9, v4
	v_and_b32_e32 v5, 0x7f800000, v4
	v_cmp_ne_u32_e32 vcc_lo, 0x7f800000, v5
                                        ; implicit-def: $vgpr5
	s_and_saveexec_b32 s5, vcc_lo
	s_xor_b32 s5, exec_lo, s5
; %bb.22:
	v_bfe_u32 v5, v4, 16, 1
	v_add3_u32 v5, v4, v5, 0x7fff
                                        ; implicit-def: $vgpr4
; %bb.23:
	s_andn2_saveexec_b32 s5, s5
; %bb.24:
	v_mov_b32_e32 v5, 0
	v_or_b32_e32 v14, 0x10000, v4
	v_cmp_eq_u32_sdwa vcc_lo, v4, v5 src0_sel:WORD_0 src1_sel:DWORD
	v_cndmask_b32_e32 v5, v14, v4, vcc_lo
; %bb.25:
	s_or_b32 exec_lo, exec_lo, s5
	v_and_b32_e32 v4, 0xffff0000, v5
	s_mov_b32 s5, exec_lo
                                        ; implicit-def: $vgpr14
	v_fmac_f32_e32 v4, s4, v9
	v_and_b32_e32 v5, 0x7f800000, v4
	v_cmpx_ne_u32_e32 0x7f800000, v5
	s_xor_b32 s5, exec_lo, s5
; %bb.26:
	v_bfe_u32 v5, v4, 16, 1
	v_add3_u32 v14, v4, v5, 0x7fff
                                        ; implicit-def: $vgpr4
; %bb.27:
	s_andn2_saveexec_b32 s5, s5
; %bb.28:
	v_mov_b32_e32 v5, 0
	v_or_b32_e32 v9, 0x10000, v4
	v_cmp_eq_u32_sdwa vcc_lo, v4, v5 src0_sel:WORD_0 src1_sel:DWORD
	v_cndmask_b32_e32 v14, v9, v4, vcc_lo
; %bb.29:
	s_or_b32 exec_lo, exec_lo, s5
	v_mul_lo_u32 v9, v11, s0
	v_mul_lo_u32 v11, v10, s1
	v_mad_u64_u32 v[4:5], null, v10, s0, 0
	v_add3_u32 v5, v5, v11, v9
	v_lshlrev_b64 v[4:5], 1, v[4:5]
	v_add_co_u32 v9, vcc_lo, s2, v4
	v_add_co_ci_u32_e64 v10, null, s3, v5, vcc_lo
	v_add_co_u32 v4, vcc_lo, v9, v0
	v_add_co_ci_u32_e64 v5, null, v10, v1, vcc_lo
	global_store_short_d16_hi v[4:5], v14, off
	global_load_ushort v2, v[2:3], off offset:32
	s_waitcnt vmcnt(0)
	v_lshlrev_b32_e32 v2, 16, v2
	v_mul_f32_e32 v2, s9, v2
	v_and_b32_e32 v3, 0x7f800000, v2
	v_cmp_ne_u32_e32 vcc_lo, 0x7f800000, v3
                                        ; implicit-def: $vgpr3
	s_and_saveexec_b32 s2, vcc_lo
	s_xor_b32 s2, exec_lo, s2
; %bb.30:
	v_bfe_u32 v3, v2, 16, 1
	v_add3_u32 v3, v2, v3, 0x7fff
                                        ; implicit-def: $vgpr2
; %bb.31:
	s_andn2_saveexec_b32 s2, s2
; %bb.32:
	v_mov_b32_e32 v3, 0
	v_or_b32_e32 v11, 0x10000, v2
	v_cmp_eq_u32_sdwa vcc_lo, v2, v3 src0_sel:WORD_0 src1_sel:DWORD
	v_cndmask_b32_e32 v3, v11, v2, vcc_lo
; %bb.33:
	s_or_b32 exec_lo, exec_lo, s2
	v_and_b32_e32 v2, 0xffff0000, v3
	s_mov_b32 s2, exec_lo
	v_fmac_f32_e32 v2, s4, v8
                                        ; implicit-def: $vgpr8
	v_and_b32_e32 v3, 0x7f800000, v2
	v_cmpx_ne_u32_e32 0x7f800000, v3
	s_xor_b32 s2, exec_lo, s2
; %bb.34:
	v_bfe_u32 v3, v2, 16, 1
	v_add3_u32 v8, v2, v3, 0x7fff
                                        ; implicit-def: $vgpr2
; %bb.35:
	s_andn2_saveexec_b32 s2, s2
; %bb.36:
	v_mov_b32_e32 v3, 0
	v_or_b32_e32 v8, 0x10000, v2
	v_cmp_eq_u32_sdwa vcc_lo, v2, v3 src0_sel:WORD_0 src1_sel:DWORD
	v_cndmask_b32_e32 v8, v8, v2, vcc_lo
; %bb.37:
	s_or_b32 exec_lo, exec_lo, s2
	s_lshl_b64 s[2:3], s[14:15], 5
	global_store_short_d16_hi v[4:5], v8, off offset:32
	v_add_co_u32 v2, vcc_lo, v12, s2
	v_add_co_ci_u32_e64 v3, null, s3, v13, vcc_lo
	v_add_co_u32 v2, vcc_lo, v2, v0
	v_add_co_ci_u32_e64 v3, null, v3, v1, vcc_lo
	global_load_ushort v4, v[2:3], off
	s_waitcnt vmcnt(0)
	v_lshlrev_b32_e32 v4, 16, v4
	v_mul_f32_e32 v4, s9, v4
	v_and_b32_e32 v5, 0x7f800000, v4
	v_cmp_ne_u32_e32 vcc_lo, 0x7f800000, v5
                                        ; implicit-def: $vgpr5
	s_and_saveexec_b32 s2, vcc_lo
	s_xor_b32 s2, exec_lo, s2
; %bb.38:
	v_bfe_u32 v5, v4, 16, 1
	v_add3_u32 v5, v4, v5, 0x7fff
                                        ; implicit-def: $vgpr4
; %bb.39:
	s_andn2_saveexec_b32 s2, s2
; %bb.40:
	v_mov_b32_e32 v5, 0
	v_or_b32_e32 v8, 0x10000, v4
	v_cmp_eq_u32_sdwa vcc_lo, v4, v5 src0_sel:WORD_0 src1_sel:DWORD
	v_cndmask_b32_e32 v5, v8, v4, vcc_lo
; %bb.41:
	s_or_b32 exec_lo, exec_lo, s2
	v_and_b32_e32 v5, 0xffff0000, v5
	v_fmac_f32_e32 v5, s4, v7
	v_and_b32_e32 v4, 0x7f800000, v5
	v_cmp_ne_u32_e32 vcc_lo, 0x7f800000, v4
                                        ; implicit-def: $vgpr4
	s_and_saveexec_b32 s2, vcc_lo
	s_xor_b32 s2, exec_lo, s2
; %bb.42:
	v_bfe_u32 v4, v5, 16, 1
	v_add3_u32 v4, v5, v4, 0x7fff
                                        ; implicit-def: $vgpr5
; %bb.43:
	s_andn2_saveexec_b32 s2, s2
; %bb.44:
	v_mov_b32_e32 v4, 0
	v_or_b32_e32 v7, 0x10000, v5
	v_cmp_eq_u32_sdwa vcc_lo, v5, v4 src0_sel:WORD_0 src1_sel:DWORD
	v_cndmask_b32_e32 v4, v7, v5, vcc_lo
; %bb.45:
	s_or_b32 exec_lo, exec_lo, s2
	s_lshl_b64 s[0:1], s[0:1], 5
	v_add_co_u32 v5, vcc_lo, v9, s0
	v_add_co_ci_u32_e64 v7, null, s1, v10, vcc_lo
	v_add_co_u32 v0, vcc_lo, v5, v0
	v_add_co_ci_u32_e64 v1, null, v7, v1, vcc_lo
	global_store_short_d16_hi v[0:1], v4, off
	global_load_ushort v2, v[2:3], off offset:32
	s_waitcnt vmcnt(0)
	v_lshlrev_b32_e32 v2, 16, v2
	v_mul_f32_e32 v2, s9, v2
	v_and_b32_e32 v3, 0x7f800000, v2
	v_cmp_ne_u32_e32 vcc_lo, 0x7f800000, v3
                                        ; implicit-def: $vgpr3
	s_and_saveexec_b32 s0, vcc_lo
	s_xor_b32 s0, exec_lo, s0
; %bb.46:
	v_bfe_u32 v3, v2, 16, 1
	v_add3_u32 v3, v2, v3, 0x7fff
                                        ; implicit-def: $vgpr2
; %bb.47:
	s_andn2_saveexec_b32 s0, s0
; %bb.48:
	v_mov_b32_e32 v3, 0
	v_or_b32_e32 v4, 0x10000, v2
	v_cmp_eq_u32_sdwa vcc_lo, v2, v3 src0_sel:WORD_0 src1_sel:DWORD
	v_cndmask_b32_e32 v3, v4, v2, vcc_lo
; %bb.49:
	s_or_b32 exec_lo, exec_lo, s0
	v_and_b32_e32 v2, 0xffff0000, v3
	v_fmac_f32_e32 v2, s4, v6
	v_and_b32_e32 v3, 0x7f800000, v2
	v_cmp_ne_u32_e32 vcc_lo, 0x7f800000, v3
                                        ; implicit-def: $vgpr3
	s_and_saveexec_b32 s0, vcc_lo
	s_xor_b32 s0, exec_lo, s0
	s_cbranch_execnz .LBB429_54
; %bb.50:
	s_andn2_saveexec_b32 s0, s0
	s_cbranch_execnz .LBB429_55
.LBB429_51:
	s_or_b32 exec_lo, exec_lo, s0
	global_store_short_d16_hi v[0:1], v3, off offset:32
	s_endpgm
.LBB429_52:
	s_cbranch_execnz .LBB429_21
.LBB429_53:
	s_endpgm
.LBB429_54:
	v_bfe_u32 v3, v2, 16, 1
	v_add3_u32 v3, v2, v3, 0x7fff
                                        ; implicit-def: $vgpr2
	s_andn2_saveexec_b32 s0, s0
	s_cbranch_execz .LBB429_51
.LBB429_55:
	v_mov_b32_e32 v3, 0
	v_or_b32_e32 v4, 0x10000, v2
	v_cmp_eq_u32_sdwa vcc_lo, v2, v3 src0_sel:WORD_0 src1_sel:DWORD
	v_cndmask_b32_e32 v3, v4, v2, vcc_lo
	s_or_b32 exec_lo, exec_lo, s0
	global_store_short_d16_hi v[0:1], v3, off offset:32
	s_endpgm
	.section	.rodata,"a",@progbits
	.p2align	6, 0x0
	.amdhsa_kernel _ZN12_GLOBAL__N_127rocblas_gemm_batched_kernelIfLi16ELi16ELi32ELi32ELi8ELi32ELi8ELi8ELi32ELc78ELc84EK16rocblas_bfloat16S2_S1_EEvlllT_PT11_llS5_llS3_PT12_llPT13_lli
		.amdhsa_group_segment_fixed_size 2048
		.amdhsa_private_segment_fixed_size 0
		.amdhsa_kernarg_size 140
		.amdhsa_user_sgpr_count 6
		.amdhsa_user_sgpr_private_segment_buffer 1
		.amdhsa_user_sgpr_dispatch_ptr 0
		.amdhsa_user_sgpr_queue_ptr 0
		.amdhsa_user_sgpr_kernarg_segment_ptr 1
		.amdhsa_user_sgpr_dispatch_id 0
		.amdhsa_user_sgpr_flat_scratch_init 0
		.amdhsa_user_sgpr_private_segment_size 0
		.amdhsa_wavefront_size32 1
		.amdhsa_uses_dynamic_stack 0
		.amdhsa_system_sgpr_private_segment_wavefront_offset 0
		.amdhsa_system_sgpr_workgroup_id_x 1
		.amdhsa_system_sgpr_workgroup_id_y 1
		.amdhsa_system_sgpr_workgroup_id_z 1
		.amdhsa_system_sgpr_workgroup_info 0
		.amdhsa_system_vgpr_workitem_id 1
		.amdhsa_next_free_vgpr 46
		.amdhsa_next_free_sgpr 24
		.amdhsa_reserve_vcc 1
		.amdhsa_reserve_flat_scratch 0
		.amdhsa_float_round_mode_32 0
		.amdhsa_float_round_mode_16_64 0
		.amdhsa_float_denorm_mode_32 3
		.amdhsa_float_denorm_mode_16_64 3
		.amdhsa_dx10_clamp 1
		.amdhsa_ieee_mode 1
		.amdhsa_fp16_overflow 0
		.amdhsa_workgroup_processor_mode 1
		.amdhsa_memory_ordered 1
		.amdhsa_forward_progress 1
		.amdhsa_shared_vgpr_count 0
		.amdhsa_exception_fp_ieee_invalid_op 0
		.amdhsa_exception_fp_denorm_src 0
		.amdhsa_exception_fp_ieee_div_zero 0
		.amdhsa_exception_fp_ieee_overflow 0
		.amdhsa_exception_fp_ieee_underflow 0
		.amdhsa_exception_fp_ieee_inexact 0
		.amdhsa_exception_int_div_zero 0
	.end_amdhsa_kernel
	.section	.text._ZN12_GLOBAL__N_127rocblas_gemm_batched_kernelIfLi16ELi16ELi32ELi32ELi8ELi32ELi8ELi8ELi32ELc78ELc84EK16rocblas_bfloat16S2_S1_EEvlllT_PT11_llS5_llS3_PT12_llPT13_lli,"axG",@progbits,_ZN12_GLOBAL__N_127rocblas_gemm_batched_kernelIfLi16ELi16ELi32ELi32ELi8ELi32ELi8ELi8ELi32ELc78ELc84EK16rocblas_bfloat16S2_S1_EEvlllT_PT11_llS5_llS3_PT12_llPT13_lli,comdat
.Lfunc_end429:
	.size	_ZN12_GLOBAL__N_127rocblas_gemm_batched_kernelIfLi16ELi16ELi32ELi32ELi8ELi32ELi8ELi8ELi32ELc78ELc84EK16rocblas_bfloat16S2_S1_EEvlllT_PT11_llS5_llS3_PT12_llPT13_lli, .Lfunc_end429-_ZN12_GLOBAL__N_127rocblas_gemm_batched_kernelIfLi16ELi16ELi32ELi32ELi8ELi32ELi8ELi8ELi32ELc78ELc84EK16rocblas_bfloat16S2_S1_EEvlllT_PT11_llS5_llS3_PT12_llPT13_lli
                                        ; -- End function
	.set _ZN12_GLOBAL__N_127rocblas_gemm_batched_kernelIfLi16ELi16ELi32ELi32ELi8ELi32ELi8ELi8ELi32ELc78ELc84EK16rocblas_bfloat16S2_S1_EEvlllT_PT11_llS5_llS3_PT12_llPT13_lli.num_vgpr, 46
	.set _ZN12_GLOBAL__N_127rocblas_gemm_batched_kernelIfLi16ELi16ELi32ELi32ELi8ELi32ELi8ELi8ELi32ELc78ELc84EK16rocblas_bfloat16S2_S1_EEvlllT_PT11_llS5_llS3_PT12_llPT13_lli.num_agpr, 0
	.set _ZN12_GLOBAL__N_127rocblas_gemm_batched_kernelIfLi16ELi16ELi32ELi32ELi8ELi32ELi8ELi8ELi32ELc78ELc84EK16rocblas_bfloat16S2_S1_EEvlllT_PT11_llS5_llS3_PT12_llPT13_lli.numbered_sgpr, 24
	.set _ZN12_GLOBAL__N_127rocblas_gemm_batched_kernelIfLi16ELi16ELi32ELi32ELi8ELi32ELi8ELi8ELi32ELc78ELc84EK16rocblas_bfloat16S2_S1_EEvlllT_PT11_llS5_llS3_PT12_llPT13_lli.num_named_barrier, 0
	.set _ZN12_GLOBAL__N_127rocblas_gemm_batched_kernelIfLi16ELi16ELi32ELi32ELi8ELi32ELi8ELi8ELi32ELc78ELc84EK16rocblas_bfloat16S2_S1_EEvlllT_PT11_llS5_llS3_PT12_llPT13_lli.private_seg_size, 0
	.set _ZN12_GLOBAL__N_127rocblas_gemm_batched_kernelIfLi16ELi16ELi32ELi32ELi8ELi32ELi8ELi8ELi32ELc78ELc84EK16rocblas_bfloat16S2_S1_EEvlllT_PT11_llS5_llS3_PT12_llPT13_lli.uses_vcc, 1
	.set _ZN12_GLOBAL__N_127rocblas_gemm_batched_kernelIfLi16ELi16ELi32ELi32ELi8ELi32ELi8ELi8ELi32ELc78ELc84EK16rocblas_bfloat16S2_S1_EEvlllT_PT11_llS5_llS3_PT12_llPT13_lli.uses_flat_scratch, 0
	.set _ZN12_GLOBAL__N_127rocblas_gemm_batched_kernelIfLi16ELi16ELi32ELi32ELi8ELi32ELi8ELi8ELi32ELc78ELc84EK16rocblas_bfloat16S2_S1_EEvlllT_PT11_llS5_llS3_PT12_llPT13_lli.has_dyn_sized_stack, 0
	.set _ZN12_GLOBAL__N_127rocblas_gemm_batched_kernelIfLi16ELi16ELi32ELi32ELi8ELi32ELi8ELi8ELi32ELc78ELc84EK16rocblas_bfloat16S2_S1_EEvlllT_PT11_llS5_llS3_PT12_llPT13_lli.has_recursion, 0
	.set _ZN12_GLOBAL__N_127rocblas_gemm_batched_kernelIfLi16ELi16ELi32ELi32ELi8ELi32ELi8ELi8ELi32ELc78ELc84EK16rocblas_bfloat16S2_S1_EEvlllT_PT11_llS5_llS3_PT12_llPT13_lli.has_indirect_call, 0
	.section	.AMDGPU.csdata,"",@progbits
; Kernel info:
; codeLenInByte = 2372
; TotalNumSgprs: 26
; NumVgprs: 46
; ScratchSize: 0
; MemoryBound: 0
; FloatMode: 240
; IeeeMode: 1
; LDSByteSize: 2048 bytes/workgroup (compile time only)
; SGPRBlocks: 0
; VGPRBlocks: 5
; NumSGPRsForWavesPerEU: 26
; NumVGPRsForWavesPerEU: 46
; Occupancy: 16
; WaveLimiterHint : 0
; COMPUTE_PGM_RSRC2:SCRATCH_EN: 0
; COMPUTE_PGM_RSRC2:USER_SGPR: 6
; COMPUTE_PGM_RSRC2:TRAP_HANDLER: 0
; COMPUTE_PGM_RSRC2:TGID_X_EN: 1
; COMPUTE_PGM_RSRC2:TGID_Y_EN: 1
; COMPUTE_PGM_RSRC2:TGID_Z_EN: 1
; COMPUTE_PGM_RSRC2:TIDIG_COMP_CNT: 1
	.section	.text._ZN12_GLOBAL__N_127rocblas_gemm_batched_kernelIfLi16ELi16ELi32ELi32ELi8ELi32ELi8ELi8ELi32ELc84ELc84EK16rocblas_bfloat16S2_S1_EEvlllT_PT11_llS5_llS3_PT12_llPT13_lli,"axG",@progbits,_ZN12_GLOBAL__N_127rocblas_gemm_batched_kernelIfLi16ELi16ELi32ELi32ELi8ELi32ELi8ELi8ELi32ELc84ELc84EK16rocblas_bfloat16S2_S1_EEvlllT_PT11_llS5_llS3_PT12_llPT13_lli,comdat
	.globl	_ZN12_GLOBAL__N_127rocblas_gemm_batched_kernelIfLi16ELi16ELi32ELi32ELi8ELi32ELi8ELi8ELi32ELc84ELc84EK16rocblas_bfloat16S2_S1_EEvlllT_PT11_llS5_llS3_PT12_llPT13_lli ; -- Begin function _ZN12_GLOBAL__N_127rocblas_gemm_batched_kernelIfLi16ELi16ELi32ELi32ELi8ELi32ELi8ELi8ELi32ELc84ELc84EK16rocblas_bfloat16S2_S1_EEvlllT_PT11_llS5_llS3_PT12_llPT13_lli
	.p2align	8
	.type	_ZN12_GLOBAL__N_127rocblas_gemm_batched_kernelIfLi16ELi16ELi32ELi32ELi8ELi32ELi8ELi8ELi32ELc84ELc84EK16rocblas_bfloat16S2_S1_EEvlllT_PT11_llS5_llS3_PT12_llPT13_lli,@function
_ZN12_GLOBAL__N_127rocblas_gemm_batched_kernelIfLi16ELi16ELi32ELi32ELi8ELi32ELi8ELi8ELi32ELc84ELc84EK16rocblas_bfloat16S2_S1_EEvlllT_PT11_llS5_llS3_PT12_llPT13_lli: ; @_ZN12_GLOBAL__N_127rocblas_gemm_batched_kernelIfLi16ELi16ELi32ELi32ELi8ELi32ELi8ELi8ELi32ELc84ELc84EK16rocblas_bfloat16S2_S1_EEvlllT_PT11_llS5_llS3_PT12_llPT13_lli
; %bb.0:
	s_load_dwordx2 s[20:21], s[4:5], 0x10
	s_mov_b32 s0, s7
	v_mov_b32_e32 v9, 0
	v_mov_b32_e32 v8, 0
	;; [unrolled: 1-line block ×4, first 2 shown]
	s_ashr_i32 s7, s6, 31
	s_ashr_i32 s1, s0, 31
	s_lshl_b64 s[6:7], s[6:7], 5
	s_lshl_b64 s[10:11], s[0:1], 5
	s_waitcnt lgkmcnt(0)
	v_cmp_lt_i64_e64 s2, s[20:21], 1
	s_and_b32 vcc_lo, exec_lo, s2
	s_cbranch_vccnz .LBB430_3
; %bb.1:
	s_clause 0x1
	s_load_dwordx8 s[12:19], s[4:5], 0x20
	s_load_dwordx4 s[0:3], s[4:5], 0x40
	v_lshl_add_u32 v2, v1, 4, v0
	v_and_b32_e32 v7, 7, v0
	v_mov_b32_e32 v6, 0
	v_lshlrev_b32_e32 v10, 2, v0
	v_lshrrev_b32_e32 v8, 3, v2
	v_and_b32_e32 v9, 31, v2
	v_lshrrev_b32_e32 v12, 5, v2
	v_lshlrev_b32_e32 v11, 2, v7
	v_add_co_u32 v2, s9, v8, s10
	v_add_co_ci_u32_e64 v3, null, 0, s11, s9
	v_add_co_u32 v4, s9, s6, v9
	v_add_co_ci_u32_e64 v5, null, s7, 0, s9
	v_lshl_or_b32 v8, v8, 5, v11
	s_waitcnt lgkmcnt(0)
	v_mul_lo_u32 v14, s15, v4
	v_mad_u64_u32 v[2:3], null, s0, v7, v[2:3]
	v_mul_lo_u32 v15, s14, v5
	v_mad_u64_u32 v[4:5], null, s14, v4, 0
	v_add_nc_u32_e32 v13, 0x400, v8
	s_mul_i32 s9, s17, s8
	s_mul_hi_u32 s15, s16, s8
	s_mul_i32 s14, s16, s8
	s_add_i32 s15, s15, s9
	v_lshlrev_b32_e32 v16, 1, v12
	v_add3_u32 v5, v5, v15, v14
	v_mad_u64_u32 v[7:8], null, s1, v7, v[3:4]
	s_lshl_b64 s[14:15], s[14:15], 1
	s_mul_i32 s3, s3, s8
	v_lshlrev_b64 v[4:5], 1, v[4:5]
	s_mul_hi_u32 s9, s2, s8
	s_mul_i32 s2, s2, s8
	s_add_i32 s3, s9, s3
	v_mov_b32_e32 v3, v7
	s_lshl_b64 s[2:3], s[2:3], 1
	v_add_co_u32 v4, vcc_lo, v4, s14
	v_add_co_ci_u32_e64 v5, null, s15, v5, vcc_lo
	v_lshlrev_b32_e32 v9, 2, v9
	v_add_co_u32 v7, vcc_lo, v4, v16
	v_add_co_ci_u32_e64 v8, null, 0, v5, vcc_lo
	v_lshlrev_b64 v[4:5], 1, v[2:3]
	v_add_co_u32 v2, vcc_lo, s12, v7
	s_add_u32 s2, s18, s2
	v_add_co_ci_u32_e64 v3, null, s13, v8, vcc_lo
	s_addc_u32 s3, s19, s3
	v_add_co_u32 v4, vcc_lo, s2, v4
	v_lshl_add_u32 v11, v1, 5, 0x400
	v_lshl_or_b32 v12, v12, 7, v9
	v_add_co_ci_u32_e64 v5, null, s3, v5, vcc_lo
	v_mov_b32_e32 v7, 0
	v_mov_b32_e32 v8, 0
	;; [unrolled: 1-line block ×3, first 2 shown]
	s_lshl_b64 s[0:1], s[0:1], 4
	s_mov_b64 s[2:3], 0
.LBB430_2:                              ; =>This Inner Loop Header: Depth=1
	global_load_ushort v14, v[2:3], off
	global_load_ushort v15, v[4:5], off
	s_add_u32 s2, s2, 8
	s_addc_u32 s3, s3, 0
	v_add_co_u32 v2, vcc_lo, v2, 16
	v_cmp_lt_i64_e64 s9, s[2:3], s[20:21]
	v_add_co_ci_u32_e64 v3, null, 0, v3, vcc_lo
	v_add_co_u32 v4, vcc_lo, v4, s0
	v_add_co_ci_u32_e64 v5, null, s1, v5, vcc_lo
	s_and_b32 vcc_lo, exec_lo, s9
	s_waitcnt vmcnt(1)
	v_lshlrev_b32_e32 v14, 16, v14
	s_waitcnt vmcnt(0)
	v_lshlrev_b32_e32 v15, 16, v15
	ds_write_b32 v12, v14
	ds_write_b32 v13, v15
	s_waitcnt lgkmcnt(0)
	s_barrier
	buffer_gl0_inv
	ds_read_b128 v[14:17], v11
	ds_read2_b32 v[30:31], v10 offset1:16
	ds_read_b128 v[18:21], v11 offset:512
	ds_read2_b32 v[32:33], v10 offset0:32 offset1:48
	ds_read2_b32 v[34:35], v10 offset0:64 offset1:80
	ds_read_b128 v[22:25], v11 offset:16
	ds_read2_b32 v[36:37], v10 offset0:96 offset1:112
	ds_read2_b32 v[38:39], v10 offset0:128 offset1:144
	;; [unrolled: 3-line block ×3, first 2 shown]
	ds_read2_b32 v[44:45], v10 offset0:224 offset1:240
	s_waitcnt lgkmcnt(0)
	s_barrier
	buffer_gl0_inv
	v_fmac_f32_e32 v9, v30, v14
	v_fmac_f32_e32 v8, v31, v14
	;; [unrolled: 1-line block ×32, first 2 shown]
	s_cbranch_vccnz .LBB430_2
.LBB430_3:
	s_clause 0x3
	s_load_dwordx4 s[0:3], s[4:5], 0x78
	s_load_dword s9, s[4:5], 0x50
	s_load_dwordx8 s[12:19], s[4:5], 0x58
	s_load_dword s4, s[4:5], 0x18
	v_add_co_u32 v10, s5, s10, v1
	v_add_co_ci_u32_e64 v11, null, s11, 0, s5
	v_add_co_u32 v0, s6, s6, v0
	v_add_co_ci_u32_e64 v1, null, s7, 0, s6
	s_waitcnt lgkmcnt(0)
	s_mul_i32 s3, s3, s8
	s_mul_hi_u32 s5, s2, s8
	s_mul_i32 s2, s2, s8
	s_add_i32 s3, s5, s3
	v_cmp_neq_f32_e64 s5, s9, 0
	s_lshl_b64 s[2:3], s[2:3], 1
	s_add_u32 s2, s18, s2
	s_addc_u32 s3, s19, s3
	s_and_b32 vcc_lo, exec_lo, s5
	s_cbranch_vccnz .LBB430_52
; %bb.4:
	v_mul_f32_e32 v2, s4, v9
	s_mov_b32 s5, exec_lo
                                        ; implicit-def: $vgpr14
	v_and_b32_e32 v3, 0x7f800000, v2
	v_cmpx_ne_u32_e32 0x7f800000, v3
	s_xor_b32 s5, exec_lo, s5
; %bb.5:
	v_bfe_u32 v3, v2, 16, 1
	v_add3_u32 v14, v2, v3, 0x7fff
                                        ; implicit-def: $vgpr2
; %bb.6:
	s_andn2_saveexec_b32 s5, s5
; %bb.7:
	v_mov_b32_e32 v3, 0
	v_or_b32_e32 v4, 0x10000, v2
	v_cmp_eq_u32_sdwa vcc_lo, v2, v3 src0_sel:WORD_0 src1_sel:DWORD
	v_cndmask_b32_e32 v14, v4, v2, vcc_lo
; %bb.8:
	s_or_b32 exec_lo, exec_lo, s5
	v_mul_lo_u32 v4, v11, s0
	v_mul_lo_u32 v5, v10, s1
	v_mad_u64_u32 v[2:3], null, v10, s0, 0
	v_mul_f32_e32 v15, s4, v8
	v_and_b32_e32 v16, 0x7f800000, v15
	v_add3_u32 v3, v3, v5, v4
	v_lshlrev_b64 v[4:5], 1, v[2:3]
	v_lshlrev_b64 v[2:3], 1, v[0:1]
	v_add_co_u32 v12, vcc_lo, s2, v4
	v_add_co_ci_u32_e64 v13, null, s3, v5, vcc_lo
	v_add_co_u32 v4, vcc_lo, v12, v2
	v_add_co_ci_u32_e64 v5, null, v13, v3, vcc_lo
	v_cmp_ne_u32_e32 vcc_lo, 0x7f800000, v16
                                        ; implicit-def: $vgpr16
	global_store_short_d16_hi v[4:5], v14, off
	s_and_saveexec_b32 s5, vcc_lo
	s_xor_b32 s5, exec_lo, s5
; %bb.9:
	v_bfe_u32 v14, v15, 16, 1
	v_add3_u32 v16, v15, v14, 0x7fff
                                        ; implicit-def: $vgpr15
; %bb.10:
	s_andn2_saveexec_b32 s5, s5
; %bb.11:
	v_mov_b32_e32 v14, 0
	v_or_b32_e32 v16, 0x10000, v15
	v_cmp_eq_u32_sdwa vcc_lo, v15, v14 src0_sel:WORD_0 src1_sel:DWORD
	v_cndmask_b32_e32 v16, v16, v15, vcc_lo
; %bb.12:
	s_or_b32 exec_lo, exec_lo, s5
	v_mul_f32_e32 v14, s4, v7
	s_mov_b32 s5, exec_lo
	global_store_short_d16_hi v[4:5], v16, off offset:32
                                        ; implicit-def: $vgpr4
	v_and_b32_e32 v15, 0x7f800000, v14
	v_cmpx_ne_u32_e32 0x7f800000, v15
	s_xor_b32 s5, exec_lo, s5
; %bb.13:
	v_bfe_u32 v4, v14, 16, 1
	v_add3_u32 v4, v14, v4, 0x7fff
                                        ; implicit-def: $vgpr14
; %bb.14:
	s_andn2_saveexec_b32 s5, s5
; %bb.15:
	v_mov_b32_e32 v4, 0
	v_or_b32_e32 v5, 0x10000, v14
	v_cmp_eq_u32_sdwa vcc_lo, v14, v4 src0_sel:WORD_0 src1_sel:DWORD
	v_cndmask_b32_e32 v4, v5, v14, vcc_lo
; %bb.16:
	s_or_b32 exec_lo, exec_lo, s5
	s_lshl_b64 s[6:7], s[0:1], 5
	v_mul_f32_e32 v5, s4, v6
	v_add_co_u32 v12, vcc_lo, v12, s6
	v_add_co_ci_u32_e64 v13, null, s7, v13, vcc_lo
	v_and_b32_e32 v14, 0x7f800000, v5
	v_add_co_u32 v2, vcc_lo, v12, v2
	v_add_co_ci_u32_e64 v3, null, v13, v3, vcc_lo
	s_mov_b32 s5, exec_lo
	global_store_short_d16_hi v[2:3], v4, off
                                        ; implicit-def: $vgpr4
	v_cmpx_ne_u32_e32 0x7f800000, v14
	s_xor_b32 s5, exec_lo, s5
; %bb.17:
	v_bfe_u32 v4, v5, 16, 1
	v_add3_u32 v4, v5, v4, 0x7fff
                                        ; implicit-def: $vgpr5
; %bb.18:
	s_andn2_saveexec_b32 s5, s5
; %bb.19:
	v_mov_b32_e32 v4, 0
	v_or_b32_e32 v12, 0x10000, v5
	v_cmp_eq_u32_sdwa vcc_lo, v5, v4 src0_sel:WORD_0 src1_sel:DWORD
	v_cndmask_b32_e32 v4, v12, v5, vcc_lo
; %bb.20:
	s_or_b32 exec_lo, exec_lo, s5
	global_store_short_d16_hi v[2:3], v4, off offset:32
	s_branch .LBB430_53
.LBB430_21:
	v_mul_lo_u32 v4, v11, s14
	v_mul_lo_u32 v5, v10, s15
	v_mad_u64_u32 v[2:3], null, v10, s14, 0
	s_mul_i32 s5, s17, s8
	s_mul_hi_u32 s7, s16, s8
	s_mul_i32 s6, s16, s8
	s_add_i32 s7, s7, s5
	v_lshlrev_b64 v[0:1], 1, v[0:1]
	s_lshl_b64 s[6:7], s[6:7], 1
	v_add3_u32 v3, v3, v5, v4
	s_add_u32 s5, s12, s6
	s_addc_u32 s6, s13, s7
	v_lshlrev_b64 v[2:3], 1, v[2:3]
	v_add_co_u32 v12, vcc_lo, s5, v2
	v_add_co_ci_u32_e64 v13, null, s6, v3, vcc_lo
	v_add_co_u32 v2, vcc_lo, v12, v0
	v_add_co_ci_u32_e64 v3, null, v13, v1, vcc_lo
	global_load_ushort v4, v[2:3], off
	s_waitcnt vmcnt(0)
	v_lshlrev_b32_e32 v4, 16, v4
	v_mul_f32_e32 v4, s9, v4
	v_and_b32_e32 v5, 0x7f800000, v4
	v_cmp_ne_u32_e32 vcc_lo, 0x7f800000, v5
                                        ; implicit-def: $vgpr5
	s_and_saveexec_b32 s5, vcc_lo
	s_xor_b32 s5, exec_lo, s5
; %bb.22:
	v_bfe_u32 v5, v4, 16, 1
	v_add3_u32 v5, v4, v5, 0x7fff
                                        ; implicit-def: $vgpr4
; %bb.23:
	s_andn2_saveexec_b32 s5, s5
; %bb.24:
	v_mov_b32_e32 v5, 0
	v_or_b32_e32 v14, 0x10000, v4
	v_cmp_eq_u32_sdwa vcc_lo, v4, v5 src0_sel:WORD_0 src1_sel:DWORD
	v_cndmask_b32_e32 v5, v14, v4, vcc_lo
; %bb.25:
	s_or_b32 exec_lo, exec_lo, s5
	v_and_b32_e32 v4, 0xffff0000, v5
	s_mov_b32 s5, exec_lo
                                        ; implicit-def: $vgpr14
	v_fmac_f32_e32 v4, s4, v9
	v_and_b32_e32 v5, 0x7f800000, v4
	v_cmpx_ne_u32_e32 0x7f800000, v5
	s_xor_b32 s5, exec_lo, s5
; %bb.26:
	v_bfe_u32 v5, v4, 16, 1
	v_add3_u32 v14, v4, v5, 0x7fff
                                        ; implicit-def: $vgpr4
; %bb.27:
	s_andn2_saveexec_b32 s5, s5
; %bb.28:
	v_mov_b32_e32 v5, 0
	v_or_b32_e32 v9, 0x10000, v4
	v_cmp_eq_u32_sdwa vcc_lo, v4, v5 src0_sel:WORD_0 src1_sel:DWORD
	v_cndmask_b32_e32 v14, v9, v4, vcc_lo
; %bb.29:
	s_or_b32 exec_lo, exec_lo, s5
	v_mul_lo_u32 v9, v11, s0
	v_mul_lo_u32 v11, v10, s1
	v_mad_u64_u32 v[4:5], null, v10, s0, 0
	v_add3_u32 v5, v5, v11, v9
	v_lshlrev_b64 v[4:5], 1, v[4:5]
	v_add_co_u32 v9, vcc_lo, s2, v4
	v_add_co_ci_u32_e64 v10, null, s3, v5, vcc_lo
	v_add_co_u32 v4, vcc_lo, v9, v0
	v_add_co_ci_u32_e64 v5, null, v10, v1, vcc_lo
	global_store_short_d16_hi v[4:5], v14, off
	global_load_ushort v2, v[2:3], off offset:32
	s_waitcnt vmcnt(0)
	v_lshlrev_b32_e32 v2, 16, v2
	v_mul_f32_e32 v2, s9, v2
	v_and_b32_e32 v3, 0x7f800000, v2
	v_cmp_ne_u32_e32 vcc_lo, 0x7f800000, v3
                                        ; implicit-def: $vgpr3
	s_and_saveexec_b32 s2, vcc_lo
	s_xor_b32 s2, exec_lo, s2
; %bb.30:
	v_bfe_u32 v3, v2, 16, 1
	v_add3_u32 v3, v2, v3, 0x7fff
                                        ; implicit-def: $vgpr2
; %bb.31:
	s_andn2_saveexec_b32 s2, s2
; %bb.32:
	v_mov_b32_e32 v3, 0
	v_or_b32_e32 v11, 0x10000, v2
	v_cmp_eq_u32_sdwa vcc_lo, v2, v3 src0_sel:WORD_0 src1_sel:DWORD
	v_cndmask_b32_e32 v3, v11, v2, vcc_lo
; %bb.33:
	s_or_b32 exec_lo, exec_lo, s2
	v_and_b32_e32 v2, 0xffff0000, v3
	s_mov_b32 s2, exec_lo
	v_fmac_f32_e32 v2, s4, v8
                                        ; implicit-def: $vgpr8
	v_and_b32_e32 v3, 0x7f800000, v2
	v_cmpx_ne_u32_e32 0x7f800000, v3
	s_xor_b32 s2, exec_lo, s2
; %bb.34:
	v_bfe_u32 v3, v2, 16, 1
	v_add3_u32 v8, v2, v3, 0x7fff
                                        ; implicit-def: $vgpr2
; %bb.35:
	s_andn2_saveexec_b32 s2, s2
; %bb.36:
	v_mov_b32_e32 v3, 0
	v_or_b32_e32 v8, 0x10000, v2
	v_cmp_eq_u32_sdwa vcc_lo, v2, v3 src0_sel:WORD_0 src1_sel:DWORD
	v_cndmask_b32_e32 v8, v8, v2, vcc_lo
; %bb.37:
	s_or_b32 exec_lo, exec_lo, s2
	s_lshl_b64 s[2:3], s[14:15], 5
	global_store_short_d16_hi v[4:5], v8, off offset:32
	v_add_co_u32 v2, vcc_lo, v12, s2
	v_add_co_ci_u32_e64 v3, null, s3, v13, vcc_lo
	v_add_co_u32 v2, vcc_lo, v2, v0
	v_add_co_ci_u32_e64 v3, null, v3, v1, vcc_lo
	global_load_ushort v4, v[2:3], off
	s_waitcnt vmcnt(0)
	v_lshlrev_b32_e32 v4, 16, v4
	v_mul_f32_e32 v4, s9, v4
	v_and_b32_e32 v5, 0x7f800000, v4
	v_cmp_ne_u32_e32 vcc_lo, 0x7f800000, v5
                                        ; implicit-def: $vgpr5
	s_and_saveexec_b32 s2, vcc_lo
	s_xor_b32 s2, exec_lo, s2
; %bb.38:
	v_bfe_u32 v5, v4, 16, 1
	v_add3_u32 v5, v4, v5, 0x7fff
                                        ; implicit-def: $vgpr4
; %bb.39:
	s_andn2_saveexec_b32 s2, s2
; %bb.40:
	v_mov_b32_e32 v5, 0
	v_or_b32_e32 v8, 0x10000, v4
	v_cmp_eq_u32_sdwa vcc_lo, v4, v5 src0_sel:WORD_0 src1_sel:DWORD
	v_cndmask_b32_e32 v5, v8, v4, vcc_lo
; %bb.41:
	s_or_b32 exec_lo, exec_lo, s2
	v_and_b32_e32 v5, 0xffff0000, v5
	v_fmac_f32_e32 v5, s4, v7
	v_and_b32_e32 v4, 0x7f800000, v5
	v_cmp_ne_u32_e32 vcc_lo, 0x7f800000, v4
                                        ; implicit-def: $vgpr4
	s_and_saveexec_b32 s2, vcc_lo
	s_xor_b32 s2, exec_lo, s2
; %bb.42:
	v_bfe_u32 v4, v5, 16, 1
	v_add3_u32 v4, v5, v4, 0x7fff
                                        ; implicit-def: $vgpr5
; %bb.43:
	s_andn2_saveexec_b32 s2, s2
; %bb.44:
	v_mov_b32_e32 v4, 0
	v_or_b32_e32 v7, 0x10000, v5
	v_cmp_eq_u32_sdwa vcc_lo, v5, v4 src0_sel:WORD_0 src1_sel:DWORD
	v_cndmask_b32_e32 v4, v7, v5, vcc_lo
; %bb.45:
	s_or_b32 exec_lo, exec_lo, s2
	s_lshl_b64 s[0:1], s[0:1], 5
	v_add_co_u32 v5, vcc_lo, v9, s0
	v_add_co_ci_u32_e64 v7, null, s1, v10, vcc_lo
	v_add_co_u32 v0, vcc_lo, v5, v0
	v_add_co_ci_u32_e64 v1, null, v7, v1, vcc_lo
	global_store_short_d16_hi v[0:1], v4, off
	global_load_ushort v2, v[2:3], off offset:32
	s_waitcnt vmcnt(0)
	v_lshlrev_b32_e32 v2, 16, v2
	v_mul_f32_e32 v2, s9, v2
	v_and_b32_e32 v3, 0x7f800000, v2
	v_cmp_ne_u32_e32 vcc_lo, 0x7f800000, v3
                                        ; implicit-def: $vgpr3
	s_and_saveexec_b32 s0, vcc_lo
	s_xor_b32 s0, exec_lo, s0
; %bb.46:
	v_bfe_u32 v3, v2, 16, 1
	v_add3_u32 v3, v2, v3, 0x7fff
                                        ; implicit-def: $vgpr2
; %bb.47:
	s_andn2_saveexec_b32 s0, s0
; %bb.48:
	v_mov_b32_e32 v3, 0
	v_or_b32_e32 v4, 0x10000, v2
	v_cmp_eq_u32_sdwa vcc_lo, v2, v3 src0_sel:WORD_0 src1_sel:DWORD
	v_cndmask_b32_e32 v3, v4, v2, vcc_lo
; %bb.49:
	s_or_b32 exec_lo, exec_lo, s0
	v_and_b32_e32 v2, 0xffff0000, v3
	v_fmac_f32_e32 v2, s4, v6
	v_and_b32_e32 v3, 0x7f800000, v2
	v_cmp_ne_u32_e32 vcc_lo, 0x7f800000, v3
                                        ; implicit-def: $vgpr3
	s_and_saveexec_b32 s0, vcc_lo
	s_xor_b32 s0, exec_lo, s0
	s_cbranch_execnz .LBB430_54
; %bb.50:
	s_andn2_saveexec_b32 s0, s0
	s_cbranch_execnz .LBB430_55
.LBB430_51:
	s_or_b32 exec_lo, exec_lo, s0
	global_store_short_d16_hi v[0:1], v3, off offset:32
	s_endpgm
.LBB430_52:
	s_cbranch_execnz .LBB430_21
.LBB430_53:
	s_endpgm
.LBB430_54:
	v_bfe_u32 v3, v2, 16, 1
	v_add3_u32 v3, v2, v3, 0x7fff
                                        ; implicit-def: $vgpr2
	s_andn2_saveexec_b32 s0, s0
	s_cbranch_execz .LBB430_51
.LBB430_55:
	v_mov_b32_e32 v3, 0
	v_or_b32_e32 v4, 0x10000, v2
	v_cmp_eq_u32_sdwa vcc_lo, v2, v3 src0_sel:WORD_0 src1_sel:DWORD
	v_cndmask_b32_e32 v3, v4, v2, vcc_lo
	s_or_b32 exec_lo, exec_lo, s0
	global_store_short_d16_hi v[0:1], v3, off offset:32
	s_endpgm
	.section	.rodata,"a",@progbits
	.p2align	6, 0x0
	.amdhsa_kernel _ZN12_GLOBAL__N_127rocblas_gemm_batched_kernelIfLi16ELi16ELi32ELi32ELi8ELi32ELi8ELi8ELi32ELc84ELc84EK16rocblas_bfloat16S2_S1_EEvlllT_PT11_llS5_llS3_PT12_llPT13_lli
		.amdhsa_group_segment_fixed_size 2048
		.amdhsa_private_segment_fixed_size 0
		.amdhsa_kernarg_size 140
		.amdhsa_user_sgpr_count 6
		.amdhsa_user_sgpr_private_segment_buffer 1
		.amdhsa_user_sgpr_dispatch_ptr 0
		.amdhsa_user_sgpr_queue_ptr 0
		.amdhsa_user_sgpr_kernarg_segment_ptr 1
		.amdhsa_user_sgpr_dispatch_id 0
		.amdhsa_user_sgpr_flat_scratch_init 0
		.amdhsa_user_sgpr_private_segment_size 0
		.amdhsa_wavefront_size32 1
		.amdhsa_uses_dynamic_stack 0
		.amdhsa_system_sgpr_private_segment_wavefront_offset 0
		.amdhsa_system_sgpr_workgroup_id_x 1
		.amdhsa_system_sgpr_workgroup_id_y 1
		.amdhsa_system_sgpr_workgroup_id_z 1
		.amdhsa_system_sgpr_workgroup_info 0
		.amdhsa_system_vgpr_workitem_id 1
		.amdhsa_next_free_vgpr 46
		.amdhsa_next_free_sgpr 22
		.amdhsa_reserve_vcc 1
		.amdhsa_reserve_flat_scratch 0
		.amdhsa_float_round_mode_32 0
		.amdhsa_float_round_mode_16_64 0
		.amdhsa_float_denorm_mode_32 3
		.amdhsa_float_denorm_mode_16_64 3
		.amdhsa_dx10_clamp 1
		.amdhsa_ieee_mode 1
		.amdhsa_fp16_overflow 0
		.amdhsa_workgroup_processor_mode 1
		.amdhsa_memory_ordered 1
		.amdhsa_forward_progress 1
		.amdhsa_shared_vgpr_count 0
		.amdhsa_exception_fp_ieee_invalid_op 0
		.amdhsa_exception_fp_denorm_src 0
		.amdhsa_exception_fp_ieee_div_zero 0
		.amdhsa_exception_fp_ieee_overflow 0
		.amdhsa_exception_fp_ieee_underflow 0
		.amdhsa_exception_fp_ieee_inexact 0
		.amdhsa_exception_int_div_zero 0
	.end_amdhsa_kernel
	.section	.text._ZN12_GLOBAL__N_127rocblas_gemm_batched_kernelIfLi16ELi16ELi32ELi32ELi8ELi32ELi8ELi8ELi32ELc84ELc84EK16rocblas_bfloat16S2_S1_EEvlllT_PT11_llS5_llS3_PT12_llPT13_lli,"axG",@progbits,_ZN12_GLOBAL__N_127rocblas_gemm_batched_kernelIfLi16ELi16ELi32ELi32ELi8ELi32ELi8ELi8ELi32ELc84ELc84EK16rocblas_bfloat16S2_S1_EEvlllT_PT11_llS5_llS3_PT12_llPT13_lli,comdat
.Lfunc_end430:
	.size	_ZN12_GLOBAL__N_127rocblas_gemm_batched_kernelIfLi16ELi16ELi32ELi32ELi8ELi32ELi8ELi8ELi32ELc84ELc84EK16rocblas_bfloat16S2_S1_EEvlllT_PT11_llS5_llS3_PT12_llPT13_lli, .Lfunc_end430-_ZN12_GLOBAL__N_127rocblas_gemm_batched_kernelIfLi16ELi16ELi32ELi32ELi8ELi32ELi8ELi8ELi32ELc84ELc84EK16rocblas_bfloat16S2_S1_EEvlllT_PT11_llS5_llS3_PT12_llPT13_lli
                                        ; -- End function
	.set _ZN12_GLOBAL__N_127rocblas_gemm_batched_kernelIfLi16ELi16ELi32ELi32ELi8ELi32ELi8ELi8ELi32ELc84ELc84EK16rocblas_bfloat16S2_S1_EEvlllT_PT11_llS5_llS3_PT12_llPT13_lli.num_vgpr, 46
	.set _ZN12_GLOBAL__N_127rocblas_gemm_batched_kernelIfLi16ELi16ELi32ELi32ELi8ELi32ELi8ELi8ELi32ELc84ELc84EK16rocblas_bfloat16S2_S1_EEvlllT_PT11_llS5_llS3_PT12_llPT13_lli.num_agpr, 0
	.set _ZN12_GLOBAL__N_127rocblas_gemm_batched_kernelIfLi16ELi16ELi32ELi32ELi8ELi32ELi8ELi8ELi32ELc84ELc84EK16rocblas_bfloat16S2_S1_EEvlllT_PT11_llS5_llS3_PT12_llPT13_lli.numbered_sgpr, 22
	.set _ZN12_GLOBAL__N_127rocblas_gemm_batched_kernelIfLi16ELi16ELi32ELi32ELi8ELi32ELi8ELi8ELi32ELc84ELc84EK16rocblas_bfloat16S2_S1_EEvlllT_PT11_llS5_llS3_PT12_llPT13_lli.num_named_barrier, 0
	.set _ZN12_GLOBAL__N_127rocblas_gemm_batched_kernelIfLi16ELi16ELi32ELi32ELi8ELi32ELi8ELi8ELi32ELc84ELc84EK16rocblas_bfloat16S2_S1_EEvlllT_PT11_llS5_llS3_PT12_llPT13_lli.private_seg_size, 0
	.set _ZN12_GLOBAL__N_127rocblas_gemm_batched_kernelIfLi16ELi16ELi32ELi32ELi8ELi32ELi8ELi8ELi32ELc84ELc84EK16rocblas_bfloat16S2_S1_EEvlllT_PT11_llS5_llS3_PT12_llPT13_lli.uses_vcc, 1
	.set _ZN12_GLOBAL__N_127rocblas_gemm_batched_kernelIfLi16ELi16ELi32ELi32ELi8ELi32ELi8ELi8ELi32ELc84ELc84EK16rocblas_bfloat16S2_S1_EEvlllT_PT11_llS5_llS3_PT12_llPT13_lli.uses_flat_scratch, 0
	.set _ZN12_GLOBAL__N_127rocblas_gemm_batched_kernelIfLi16ELi16ELi32ELi32ELi8ELi32ELi8ELi8ELi32ELc84ELc84EK16rocblas_bfloat16S2_S1_EEvlllT_PT11_llS5_llS3_PT12_llPT13_lli.has_dyn_sized_stack, 0
	.set _ZN12_GLOBAL__N_127rocblas_gemm_batched_kernelIfLi16ELi16ELi32ELi32ELi8ELi32ELi8ELi8ELi32ELc84ELc84EK16rocblas_bfloat16S2_S1_EEvlllT_PT11_llS5_llS3_PT12_llPT13_lli.has_recursion, 0
	.set _ZN12_GLOBAL__N_127rocblas_gemm_batched_kernelIfLi16ELi16ELi32ELi32ELi8ELi32ELi8ELi8ELi32ELc84ELc84EK16rocblas_bfloat16S2_S1_EEvlllT_PT11_llS5_llS3_PT12_llPT13_lli.has_indirect_call, 0
	.section	.AMDGPU.csdata,"",@progbits
; Kernel info:
; codeLenInByte = 2412
; TotalNumSgprs: 24
; NumVgprs: 46
; ScratchSize: 0
; MemoryBound: 0
; FloatMode: 240
; IeeeMode: 1
; LDSByteSize: 2048 bytes/workgroup (compile time only)
; SGPRBlocks: 0
; VGPRBlocks: 5
; NumSGPRsForWavesPerEU: 24
; NumVGPRsForWavesPerEU: 46
; Occupancy: 16
; WaveLimiterHint : 0
; COMPUTE_PGM_RSRC2:SCRATCH_EN: 0
; COMPUTE_PGM_RSRC2:USER_SGPR: 6
; COMPUTE_PGM_RSRC2:TRAP_HANDLER: 0
; COMPUTE_PGM_RSRC2:TGID_X_EN: 1
; COMPUTE_PGM_RSRC2:TGID_Y_EN: 1
; COMPUTE_PGM_RSRC2:TGID_Z_EN: 1
; COMPUTE_PGM_RSRC2:TIDIG_COMP_CNT: 1
	.section	.text._ZN12_GLOBAL__N_127rocblas_gemm_batched_kernelIfLi16ELi16ELi32ELi32ELi8ELi32ELi8ELi8ELi32ELc67ELc67EK16rocblas_bfloat16S2_S1_EEvlllT_PT11_llS5_llS3_PT12_llPT13_lli,"axG",@progbits,_ZN12_GLOBAL__N_127rocblas_gemm_batched_kernelIfLi16ELi16ELi32ELi32ELi8ELi32ELi8ELi8ELi32ELc67ELc67EK16rocblas_bfloat16S2_S1_EEvlllT_PT11_llS5_llS3_PT12_llPT13_lli,comdat
	.globl	_ZN12_GLOBAL__N_127rocblas_gemm_batched_kernelIfLi16ELi16ELi32ELi32ELi8ELi32ELi8ELi8ELi32ELc67ELc67EK16rocblas_bfloat16S2_S1_EEvlllT_PT11_llS5_llS3_PT12_llPT13_lli ; -- Begin function _ZN12_GLOBAL__N_127rocblas_gemm_batched_kernelIfLi16ELi16ELi32ELi32ELi8ELi32ELi8ELi8ELi32ELc67ELc67EK16rocblas_bfloat16S2_S1_EEvlllT_PT11_llS5_llS3_PT12_llPT13_lli
	.p2align	8
	.type	_ZN12_GLOBAL__N_127rocblas_gemm_batched_kernelIfLi16ELi16ELi32ELi32ELi8ELi32ELi8ELi8ELi32ELc67ELc67EK16rocblas_bfloat16S2_S1_EEvlllT_PT11_llS5_llS3_PT12_llPT13_lli,@function
_ZN12_GLOBAL__N_127rocblas_gemm_batched_kernelIfLi16ELi16ELi32ELi32ELi8ELi32ELi8ELi8ELi32ELc67ELc67EK16rocblas_bfloat16S2_S1_EEvlllT_PT11_llS5_llS3_PT12_llPT13_lli: ; @_ZN12_GLOBAL__N_127rocblas_gemm_batched_kernelIfLi16ELi16ELi32ELi32ELi8ELi32ELi8ELi8ELi32ELc67ELc67EK16rocblas_bfloat16S2_S1_EEvlllT_PT11_llS5_llS3_PT12_llPT13_lli
; %bb.0:
	s_load_dwordx2 s[20:21], s[4:5], 0x10
	s_mov_b32 s0, s7
	v_mov_b32_e32 v9, 0
	v_mov_b32_e32 v8, 0
	;; [unrolled: 1-line block ×4, first 2 shown]
	s_ashr_i32 s7, s6, 31
	s_ashr_i32 s1, s0, 31
	s_lshl_b64 s[6:7], s[6:7], 5
	s_lshl_b64 s[10:11], s[0:1], 5
	s_waitcnt lgkmcnt(0)
	v_cmp_lt_i64_e64 s2, s[20:21], 1
	s_and_b32 vcc_lo, exec_lo, s2
	s_cbranch_vccnz .LBB431_3
; %bb.1:
	s_clause 0x1
	s_load_dwordx8 s[12:19], s[4:5], 0x20
	s_load_dwordx4 s[0:3], s[4:5], 0x40
	v_lshl_add_u32 v2, v1, 4, v0
	v_and_b32_e32 v7, 7, v0
	v_mov_b32_e32 v6, 0
	v_lshlrev_b32_e32 v10, 2, v0
	v_lshrrev_b32_e32 v8, 3, v2
	v_and_b32_e32 v9, 31, v2
	v_lshrrev_b32_e32 v12, 5, v2
	v_lshlrev_b32_e32 v11, 2, v7
	v_add_co_u32 v2, s9, v8, s10
	v_add_co_ci_u32_e64 v3, null, 0, s11, s9
	v_add_co_u32 v4, s9, s6, v9
	v_add_co_ci_u32_e64 v5, null, s7, 0, s9
	v_lshl_or_b32 v8, v8, 5, v11
	s_waitcnt lgkmcnt(0)
	v_mul_lo_u32 v14, s15, v4
	v_mad_u64_u32 v[2:3], null, s0, v7, v[2:3]
	v_mul_lo_u32 v15, s14, v5
	v_mad_u64_u32 v[4:5], null, s14, v4, 0
	v_add_nc_u32_e32 v13, 0x400, v8
	s_mul_i32 s9, s17, s8
	s_mul_hi_u32 s15, s16, s8
	s_mul_i32 s14, s16, s8
	s_add_i32 s15, s15, s9
	v_lshlrev_b32_e32 v16, 1, v12
	v_add3_u32 v5, v5, v15, v14
	v_mad_u64_u32 v[7:8], null, s1, v7, v[3:4]
	s_lshl_b64 s[14:15], s[14:15], 1
	s_mul_i32 s3, s3, s8
	v_lshlrev_b64 v[4:5], 1, v[4:5]
	s_mul_hi_u32 s9, s2, s8
	s_mul_i32 s2, s2, s8
	s_add_i32 s3, s9, s3
	v_mov_b32_e32 v3, v7
	s_lshl_b64 s[2:3], s[2:3], 1
	v_add_co_u32 v4, vcc_lo, v4, s14
	v_add_co_ci_u32_e64 v5, null, s15, v5, vcc_lo
	v_lshlrev_b32_e32 v9, 2, v9
	v_add_co_u32 v7, vcc_lo, v4, v16
	v_add_co_ci_u32_e64 v8, null, 0, v5, vcc_lo
	v_lshlrev_b64 v[4:5], 1, v[2:3]
	v_add_co_u32 v2, vcc_lo, s12, v7
	s_add_u32 s2, s18, s2
	v_add_co_ci_u32_e64 v3, null, s13, v8, vcc_lo
	s_addc_u32 s3, s19, s3
	v_add_co_u32 v4, vcc_lo, s2, v4
	v_lshl_add_u32 v11, v1, 5, 0x400
	v_lshl_or_b32 v12, v12, 7, v9
	v_add_co_ci_u32_e64 v5, null, s3, v5, vcc_lo
	v_mov_b32_e32 v7, 0
	v_mov_b32_e32 v8, 0
	;; [unrolled: 1-line block ×3, first 2 shown]
	s_lshl_b64 s[0:1], s[0:1], 4
	s_mov_b64 s[2:3], 0
.LBB431_2:                              ; =>This Inner Loop Header: Depth=1
	global_load_ushort v14, v[2:3], off
	global_load_ushort v15, v[4:5], off
	s_add_u32 s2, s2, 8
	s_addc_u32 s3, s3, 0
	v_add_co_u32 v2, vcc_lo, v2, 16
	v_cmp_lt_i64_e64 s9, s[2:3], s[20:21]
	v_add_co_ci_u32_e64 v3, null, 0, v3, vcc_lo
	v_add_co_u32 v4, vcc_lo, v4, s0
	v_add_co_ci_u32_e64 v5, null, s1, v5, vcc_lo
	s_and_b32 vcc_lo, exec_lo, s9
	s_waitcnt vmcnt(1)
	v_lshlrev_b32_e32 v14, 16, v14
	s_waitcnt vmcnt(0)
	v_lshlrev_b32_e32 v15, 16, v15
	ds_write_b32 v12, v14
	ds_write_b32 v13, v15
	s_waitcnt lgkmcnt(0)
	s_barrier
	buffer_gl0_inv
	ds_read_b128 v[14:17], v11
	ds_read2_b32 v[30:31], v10 offset1:16
	ds_read_b128 v[18:21], v11 offset:512
	ds_read2_b32 v[32:33], v10 offset0:32 offset1:48
	ds_read2_b32 v[34:35], v10 offset0:64 offset1:80
	ds_read_b128 v[22:25], v11 offset:16
	ds_read2_b32 v[36:37], v10 offset0:96 offset1:112
	ds_read2_b32 v[38:39], v10 offset0:128 offset1:144
	;; [unrolled: 3-line block ×3, first 2 shown]
	ds_read2_b32 v[44:45], v10 offset0:224 offset1:240
	s_waitcnt lgkmcnt(0)
	s_barrier
	buffer_gl0_inv
	v_fmac_f32_e32 v9, v30, v14
	v_fmac_f32_e32 v8, v31, v14
	;; [unrolled: 1-line block ×32, first 2 shown]
	s_cbranch_vccnz .LBB431_2
.LBB431_3:
	s_clause 0x3
	s_load_dwordx4 s[0:3], s[4:5], 0x78
	s_load_dword s9, s[4:5], 0x50
	s_load_dwordx8 s[12:19], s[4:5], 0x58
	s_load_dword s4, s[4:5], 0x18
	v_add_co_u32 v10, s5, s10, v1
	v_add_co_ci_u32_e64 v11, null, s11, 0, s5
	v_add_co_u32 v0, s6, s6, v0
	v_add_co_ci_u32_e64 v1, null, s7, 0, s6
	s_waitcnt lgkmcnt(0)
	s_mul_i32 s3, s3, s8
	s_mul_hi_u32 s5, s2, s8
	s_mul_i32 s2, s2, s8
	s_add_i32 s3, s5, s3
	v_cmp_neq_f32_e64 s5, s9, 0
	s_lshl_b64 s[2:3], s[2:3], 1
	s_add_u32 s2, s18, s2
	s_addc_u32 s3, s19, s3
	s_and_b32 vcc_lo, exec_lo, s5
	s_cbranch_vccnz .LBB431_52
; %bb.4:
	v_mul_f32_e32 v2, s4, v9
	s_mov_b32 s5, exec_lo
                                        ; implicit-def: $vgpr14
	v_and_b32_e32 v3, 0x7f800000, v2
	v_cmpx_ne_u32_e32 0x7f800000, v3
	s_xor_b32 s5, exec_lo, s5
; %bb.5:
	v_bfe_u32 v3, v2, 16, 1
	v_add3_u32 v14, v2, v3, 0x7fff
                                        ; implicit-def: $vgpr2
; %bb.6:
	s_andn2_saveexec_b32 s5, s5
; %bb.7:
	v_mov_b32_e32 v3, 0
	v_or_b32_e32 v4, 0x10000, v2
	v_cmp_eq_u32_sdwa vcc_lo, v2, v3 src0_sel:WORD_0 src1_sel:DWORD
	v_cndmask_b32_e32 v14, v4, v2, vcc_lo
; %bb.8:
	s_or_b32 exec_lo, exec_lo, s5
	v_mul_lo_u32 v4, v11, s0
	v_mul_lo_u32 v5, v10, s1
	v_mad_u64_u32 v[2:3], null, v10, s0, 0
	v_mul_f32_e32 v15, s4, v8
	v_and_b32_e32 v16, 0x7f800000, v15
	v_add3_u32 v3, v3, v5, v4
	v_lshlrev_b64 v[4:5], 1, v[2:3]
	v_lshlrev_b64 v[2:3], 1, v[0:1]
	v_add_co_u32 v12, vcc_lo, s2, v4
	v_add_co_ci_u32_e64 v13, null, s3, v5, vcc_lo
	v_add_co_u32 v4, vcc_lo, v12, v2
	v_add_co_ci_u32_e64 v5, null, v13, v3, vcc_lo
	v_cmp_ne_u32_e32 vcc_lo, 0x7f800000, v16
                                        ; implicit-def: $vgpr16
	global_store_short_d16_hi v[4:5], v14, off
	s_and_saveexec_b32 s5, vcc_lo
	s_xor_b32 s5, exec_lo, s5
; %bb.9:
	v_bfe_u32 v14, v15, 16, 1
	v_add3_u32 v16, v15, v14, 0x7fff
                                        ; implicit-def: $vgpr15
; %bb.10:
	s_andn2_saveexec_b32 s5, s5
; %bb.11:
	v_mov_b32_e32 v14, 0
	v_or_b32_e32 v16, 0x10000, v15
	v_cmp_eq_u32_sdwa vcc_lo, v15, v14 src0_sel:WORD_0 src1_sel:DWORD
	v_cndmask_b32_e32 v16, v16, v15, vcc_lo
; %bb.12:
	s_or_b32 exec_lo, exec_lo, s5
	v_mul_f32_e32 v14, s4, v7
	s_mov_b32 s5, exec_lo
	global_store_short_d16_hi v[4:5], v16, off offset:32
                                        ; implicit-def: $vgpr4
	v_and_b32_e32 v15, 0x7f800000, v14
	v_cmpx_ne_u32_e32 0x7f800000, v15
	s_xor_b32 s5, exec_lo, s5
; %bb.13:
	v_bfe_u32 v4, v14, 16, 1
	v_add3_u32 v4, v14, v4, 0x7fff
                                        ; implicit-def: $vgpr14
; %bb.14:
	s_andn2_saveexec_b32 s5, s5
; %bb.15:
	v_mov_b32_e32 v4, 0
	v_or_b32_e32 v5, 0x10000, v14
	v_cmp_eq_u32_sdwa vcc_lo, v14, v4 src0_sel:WORD_0 src1_sel:DWORD
	v_cndmask_b32_e32 v4, v5, v14, vcc_lo
; %bb.16:
	s_or_b32 exec_lo, exec_lo, s5
	s_lshl_b64 s[6:7], s[0:1], 5
	v_mul_f32_e32 v5, s4, v6
	v_add_co_u32 v12, vcc_lo, v12, s6
	v_add_co_ci_u32_e64 v13, null, s7, v13, vcc_lo
	v_and_b32_e32 v14, 0x7f800000, v5
	v_add_co_u32 v2, vcc_lo, v12, v2
	v_add_co_ci_u32_e64 v3, null, v13, v3, vcc_lo
	s_mov_b32 s5, exec_lo
	global_store_short_d16_hi v[2:3], v4, off
                                        ; implicit-def: $vgpr4
	v_cmpx_ne_u32_e32 0x7f800000, v14
	s_xor_b32 s5, exec_lo, s5
; %bb.17:
	v_bfe_u32 v4, v5, 16, 1
	v_add3_u32 v4, v5, v4, 0x7fff
                                        ; implicit-def: $vgpr5
; %bb.18:
	s_andn2_saveexec_b32 s5, s5
; %bb.19:
	v_mov_b32_e32 v4, 0
	v_or_b32_e32 v12, 0x10000, v5
	v_cmp_eq_u32_sdwa vcc_lo, v5, v4 src0_sel:WORD_0 src1_sel:DWORD
	v_cndmask_b32_e32 v4, v12, v5, vcc_lo
; %bb.20:
	s_or_b32 exec_lo, exec_lo, s5
	global_store_short_d16_hi v[2:3], v4, off offset:32
	s_branch .LBB431_53
.LBB431_21:
	v_mul_lo_u32 v4, v11, s14
	v_mul_lo_u32 v5, v10, s15
	v_mad_u64_u32 v[2:3], null, v10, s14, 0
	s_mul_i32 s5, s17, s8
	s_mul_hi_u32 s7, s16, s8
	s_mul_i32 s6, s16, s8
	s_add_i32 s7, s7, s5
	v_lshlrev_b64 v[0:1], 1, v[0:1]
	s_lshl_b64 s[6:7], s[6:7], 1
	v_add3_u32 v3, v3, v5, v4
	s_add_u32 s5, s12, s6
	s_addc_u32 s6, s13, s7
	v_lshlrev_b64 v[2:3], 1, v[2:3]
	v_add_co_u32 v12, vcc_lo, s5, v2
	v_add_co_ci_u32_e64 v13, null, s6, v3, vcc_lo
	v_add_co_u32 v2, vcc_lo, v12, v0
	v_add_co_ci_u32_e64 v3, null, v13, v1, vcc_lo
	global_load_ushort v4, v[2:3], off
	s_waitcnt vmcnt(0)
	v_lshlrev_b32_e32 v4, 16, v4
	v_mul_f32_e32 v4, s9, v4
	v_and_b32_e32 v5, 0x7f800000, v4
	v_cmp_ne_u32_e32 vcc_lo, 0x7f800000, v5
                                        ; implicit-def: $vgpr5
	s_and_saveexec_b32 s5, vcc_lo
	s_xor_b32 s5, exec_lo, s5
; %bb.22:
	v_bfe_u32 v5, v4, 16, 1
	v_add3_u32 v5, v4, v5, 0x7fff
                                        ; implicit-def: $vgpr4
; %bb.23:
	s_andn2_saveexec_b32 s5, s5
; %bb.24:
	v_mov_b32_e32 v5, 0
	v_or_b32_e32 v14, 0x10000, v4
	v_cmp_eq_u32_sdwa vcc_lo, v4, v5 src0_sel:WORD_0 src1_sel:DWORD
	v_cndmask_b32_e32 v5, v14, v4, vcc_lo
; %bb.25:
	s_or_b32 exec_lo, exec_lo, s5
	v_and_b32_e32 v4, 0xffff0000, v5
	s_mov_b32 s5, exec_lo
                                        ; implicit-def: $vgpr14
	v_fmac_f32_e32 v4, s4, v9
	v_and_b32_e32 v5, 0x7f800000, v4
	v_cmpx_ne_u32_e32 0x7f800000, v5
	s_xor_b32 s5, exec_lo, s5
; %bb.26:
	v_bfe_u32 v5, v4, 16, 1
	v_add3_u32 v14, v4, v5, 0x7fff
                                        ; implicit-def: $vgpr4
; %bb.27:
	s_andn2_saveexec_b32 s5, s5
; %bb.28:
	v_mov_b32_e32 v5, 0
	v_or_b32_e32 v9, 0x10000, v4
	v_cmp_eq_u32_sdwa vcc_lo, v4, v5 src0_sel:WORD_0 src1_sel:DWORD
	v_cndmask_b32_e32 v14, v9, v4, vcc_lo
; %bb.29:
	s_or_b32 exec_lo, exec_lo, s5
	v_mul_lo_u32 v9, v11, s0
	v_mul_lo_u32 v11, v10, s1
	v_mad_u64_u32 v[4:5], null, v10, s0, 0
	v_add3_u32 v5, v5, v11, v9
	v_lshlrev_b64 v[4:5], 1, v[4:5]
	v_add_co_u32 v9, vcc_lo, s2, v4
	v_add_co_ci_u32_e64 v10, null, s3, v5, vcc_lo
	v_add_co_u32 v4, vcc_lo, v9, v0
	v_add_co_ci_u32_e64 v5, null, v10, v1, vcc_lo
	global_store_short_d16_hi v[4:5], v14, off
	global_load_ushort v2, v[2:3], off offset:32
	s_waitcnt vmcnt(0)
	v_lshlrev_b32_e32 v2, 16, v2
	v_mul_f32_e32 v2, s9, v2
	v_and_b32_e32 v3, 0x7f800000, v2
	v_cmp_ne_u32_e32 vcc_lo, 0x7f800000, v3
                                        ; implicit-def: $vgpr3
	s_and_saveexec_b32 s2, vcc_lo
	s_xor_b32 s2, exec_lo, s2
; %bb.30:
	v_bfe_u32 v3, v2, 16, 1
	v_add3_u32 v3, v2, v3, 0x7fff
                                        ; implicit-def: $vgpr2
; %bb.31:
	s_andn2_saveexec_b32 s2, s2
; %bb.32:
	v_mov_b32_e32 v3, 0
	v_or_b32_e32 v11, 0x10000, v2
	v_cmp_eq_u32_sdwa vcc_lo, v2, v3 src0_sel:WORD_0 src1_sel:DWORD
	v_cndmask_b32_e32 v3, v11, v2, vcc_lo
; %bb.33:
	s_or_b32 exec_lo, exec_lo, s2
	v_and_b32_e32 v2, 0xffff0000, v3
	s_mov_b32 s2, exec_lo
	v_fmac_f32_e32 v2, s4, v8
                                        ; implicit-def: $vgpr8
	v_and_b32_e32 v3, 0x7f800000, v2
	v_cmpx_ne_u32_e32 0x7f800000, v3
	s_xor_b32 s2, exec_lo, s2
; %bb.34:
	v_bfe_u32 v3, v2, 16, 1
	v_add3_u32 v8, v2, v3, 0x7fff
                                        ; implicit-def: $vgpr2
; %bb.35:
	s_andn2_saveexec_b32 s2, s2
; %bb.36:
	v_mov_b32_e32 v3, 0
	v_or_b32_e32 v8, 0x10000, v2
	v_cmp_eq_u32_sdwa vcc_lo, v2, v3 src0_sel:WORD_0 src1_sel:DWORD
	v_cndmask_b32_e32 v8, v8, v2, vcc_lo
; %bb.37:
	s_or_b32 exec_lo, exec_lo, s2
	s_lshl_b64 s[2:3], s[14:15], 5
	global_store_short_d16_hi v[4:5], v8, off offset:32
	v_add_co_u32 v2, vcc_lo, v12, s2
	v_add_co_ci_u32_e64 v3, null, s3, v13, vcc_lo
	v_add_co_u32 v2, vcc_lo, v2, v0
	v_add_co_ci_u32_e64 v3, null, v3, v1, vcc_lo
	global_load_ushort v4, v[2:3], off
	s_waitcnt vmcnt(0)
	v_lshlrev_b32_e32 v4, 16, v4
	v_mul_f32_e32 v4, s9, v4
	v_and_b32_e32 v5, 0x7f800000, v4
	v_cmp_ne_u32_e32 vcc_lo, 0x7f800000, v5
                                        ; implicit-def: $vgpr5
	s_and_saveexec_b32 s2, vcc_lo
	s_xor_b32 s2, exec_lo, s2
; %bb.38:
	v_bfe_u32 v5, v4, 16, 1
	v_add3_u32 v5, v4, v5, 0x7fff
                                        ; implicit-def: $vgpr4
; %bb.39:
	s_andn2_saveexec_b32 s2, s2
; %bb.40:
	v_mov_b32_e32 v5, 0
	v_or_b32_e32 v8, 0x10000, v4
	v_cmp_eq_u32_sdwa vcc_lo, v4, v5 src0_sel:WORD_0 src1_sel:DWORD
	v_cndmask_b32_e32 v5, v8, v4, vcc_lo
; %bb.41:
	s_or_b32 exec_lo, exec_lo, s2
	v_and_b32_e32 v5, 0xffff0000, v5
	v_fmac_f32_e32 v5, s4, v7
	v_and_b32_e32 v4, 0x7f800000, v5
	v_cmp_ne_u32_e32 vcc_lo, 0x7f800000, v4
                                        ; implicit-def: $vgpr4
	s_and_saveexec_b32 s2, vcc_lo
	s_xor_b32 s2, exec_lo, s2
; %bb.42:
	v_bfe_u32 v4, v5, 16, 1
	v_add3_u32 v4, v5, v4, 0x7fff
                                        ; implicit-def: $vgpr5
; %bb.43:
	s_andn2_saveexec_b32 s2, s2
; %bb.44:
	v_mov_b32_e32 v4, 0
	v_or_b32_e32 v7, 0x10000, v5
	v_cmp_eq_u32_sdwa vcc_lo, v5, v4 src0_sel:WORD_0 src1_sel:DWORD
	v_cndmask_b32_e32 v4, v7, v5, vcc_lo
; %bb.45:
	s_or_b32 exec_lo, exec_lo, s2
	s_lshl_b64 s[0:1], s[0:1], 5
	v_add_co_u32 v5, vcc_lo, v9, s0
	v_add_co_ci_u32_e64 v7, null, s1, v10, vcc_lo
	v_add_co_u32 v0, vcc_lo, v5, v0
	v_add_co_ci_u32_e64 v1, null, v7, v1, vcc_lo
	global_store_short_d16_hi v[0:1], v4, off
	global_load_ushort v2, v[2:3], off offset:32
	s_waitcnt vmcnt(0)
	v_lshlrev_b32_e32 v2, 16, v2
	v_mul_f32_e32 v2, s9, v2
	v_and_b32_e32 v3, 0x7f800000, v2
	v_cmp_ne_u32_e32 vcc_lo, 0x7f800000, v3
                                        ; implicit-def: $vgpr3
	s_and_saveexec_b32 s0, vcc_lo
	s_xor_b32 s0, exec_lo, s0
; %bb.46:
	v_bfe_u32 v3, v2, 16, 1
	v_add3_u32 v3, v2, v3, 0x7fff
                                        ; implicit-def: $vgpr2
; %bb.47:
	s_andn2_saveexec_b32 s0, s0
; %bb.48:
	v_mov_b32_e32 v3, 0
	v_or_b32_e32 v4, 0x10000, v2
	v_cmp_eq_u32_sdwa vcc_lo, v2, v3 src0_sel:WORD_0 src1_sel:DWORD
	v_cndmask_b32_e32 v3, v4, v2, vcc_lo
; %bb.49:
	s_or_b32 exec_lo, exec_lo, s0
	v_and_b32_e32 v2, 0xffff0000, v3
	v_fmac_f32_e32 v2, s4, v6
	v_and_b32_e32 v3, 0x7f800000, v2
	v_cmp_ne_u32_e32 vcc_lo, 0x7f800000, v3
                                        ; implicit-def: $vgpr3
	s_and_saveexec_b32 s0, vcc_lo
	s_xor_b32 s0, exec_lo, s0
	s_cbranch_execnz .LBB431_54
; %bb.50:
	s_andn2_saveexec_b32 s0, s0
	s_cbranch_execnz .LBB431_55
.LBB431_51:
	s_or_b32 exec_lo, exec_lo, s0
	global_store_short_d16_hi v[0:1], v3, off offset:32
	s_endpgm
.LBB431_52:
	s_cbranch_execnz .LBB431_21
.LBB431_53:
	s_endpgm
.LBB431_54:
	v_bfe_u32 v3, v2, 16, 1
	v_add3_u32 v3, v2, v3, 0x7fff
                                        ; implicit-def: $vgpr2
	s_andn2_saveexec_b32 s0, s0
	s_cbranch_execz .LBB431_51
.LBB431_55:
	v_mov_b32_e32 v3, 0
	v_or_b32_e32 v4, 0x10000, v2
	v_cmp_eq_u32_sdwa vcc_lo, v2, v3 src0_sel:WORD_0 src1_sel:DWORD
	v_cndmask_b32_e32 v3, v4, v2, vcc_lo
	s_or_b32 exec_lo, exec_lo, s0
	global_store_short_d16_hi v[0:1], v3, off offset:32
	s_endpgm
	.section	.rodata,"a",@progbits
	.p2align	6, 0x0
	.amdhsa_kernel _ZN12_GLOBAL__N_127rocblas_gemm_batched_kernelIfLi16ELi16ELi32ELi32ELi8ELi32ELi8ELi8ELi32ELc67ELc67EK16rocblas_bfloat16S2_S1_EEvlllT_PT11_llS5_llS3_PT12_llPT13_lli
		.amdhsa_group_segment_fixed_size 2048
		.amdhsa_private_segment_fixed_size 0
		.amdhsa_kernarg_size 140
		.amdhsa_user_sgpr_count 6
		.amdhsa_user_sgpr_private_segment_buffer 1
		.amdhsa_user_sgpr_dispatch_ptr 0
		.amdhsa_user_sgpr_queue_ptr 0
		.amdhsa_user_sgpr_kernarg_segment_ptr 1
		.amdhsa_user_sgpr_dispatch_id 0
		.amdhsa_user_sgpr_flat_scratch_init 0
		.amdhsa_user_sgpr_private_segment_size 0
		.amdhsa_wavefront_size32 1
		.amdhsa_uses_dynamic_stack 0
		.amdhsa_system_sgpr_private_segment_wavefront_offset 0
		.amdhsa_system_sgpr_workgroup_id_x 1
		.amdhsa_system_sgpr_workgroup_id_y 1
		.amdhsa_system_sgpr_workgroup_id_z 1
		.amdhsa_system_sgpr_workgroup_info 0
		.amdhsa_system_vgpr_workitem_id 1
		.amdhsa_next_free_vgpr 46
		.amdhsa_next_free_sgpr 22
		.amdhsa_reserve_vcc 1
		.amdhsa_reserve_flat_scratch 0
		.amdhsa_float_round_mode_32 0
		.amdhsa_float_round_mode_16_64 0
		.amdhsa_float_denorm_mode_32 3
		.amdhsa_float_denorm_mode_16_64 3
		.amdhsa_dx10_clamp 1
		.amdhsa_ieee_mode 1
		.amdhsa_fp16_overflow 0
		.amdhsa_workgroup_processor_mode 1
		.amdhsa_memory_ordered 1
		.amdhsa_forward_progress 1
		.amdhsa_shared_vgpr_count 0
		.amdhsa_exception_fp_ieee_invalid_op 0
		.amdhsa_exception_fp_denorm_src 0
		.amdhsa_exception_fp_ieee_div_zero 0
		.amdhsa_exception_fp_ieee_overflow 0
		.amdhsa_exception_fp_ieee_underflow 0
		.amdhsa_exception_fp_ieee_inexact 0
		.amdhsa_exception_int_div_zero 0
	.end_amdhsa_kernel
	.section	.text._ZN12_GLOBAL__N_127rocblas_gemm_batched_kernelIfLi16ELi16ELi32ELi32ELi8ELi32ELi8ELi8ELi32ELc67ELc67EK16rocblas_bfloat16S2_S1_EEvlllT_PT11_llS5_llS3_PT12_llPT13_lli,"axG",@progbits,_ZN12_GLOBAL__N_127rocblas_gemm_batched_kernelIfLi16ELi16ELi32ELi32ELi8ELi32ELi8ELi8ELi32ELc67ELc67EK16rocblas_bfloat16S2_S1_EEvlllT_PT11_llS5_llS3_PT12_llPT13_lli,comdat
.Lfunc_end431:
	.size	_ZN12_GLOBAL__N_127rocblas_gemm_batched_kernelIfLi16ELi16ELi32ELi32ELi8ELi32ELi8ELi8ELi32ELc67ELc67EK16rocblas_bfloat16S2_S1_EEvlllT_PT11_llS5_llS3_PT12_llPT13_lli, .Lfunc_end431-_ZN12_GLOBAL__N_127rocblas_gemm_batched_kernelIfLi16ELi16ELi32ELi32ELi8ELi32ELi8ELi8ELi32ELc67ELc67EK16rocblas_bfloat16S2_S1_EEvlllT_PT11_llS5_llS3_PT12_llPT13_lli
                                        ; -- End function
	.set _ZN12_GLOBAL__N_127rocblas_gemm_batched_kernelIfLi16ELi16ELi32ELi32ELi8ELi32ELi8ELi8ELi32ELc67ELc67EK16rocblas_bfloat16S2_S1_EEvlllT_PT11_llS5_llS3_PT12_llPT13_lli.num_vgpr, 46
	.set _ZN12_GLOBAL__N_127rocblas_gemm_batched_kernelIfLi16ELi16ELi32ELi32ELi8ELi32ELi8ELi8ELi32ELc67ELc67EK16rocblas_bfloat16S2_S1_EEvlllT_PT11_llS5_llS3_PT12_llPT13_lli.num_agpr, 0
	.set _ZN12_GLOBAL__N_127rocblas_gemm_batched_kernelIfLi16ELi16ELi32ELi32ELi8ELi32ELi8ELi8ELi32ELc67ELc67EK16rocblas_bfloat16S2_S1_EEvlllT_PT11_llS5_llS3_PT12_llPT13_lli.numbered_sgpr, 22
	.set _ZN12_GLOBAL__N_127rocblas_gemm_batched_kernelIfLi16ELi16ELi32ELi32ELi8ELi32ELi8ELi8ELi32ELc67ELc67EK16rocblas_bfloat16S2_S1_EEvlllT_PT11_llS5_llS3_PT12_llPT13_lli.num_named_barrier, 0
	.set _ZN12_GLOBAL__N_127rocblas_gemm_batched_kernelIfLi16ELi16ELi32ELi32ELi8ELi32ELi8ELi8ELi32ELc67ELc67EK16rocblas_bfloat16S2_S1_EEvlllT_PT11_llS5_llS3_PT12_llPT13_lli.private_seg_size, 0
	.set _ZN12_GLOBAL__N_127rocblas_gemm_batched_kernelIfLi16ELi16ELi32ELi32ELi8ELi32ELi8ELi8ELi32ELc67ELc67EK16rocblas_bfloat16S2_S1_EEvlllT_PT11_llS5_llS3_PT12_llPT13_lli.uses_vcc, 1
	.set _ZN12_GLOBAL__N_127rocblas_gemm_batched_kernelIfLi16ELi16ELi32ELi32ELi8ELi32ELi8ELi8ELi32ELc67ELc67EK16rocblas_bfloat16S2_S1_EEvlllT_PT11_llS5_llS3_PT12_llPT13_lli.uses_flat_scratch, 0
	.set _ZN12_GLOBAL__N_127rocblas_gemm_batched_kernelIfLi16ELi16ELi32ELi32ELi8ELi32ELi8ELi8ELi32ELc67ELc67EK16rocblas_bfloat16S2_S1_EEvlllT_PT11_llS5_llS3_PT12_llPT13_lli.has_dyn_sized_stack, 0
	.set _ZN12_GLOBAL__N_127rocblas_gemm_batched_kernelIfLi16ELi16ELi32ELi32ELi8ELi32ELi8ELi8ELi32ELc67ELc67EK16rocblas_bfloat16S2_S1_EEvlllT_PT11_llS5_llS3_PT12_llPT13_lli.has_recursion, 0
	.set _ZN12_GLOBAL__N_127rocblas_gemm_batched_kernelIfLi16ELi16ELi32ELi32ELi8ELi32ELi8ELi8ELi32ELc67ELc67EK16rocblas_bfloat16S2_S1_EEvlllT_PT11_llS5_llS3_PT12_llPT13_lli.has_indirect_call, 0
	.section	.AMDGPU.csdata,"",@progbits
; Kernel info:
; codeLenInByte = 2412
; TotalNumSgprs: 24
; NumVgprs: 46
; ScratchSize: 0
; MemoryBound: 0
; FloatMode: 240
; IeeeMode: 1
; LDSByteSize: 2048 bytes/workgroup (compile time only)
; SGPRBlocks: 0
; VGPRBlocks: 5
; NumSGPRsForWavesPerEU: 24
; NumVGPRsForWavesPerEU: 46
; Occupancy: 16
; WaveLimiterHint : 0
; COMPUTE_PGM_RSRC2:SCRATCH_EN: 0
; COMPUTE_PGM_RSRC2:USER_SGPR: 6
; COMPUTE_PGM_RSRC2:TRAP_HANDLER: 0
; COMPUTE_PGM_RSRC2:TGID_X_EN: 1
; COMPUTE_PGM_RSRC2:TGID_Y_EN: 1
; COMPUTE_PGM_RSRC2:TGID_Z_EN: 1
; COMPUTE_PGM_RSRC2:TIDIG_COMP_CNT: 1
	.section	.text._ZN12_GLOBAL__N_127rocblas_gemm_batched_kernelIfLi16ELi16ELi32ELi32ELi8ELi32ELi8ELi8ELi32ELc67ELc78EK16rocblas_bfloat16S2_S1_EEvlllT_PT11_llS5_llS3_PT12_llPT13_lli,"axG",@progbits,_ZN12_GLOBAL__N_127rocblas_gemm_batched_kernelIfLi16ELi16ELi32ELi32ELi8ELi32ELi8ELi8ELi32ELc67ELc78EK16rocblas_bfloat16S2_S1_EEvlllT_PT11_llS5_llS3_PT12_llPT13_lli,comdat
	.globl	_ZN12_GLOBAL__N_127rocblas_gemm_batched_kernelIfLi16ELi16ELi32ELi32ELi8ELi32ELi8ELi8ELi32ELc67ELc78EK16rocblas_bfloat16S2_S1_EEvlllT_PT11_llS5_llS3_PT12_llPT13_lli ; -- Begin function _ZN12_GLOBAL__N_127rocblas_gemm_batched_kernelIfLi16ELi16ELi32ELi32ELi8ELi32ELi8ELi8ELi32ELc67ELc78EK16rocblas_bfloat16S2_S1_EEvlllT_PT11_llS5_llS3_PT12_llPT13_lli
	.p2align	8
	.type	_ZN12_GLOBAL__N_127rocblas_gemm_batched_kernelIfLi16ELi16ELi32ELi32ELi8ELi32ELi8ELi8ELi32ELc67ELc78EK16rocblas_bfloat16S2_S1_EEvlllT_PT11_llS5_llS3_PT12_llPT13_lli,@function
_ZN12_GLOBAL__N_127rocblas_gemm_batched_kernelIfLi16ELi16ELi32ELi32ELi8ELi32ELi8ELi8ELi32ELc67ELc78EK16rocblas_bfloat16S2_S1_EEvlllT_PT11_llS5_llS3_PT12_llPT13_lli: ; @_ZN12_GLOBAL__N_127rocblas_gemm_batched_kernelIfLi16ELi16ELi32ELi32ELi8ELi32ELi8ELi8ELi32ELc67ELc78EK16rocblas_bfloat16S2_S1_EEvlllT_PT11_llS5_llS3_PT12_llPT13_lli
; %bb.0:
	s_load_dwordx2 s[20:21], s[4:5], 0x10
	s_mov_b32 s0, s7
	v_mov_b32_e32 v9, 0
	v_mov_b32_e32 v8, 0
	;; [unrolled: 1-line block ×4, first 2 shown]
	s_ashr_i32 s7, s6, 31
	s_ashr_i32 s1, s0, 31
	s_lshl_b64 s[6:7], s[6:7], 5
	s_lshl_b64 s[10:11], s[0:1], 5
	s_waitcnt lgkmcnt(0)
	v_cmp_lt_i64_e64 s2, s[20:21], 1
	s_and_b32 vcc_lo, exec_lo, s2
	s_cbranch_vccnz .LBB432_3
; %bb.1:
	s_load_dwordx8 s[12:19], s[4:5], 0x20
	v_lshl_add_u32 v2, v1, 4, v0
	s_load_dwordx4 s[0:3], s[4:5], 0x40
	v_and_b32_e32 v7, 7, v0
	v_mov_b32_e32 v6, 0
	v_lshlrev_b32_e32 v10, 2, v0
	v_and_b32_e32 v3, 31, v2
	v_lshrrev_b32_e32 v4, 3, v2
	v_lshlrev_b32_e32 v5, 2, v7
	v_lshrrev_b32_e32 v14, 5, v2
	v_add_co_u32 v8, s9, s6, v3
	v_add_co_ci_u32_e64 v9, null, s7, 0, s9
	v_lshlrev_b32_e32 v11, 2, v3
	v_lshl_or_b32 v5, v4, 5, v5
	v_add_co_u32 v4, s9, v4, s10
	v_lshl_or_b32 v11, v14, 7, v11
	s_waitcnt lgkmcnt(0)
	v_mul_lo_u32 v13, s15, v8
	v_mul_lo_u32 v9, s14, v9
	v_mad_u64_u32 v[2:3], null, s14, v8, 0
	v_add_co_ci_u32_e64 v8, null, 0, s11, s9
	v_add_nc_u32_e32 v12, 0x400, v5
	v_mul_lo_u32 v15, s1, v4
	v_mad_u64_u32 v[4:5], null, s0, v4, 0
	v_mul_lo_u32 v8, s0, v8
	v_add3_u32 v3, v3, v9, v13
	s_mul_i32 s0, s17, s8
	s_mul_hi_u32 s1, s16, s8
	v_lshl_add_u32 v13, v1, 5, 0x400
	s_add_i32 s1, s1, s0
	v_lshlrev_b64 v[2:3], 1, v[2:3]
	s_mul_i32 s0, s16, s8
	v_add3_u32 v5, v5, v8, v15
	s_lshl_b64 s[0:1], s[0:1], 1
	v_add_co_u32 v8, vcc_lo, v2, s0
	v_add_co_ci_u32_e64 v9, null, s1, v3, vcc_lo
	s_mul_i32 s0, s3, s8
	s_mul_hi_u32 s1, s2, s8
	v_lshlrev_b64 v[2:3], 1, v[4:5]
	s_add_i32 s1, s1, s0
	s_mul_i32 s0, s2, s8
	v_lshlrev_b32_e32 v4, 1, v14
	s_lshl_b64 s[0:1], s[0:1], 1
	v_lshlrev_b32_e32 v5, 1, v7
	v_add_co_u32 v2, vcc_lo, v2, s0
	v_add_co_ci_u32_e64 v3, null, s1, v3, vcc_lo
	v_add_co_u32 v4, vcc_lo, v8, v4
	v_add_co_ci_u32_e64 v7, null, 0, v9, vcc_lo
	;; [unrolled: 2-line block ×5, first 2 shown]
	v_mov_b32_e32 v7, 0
	v_mov_b32_e32 v8, 0
	;; [unrolled: 1-line block ×3, first 2 shown]
	s_mov_b64 s[0:1], 0
.LBB432_2:                              ; =>This Inner Loop Header: Depth=1
	global_load_ushort v14, v[2:3], off
	global_load_ushort v15, v[4:5], off
	s_add_u32 s0, s0, 8
	s_addc_u32 s1, s1, 0
	v_add_co_u32 v2, vcc_lo, v2, 16
	v_cmp_lt_i64_e64 s2, s[0:1], s[20:21]
	v_add_co_ci_u32_e64 v3, null, 0, v3, vcc_lo
	v_add_co_u32 v4, vcc_lo, v4, 16
	v_add_co_ci_u32_e64 v5, null, 0, v5, vcc_lo
	s_and_b32 vcc_lo, exec_lo, s2
	s_waitcnt vmcnt(1)
	v_lshlrev_b32_e32 v14, 16, v14
	s_waitcnt vmcnt(0)
	v_lshlrev_b32_e32 v15, 16, v15
	ds_write_b32 v11, v14
	ds_write_b32 v12, v15
	s_waitcnt lgkmcnt(0)
	s_barrier
	buffer_gl0_inv
	ds_read_b128 v[14:17], v13
	ds_read2_b32 v[30:31], v10 offset1:16
	ds_read_b128 v[18:21], v13 offset:512
	ds_read2_b32 v[32:33], v10 offset0:32 offset1:48
	ds_read2_b32 v[34:35], v10 offset0:64 offset1:80
	ds_read_b128 v[22:25], v13 offset:16
	ds_read2_b32 v[36:37], v10 offset0:96 offset1:112
	ds_read2_b32 v[38:39], v10 offset0:128 offset1:144
	;; [unrolled: 3-line block ×3, first 2 shown]
	ds_read2_b32 v[44:45], v10 offset0:224 offset1:240
	s_waitcnt lgkmcnt(0)
	s_barrier
	buffer_gl0_inv
	v_fmac_f32_e32 v9, v30, v14
	v_fmac_f32_e32 v8, v31, v14
	;; [unrolled: 1-line block ×32, first 2 shown]
	s_cbranch_vccnz .LBB432_2
.LBB432_3:
	s_clause 0x3
	s_load_dwordx4 s[0:3], s[4:5], 0x78
	s_load_dword s9, s[4:5], 0x50
	s_load_dwordx8 s[12:19], s[4:5], 0x58
	s_load_dword s4, s[4:5], 0x18
	v_add_co_u32 v10, s5, s10, v1
	v_add_co_ci_u32_e64 v11, null, s11, 0, s5
	v_add_co_u32 v0, s6, s6, v0
	v_add_co_ci_u32_e64 v1, null, s7, 0, s6
	s_waitcnt lgkmcnt(0)
	s_mul_i32 s3, s3, s8
	s_mul_hi_u32 s5, s2, s8
	s_mul_i32 s2, s2, s8
	s_add_i32 s3, s5, s3
	v_cmp_neq_f32_e64 s5, s9, 0
	s_lshl_b64 s[2:3], s[2:3], 1
	s_add_u32 s2, s18, s2
	s_addc_u32 s3, s19, s3
	s_and_b32 vcc_lo, exec_lo, s5
	s_cbranch_vccnz .LBB432_52
; %bb.4:
	v_mul_f32_e32 v2, s4, v9
	s_mov_b32 s5, exec_lo
                                        ; implicit-def: $vgpr14
	v_and_b32_e32 v3, 0x7f800000, v2
	v_cmpx_ne_u32_e32 0x7f800000, v3
	s_xor_b32 s5, exec_lo, s5
; %bb.5:
	v_bfe_u32 v3, v2, 16, 1
	v_add3_u32 v14, v2, v3, 0x7fff
                                        ; implicit-def: $vgpr2
; %bb.6:
	s_andn2_saveexec_b32 s5, s5
; %bb.7:
	v_mov_b32_e32 v3, 0
	v_or_b32_e32 v4, 0x10000, v2
	v_cmp_eq_u32_sdwa vcc_lo, v2, v3 src0_sel:WORD_0 src1_sel:DWORD
	v_cndmask_b32_e32 v14, v4, v2, vcc_lo
; %bb.8:
	s_or_b32 exec_lo, exec_lo, s5
	v_mul_lo_u32 v4, v11, s0
	v_mul_lo_u32 v5, v10, s1
	v_mad_u64_u32 v[2:3], null, v10, s0, 0
	v_mul_f32_e32 v15, s4, v8
	v_and_b32_e32 v16, 0x7f800000, v15
	v_add3_u32 v3, v3, v5, v4
	v_lshlrev_b64 v[4:5], 1, v[2:3]
	v_lshlrev_b64 v[2:3], 1, v[0:1]
	v_add_co_u32 v12, vcc_lo, s2, v4
	v_add_co_ci_u32_e64 v13, null, s3, v5, vcc_lo
	v_add_co_u32 v4, vcc_lo, v12, v2
	v_add_co_ci_u32_e64 v5, null, v13, v3, vcc_lo
	v_cmp_ne_u32_e32 vcc_lo, 0x7f800000, v16
                                        ; implicit-def: $vgpr16
	global_store_short_d16_hi v[4:5], v14, off
	s_and_saveexec_b32 s5, vcc_lo
	s_xor_b32 s5, exec_lo, s5
; %bb.9:
	v_bfe_u32 v14, v15, 16, 1
	v_add3_u32 v16, v15, v14, 0x7fff
                                        ; implicit-def: $vgpr15
; %bb.10:
	s_andn2_saveexec_b32 s5, s5
; %bb.11:
	v_mov_b32_e32 v14, 0
	v_or_b32_e32 v16, 0x10000, v15
	v_cmp_eq_u32_sdwa vcc_lo, v15, v14 src0_sel:WORD_0 src1_sel:DWORD
	v_cndmask_b32_e32 v16, v16, v15, vcc_lo
; %bb.12:
	s_or_b32 exec_lo, exec_lo, s5
	v_mul_f32_e32 v14, s4, v7
	s_mov_b32 s5, exec_lo
	global_store_short_d16_hi v[4:5], v16, off offset:32
                                        ; implicit-def: $vgpr4
	v_and_b32_e32 v15, 0x7f800000, v14
	v_cmpx_ne_u32_e32 0x7f800000, v15
	s_xor_b32 s5, exec_lo, s5
; %bb.13:
	v_bfe_u32 v4, v14, 16, 1
	v_add3_u32 v4, v14, v4, 0x7fff
                                        ; implicit-def: $vgpr14
; %bb.14:
	s_andn2_saveexec_b32 s5, s5
; %bb.15:
	v_mov_b32_e32 v4, 0
	v_or_b32_e32 v5, 0x10000, v14
	v_cmp_eq_u32_sdwa vcc_lo, v14, v4 src0_sel:WORD_0 src1_sel:DWORD
	v_cndmask_b32_e32 v4, v5, v14, vcc_lo
; %bb.16:
	s_or_b32 exec_lo, exec_lo, s5
	s_lshl_b64 s[6:7], s[0:1], 5
	v_mul_f32_e32 v5, s4, v6
	v_add_co_u32 v12, vcc_lo, v12, s6
	v_add_co_ci_u32_e64 v13, null, s7, v13, vcc_lo
	v_and_b32_e32 v14, 0x7f800000, v5
	v_add_co_u32 v2, vcc_lo, v12, v2
	v_add_co_ci_u32_e64 v3, null, v13, v3, vcc_lo
	s_mov_b32 s5, exec_lo
	global_store_short_d16_hi v[2:3], v4, off
                                        ; implicit-def: $vgpr4
	v_cmpx_ne_u32_e32 0x7f800000, v14
	s_xor_b32 s5, exec_lo, s5
; %bb.17:
	v_bfe_u32 v4, v5, 16, 1
	v_add3_u32 v4, v5, v4, 0x7fff
                                        ; implicit-def: $vgpr5
; %bb.18:
	s_andn2_saveexec_b32 s5, s5
; %bb.19:
	v_mov_b32_e32 v4, 0
	v_or_b32_e32 v12, 0x10000, v5
	v_cmp_eq_u32_sdwa vcc_lo, v5, v4 src0_sel:WORD_0 src1_sel:DWORD
	v_cndmask_b32_e32 v4, v12, v5, vcc_lo
; %bb.20:
	s_or_b32 exec_lo, exec_lo, s5
	global_store_short_d16_hi v[2:3], v4, off offset:32
	s_branch .LBB432_53
.LBB432_21:
	v_mul_lo_u32 v4, v11, s14
	v_mul_lo_u32 v5, v10, s15
	v_mad_u64_u32 v[2:3], null, v10, s14, 0
	s_mul_i32 s5, s17, s8
	s_mul_hi_u32 s7, s16, s8
	s_mul_i32 s6, s16, s8
	s_add_i32 s7, s7, s5
	v_lshlrev_b64 v[0:1], 1, v[0:1]
	s_lshl_b64 s[6:7], s[6:7], 1
	v_add3_u32 v3, v3, v5, v4
	s_add_u32 s5, s12, s6
	s_addc_u32 s6, s13, s7
	v_lshlrev_b64 v[2:3], 1, v[2:3]
	v_add_co_u32 v12, vcc_lo, s5, v2
	v_add_co_ci_u32_e64 v13, null, s6, v3, vcc_lo
	v_add_co_u32 v2, vcc_lo, v12, v0
	v_add_co_ci_u32_e64 v3, null, v13, v1, vcc_lo
	global_load_ushort v4, v[2:3], off
	s_waitcnt vmcnt(0)
	v_lshlrev_b32_e32 v4, 16, v4
	v_mul_f32_e32 v4, s9, v4
	v_and_b32_e32 v5, 0x7f800000, v4
	v_cmp_ne_u32_e32 vcc_lo, 0x7f800000, v5
                                        ; implicit-def: $vgpr5
	s_and_saveexec_b32 s5, vcc_lo
	s_xor_b32 s5, exec_lo, s5
; %bb.22:
	v_bfe_u32 v5, v4, 16, 1
	v_add3_u32 v5, v4, v5, 0x7fff
                                        ; implicit-def: $vgpr4
; %bb.23:
	s_andn2_saveexec_b32 s5, s5
; %bb.24:
	v_mov_b32_e32 v5, 0
	v_or_b32_e32 v14, 0x10000, v4
	v_cmp_eq_u32_sdwa vcc_lo, v4, v5 src0_sel:WORD_0 src1_sel:DWORD
	v_cndmask_b32_e32 v5, v14, v4, vcc_lo
; %bb.25:
	s_or_b32 exec_lo, exec_lo, s5
	v_and_b32_e32 v4, 0xffff0000, v5
	s_mov_b32 s5, exec_lo
                                        ; implicit-def: $vgpr14
	v_fmac_f32_e32 v4, s4, v9
	v_and_b32_e32 v5, 0x7f800000, v4
	v_cmpx_ne_u32_e32 0x7f800000, v5
	s_xor_b32 s5, exec_lo, s5
; %bb.26:
	v_bfe_u32 v5, v4, 16, 1
	v_add3_u32 v14, v4, v5, 0x7fff
                                        ; implicit-def: $vgpr4
; %bb.27:
	s_andn2_saveexec_b32 s5, s5
; %bb.28:
	v_mov_b32_e32 v5, 0
	v_or_b32_e32 v9, 0x10000, v4
	v_cmp_eq_u32_sdwa vcc_lo, v4, v5 src0_sel:WORD_0 src1_sel:DWORD
	v_cndmask_b32_e32 v14, v9, v4, vcc_lo
; %bb.29:
	s_or_b32 exec_lo, exec_lo, s5
	v_mul_lo_u32 v9, v11, s0
	v_mul_lo_u32 v11, v10, s1
	v_mad_u64_u32 v[4:5], null, v10, s0, 0
	v_add3_u32 v5, v5, v11, v9
	v_lshlrev_b64 v[4:5], 1, v[4:5]
	v_add_co_u32 v9, vcc_lo, s2, v4
	v_add_co_ci_u32_e64 v10, null, s3, v5, vcc_lo
	v_add_co_u32 v4, vcc_lo, v9, v0
	v_add_co_ci_u32_e64 v5, null, v10, v1, vcc_lo
	global_store_short_d16_hi v[4:5], v14, off
	global_load_ushort v2, v[2:3], off offset:32
	s_waitcnt vmcnt(0)
	v_lshlrev_b32_e32 v2, 16, v2
	v_mul_f32_e32 v2, s9, v2
	v_and_b32_e32 v3, 0x7f800000, v2
	v_cmp_ne_u32_e32 vcc_lo, 0x7f800000, v3
                                        ; implicit-def: $vgpr3
	s_and_saveexec_b32 s2, vcc_lo
	s_xor_b32 s2, exec_lo, s2
; %bb.30:
	v_bfe_u32 v3, v2, 16, 1
	v_add3_u32 v3, v2, v3, 0x7fff
                                        ; implicit-def: $vgpr2
; %bb.31:
	s_andn2_saveexec_b32 s2, s2
; %bb.32:
	v_mov_b32_e32 v3, 0
	v_or_b32_e32 v11, 0x10000, v2
	v_cmp_eq_u32_sdwa vcc_lo, v2, v3 src0_sel:WORD_0 src1_sel:DWORD
	v_cndmask_b32_e32 v3, v11, v2, vcc_lo
; %bb.33:
	s_or_b32 exec_lo, exec_lo, s2
	v_and_b32_e32 v2, 0xffff0000, v3
	s_mov_b32 s2, exec_lo
	v_fmac_f32_e32 v2, s4, v8
                                        ; implicit-def: $vgpr8
	v_and_b32_e32 v3, 0x7f800000, v2
	v_cmpx_ne_u32_e32 0x7f800000, v3
	s_xor_b32 s2, exec_lo, s2
; %bb.34:
	v_bfe_u32 v3, v2, 16, 1
	v_add3_u32 v8, v2, v3, 0x7fff
                                        ; implicit-def: $vgpr2
; %bb.35:
	s_andn2_saveexec_b32 s2, s2
; %bb.36:
	v_mov_b32_e32 v3, 0
	v_or_b32_e32 v8, 0x10000, v2
	v_cmp_eq_u32_sdwa vcc_lo, v2, v3 src0_sel:WORD_0 src1_sel:DWORD
	v_cndmask_b32_e32 v8, v8, v2, vcc_lo
; %bb.37:
	s_or_b32 exec_lo, exec_lo, s2
	s_lshl_b64 s[2:3], s[14:15], 5
	global_store_short_d16_hi v[4:5], v8, off offset:32
	v_add_co_u32 v2, vcc_lo, v12, s2
	v_add_co_ci_u32_e64 v3, null, s3, v13, vcc_lo
	v_add_co_u32 v2, vcc_lo, v2, v0
	v_add_co_ci_u32_e64 v3, null, v3, v1, vcc_lo
	global_load_ushort v4, v[2:3], off
	s_waitcnt vmcnt(0)
	v_lshlrev_b32_e32 v4, 16, v4
	v_mul_f32_e32 v4, s9, v4
	v_and_b32_e32 v5, 0x7f800000, v4
	v_cmp_ne_u32_e32 vcc_lo, 0x7f800000, v5
                                        ; implicit-def: $vgpr5
	s_and_saveexec_b32 s2, vcc_lo
	s_xor_b32 s2, exec_lo, s2
; %bb.38:
	v_bfe_u32 v5, v4, 16, 1
	v_add3_u32 v5, v4, v5, 0x7fff
                                        ; implicit-def: $vgpr4
; %bb.39:
	s_andn2_saveexec_b32 s2, s2
; %bb.40:
	v_mov_b32_e32 v5, 0
	v_or_b32_e32 v8, 0x10000, v4
	v_cmp_eq_u32_sdwa vcc_lo, v4, v5 src0_sel:WORD_0 src1_sel:DWORD
	v_cndmask_b32_e32 v5, v8, v4, vcc_lo
; %bb.41:
	s_or_b32 exec_lo, exec_lo, s2
	v_and_b32_e32 v5, 0xffff0000, v5
	v_fmac_f32_e32 v5, s4, v7
	v_and_b32_e32 v4, 0x7f800000, v5
	v_cmp_ne_u32_e32 vcc_lo, 0x7f800000, v4
                                        ; implicit-def: $vgpr4
	s_and_saveexec_b32 s2, vcc_lo
	s_xor_b32 s2, exec_lo, s2
; %bb.42:
	v_bfe_u32 v4, v5, 16, 1
	v_add3_u32 v4, v5, v4, 0x7fff
                                        ; implicit-def: $vgpr5
; %bb.43:
	s_andn2_saveexec_b32 s2, s2
; %bb.44:
	v_mov_b32_e32 v4, 0
	v_or_b32_e32 v7, 0x10000, v5
	v_cmp_eq_u32_sdwa vcc_lo, v5, v4 src0_sel:WORD_0 src1_sel:DWORD
	v_cndmask_b32_e32 v4, v7, v5, vcc_lo
; %bb.45:
	s_or_b32 exec_lo, exec_lo, s2
	s_lshl_b64 s[0:1], s[0:1], 5
	v_add_co_u32 v5, vcc_lo, v9, s0
	v_add_co_ci_u32_e64 v7, null, s1, v10, vcc_lo
	v_add_co_u32 v0, vcc_lo, v5, v0
	v_add_co_ci_u32_e64 v1, null, v7, v1, vcc_lo
	global_store_short_d16_hi v[0:1], v4, off
	global_load_ushort v2, v[2:3], off offset:32
	s_waitcnt vmcnt(0)
	v_lshlrev_b32_e32 v2, 16, v2
	v_mul_f32_e32 v2, s9, v2
	v_and_b32_e32 v3, 0x7f800000, v2
	v_cmp_ne_u32_e32 vcc_lo, 0x7f800000, v3
                                        ; implicit-def: $vgpr3
	s_and_saveexec_b32 s0, vcc_lo
	s_xor_b32 s0, exec_lo, s0
; %bb.46:
	v_bfe_u32 v3, v2, 16, 1
	v_add3_u32 v3, v2, v3, 0x7fff
                                        ; implicit-def: $vgpr2
; %bb.47:
	s_andn2_saveexec_b32 s0, s0
; %bb.48:
	v_mov_b32_e32 v3, 0
	v_or_b32_e32 v4, 0x10000, v2
	v_cmp_eq_u32_sdwa vcc_lo, v2, v3 src0_sel:WORD_0 src1_sel:DWORD
	v_cndmask_b32_e32 v3, v4, v2, vcc_lo
; %bb.49:
	s_or_b32 exec_lo, exec_lo, s0
	v_and_b32_e32 v2, 0xffff0000, v3
	v_fmac_f32_e32 v2, s4, v6
	v_and_b32_e32 v3, 0x7f800000, v2
	v_cmp_ne_u32_e32 vcc_lo, 0x7f800000, v3
                                        ; implicit-def: $vgpr3
	s_and_saveexec_b32 s0, vcc_lo
	s_xor_b32 s0, exec_lo, s0
	s_cbranch_execnz .LBB432_54
; %bb.50:
	s_andn2_saveexec_b32 s0, s0
	s_cbranch_execnz .LBB432_55
.LBB432_51:
	s_or_b32 exec_lo, exec_lo, s0
	global_store_short_d16_hi v[0:1], v3, off offset:32
	s_endpgm
.LBB432_52:
	s_cbranch_execnz .LBB432_21
.LBB432_53:
	s_endpgm
.LBB432_54:
	v_bfe_u32 v3, v2, 16, 1
	v_add3_u32 v3, v2, v3, 0x7fff
                                        ; implicit-def: $vgpr2
	s_andn2_saveexec_b32 s0, s0
	s_cbranch_execz .LBB432_51
.LBB432_55:
	v_mov_b32_e32 v3, 0
	v_or_b32_e32 v4, 0x10000, v2
	v_cmp_eq_u32_sdwa vcc_lo, v2, v3 src0_sel:WORD_0 src1_sel:DWORD
	v_cndmask_b32_e32 v3, v4, v2, vcc_lo
	s_or_b32 exec_lo, exec_lo, s0
	global_store_short_d16_hi v[0:1], v3, off offset:32
	s_endpgm
	.section	.rodata,"a",@progbits
	.p2align	6, 0x0
	.amdhsa_kernel _ZN12_GLOBAL__N_127rocblas_gemm_batched_kernelIfLi16ELi16ELi32ELi32ELi8ELi32ELi8ELi8ELi32ELc67ELc78EK16rocblas_bfloat16S2_S1_EEvlllT_PT11_llS5_llS3_PT12_llPT13_lli
		.amdhsa_group_segment_fixed_size 2048
		.amdhsa_private_segment_fixed_size 0
		.amdhsa_kernarg_size 140
		.amdhsa_user_sgpr_count 6
		.amdhsa_user_sgpr_private_segment_buffer 1
		.amdhsa_user_sgpr_dispatch_ptr 0
		.amdhsa_user_sgpr_queue_ptr 0
		.amdhsa_user_sgpr_kernarg_segment_ptr 1
		.amdhsa_user_sgpr_dispatch_id 0
		.amdhsa_user_sgpr_flat_scratch_init 0
		.amdhsa_user_sgpr_private_segment_size 0
		.amdhsa_wavefront_size32 1
		.amdhsa_uses_dynamic_stack 0
		.amdhsa_system_sgpr_private_segment_wavefront_offset 0
		.amdhsa_system_sgpr_workgroup_id_x 1
		.amdhsa_system_sgpr_workgroup_id_y 1
		.amdhsa_system_sgpr_workgroup_id_z 1
		.amdhsa_system_sgpr_workgroup_info 0
		.amdhsa_system_vgpr_workitem_id 1
		.amdhsa_next_free_vgpr 46
		.amdhsa_next_free_sgpr 22
		.amdhsa_reserve_vcc 1
		.amdhsa_reserve_flat_scratch 0
		.amdhsa_float_round_mode_32 0
		.amdhsa_float_round_mode_16_64 0
		.amdhsa_float_denorm_mode_32 3
		.amdhsa_float_denorm_mode_16_64 3
		.amdhsa_dx10_clamp 1
		.amdhsa_ieee_mode 1
		.amdhsa_fp16_overflow 0
		.amdhsa_workgroup_processor_mode 1
		.amdhsa_memory_ordered 1
		.amdhsa_forward_progress 1
		.amdhsa_shared_vgpr_count 0
		.amdhsa_exception_fp_ieee_invalid_op 0
		.amdhsa_exception_fp_denorm_src 0
		.amdhsa_exception_fp_ieee_div_zero 0
		.amdhsa_exception_fp_ieee_overflow 0
		.amdhsa_exception_fp_ieee_underflow 0
		.amdhsa_exception_fp_ieee_inexact 0
		.amdhsa_exception_int_div_zero 0
	.end_amdhsa_kernel
	.section	.text._ZN12_GLOBAL__N_127rocblas_gemm_batched_kernelIfLi16ELi16ELi32ELi32ELi8ELi32ELi8ELi8ELi32ELc67ELc78EK16rocblas_bfloat16S2_S1_EEvlllT_PT11_llS5_llS3_PT12_llPT13_lli,"axG",@progbits,_ZN12_GLOBAL__N_127rocblas_gemm_batched_kernelIfLi16ELi16ELi32ELi32ELi8ELi32ELi8ELi8ELi32ELc67ELc78EK16rocblas_bfloat16S2_S1_EEvlllT_PT11_llS5_llS3_PT12_llPT13_lli,comdat
.Lfunc_end432:
	.size	_ZN12_GLOBAL__N_127rocblas_gemm_batched_kernelIfLi16ELi16ELi32ELi32ELi8ELi32ELi8ELi8ELi32ELc67ELc78EK16rocblas_bfloat16S2_S1_EEvlllT_PT11_llS5_llS3_PT12_llPT13_lli, .Lfunc_end432-_ZN12_GLOBAL__N_127rocblas_gemm_batched_kernelIfLi16ELi16ELi32ELi32ELi8ELi32ELi8ELi8ELi32ELc67ELc78EK16rocblas_bfloat16S2_S1_EEvlllT_PT11_llS5_llS3_PT12_llPT13_lli
                                        ; -- End function
	.set _ZN12_GLOBAL__N_127rocblas_gemm_batched_kernelIfLi16ELi16ELi32ELi32ELi8ELi32ELi8ELi8ELi32ELc67ELc78EK16rocblas_bfloat16S2_S1_EEvlllT_PT11_llS5_llS3_PT12_llPT13_lli.num_vgpr, 46
	.set _ZN12_GLOBAL__N_127rocblas_gemm_batched_kernelIfLi16ELi16ELi32ELi32ELi8ELi32ELi8ELi8ELi32ELc67ELc78EK16rocblas_bfloat16S2_S1_EEvlllT_PT11_llS5_llS3_PT12_llPT13_lli.num_agpr, 0
	.set _ZN12_GLOBAL__N_127rocblas_gemm_batched_kernelIfLi16ELi16ELi32ELi32ELi8ELi32ELi8ELi8ELi32ELc67ELc78EK16rocblas_bfloat16S2_S1_EEvlllT_PT11_llS5_llS3_PT12_llPT13_lli.numbered_sgpr, 22
	.set _ZN12_GLOBAL__N_127rocblas_gemm_batched_kernelIfLi16ELi16ELi32ELi32ELi8ELi32ELi8ELi8ELi32ELc67ELc78EK16rocblas_bfloat16S2_S1_EEvlllT_PT11_llS5_llS3_PT12_llPT13_lli.num_named_barrier, 0
	.set _ZN12_GLOBAL__N_127rocblas_gemm_batched_kernelIfLi16ELi16ELi32ELi32ELi8ELi32ELi8ELi8ELi32ELc67ELc78EK16rocblas_bfloat16S2_S1_EEvlllT_PT11_llS5_llS3_PT12_llPT13_lli.private_seg_size, 0
	.set _ZN12_GLOBAL__N_127rocblas_gemm_batched_kernelIfLi16ELi16ELi32ELi32ELi8ELi32ELi8ELi8ELi32ELc67ELc78EK16rocblas_bfloat16S2_S1_EEvlllT_PT11_llS5_llS3_PT12_llPT13_lli.uses_vcc, 1
	.set _ZN12_GLOBAL__N_127rocblas_gemm_batched_kernelIfLi16ELi16ELi32ELi32ELi8ELi32ELi8ELi8ELi32ELc67ELc78EK16rocblas_bfloat16S2_S1_EEvlllT_PT11_llS5_llS3_PT12_llPT13_lli.uses_flat_scratch, 0
	.set _ZN12_GLOBAL__N_127rocblas_gemm_batched_kernelIfLi16ELi16ELi32ELi32ELi8ELi32ELi8ELi8ELi32ELc67ELc78EK16rocblas_bfloat16S2_S1_EEvlllT_PT11_llS5_llS3_PT12_llPT13_lli.has_dyn_sized_stack, 0
	.set _ZN12_GLOBAL__N_127rocblas_gemm_batched_kernelIfLi16ELi16ELi32ELi32ELi8ELi32ELi8ELi8ELi32ELc67ELc78EK16rocblas_bfloat16S2_S1_EEvlllT_PT11_llS5_llS3_PT12_llPT13_lli.has_recursion, 0
	.set _ZN12_GLOBAL__N_127rocblas_gemm_batched_kernelIfLi16ELi16ELi32ELi32ELi8ELi32ELi8ELi8ELi32ELc67ELc78EK16rocblas_bfloat16S2_S1_EEvlllT_PT11_llS5_llS3_PT12_llPT13_lli.has_indirect_call, 0
	.section	.AMDGPU.csdata,"",@progbits
; Kernel info:
; codeLenInByte = 2444
; TotalNumSgprs: 24
; NumVgprs: 46
; ScratchSize: 0
; MemoryBound: 0
; FloatMode: 240
; IeeeMode: 1
; LDSByteSize: 2048 bytes/workgroup (compile time only)
; SGPRBlocks: 0
; VGPRBlocks: 5
; NumSGPRsForWavesPerEU: 24
; NumVGPRsForWavesPerEU: 46
; Occupancy: 16
; WaveLimiterHint : 0
; COMPUTE_PGM_RSRC2:SCRATCH_EN: 0
; COMPUTE_PGM_RSRC2:USER_SGPR: 6
; COMPUTE_PGM_RSRC2:TRAP_HANDLER: 0
; COMPUTE_PGM_RSRC2:TGID_X_EN: 1
; COMPUTE_PGM_RSRC2:TGID_Y_EN: 1
; COMPUTE_PGM_RSRC2:TGID_Z_EN: 1
; COMPUTE_PGM_RSRC2:TIDIG_COMP_CNT: 1
	.section	.text._ZN12_GLOBAL__N_127rocblas_gemm_batched_kernelIfLi16ELi16ELi32ELi32ELi8ELi32ELi8ELi8ELi32ELc67ELc84EK16rocblas_bfloat16S2_S1_EEvlllT_PT11_llS5_llS3_PT12_llPT13_lli,"axG",@progbits,_ZN12_GLOBAL__N_127rocblas_gemm_batched_kernelIfLi16ELi16ELi32ELi32ELi8ELi32ELi8ELi8ELi32ELc67ELc84EK16rocblas_bfloat16S2_S1_EEvlllT_PT11_llS5_llS3_PT12_llPT13_lli,comdat
	.globl	_ZN12_GLOBAL__N_127rocblas_gemm_batched_kernelIfLi16ELi16ELi32ELi32ELi8ELi32ELi8ELi8ELi32ELc67ELc84EK16rocblas_bfloat16S2_S1_EEvlllT_PT11_llS5_llS3_PT12_llPT13_lli ; -- Begin function _ZN12_GLOBAL__N_127rocblas_gemm_batched_kernelIfLi16ELi16ELi32ELi32ELi8ELi32ELi8ELi8ELi32ELc67ELc84EK16rocblas_bfloat16S2_S1_EEvlllT_PT11_llS5_llS3_PT12_llPT13_lli
	.p2align	8
	.type	_ZN12_GLOBAL__N_127rocblas_gemm_batched_kernelIfLi16ELi16ELi32ELi32ELi8ELi32ELi8ELi8ELi32ELc67ELc84EK16rocblas_bfloat16S2_S1_EEvlllT_PT11_llS5_llS3_PT12_llPT13_lli,@function
_ZN12_GLOBAL__N_127rocblas_gemm_batched_kernelIfLi16ELi16ELi32ELi32ELi8ELi32ELi8ELi8ELi32ELc67ELc84EK16rocblas_bfloat16S2_S1_EEvlllT_PT11_llS5_llS3_PT12_llPT13_lli: ; @_ZN12_GLOBAL__N_127rocblas_gemm_batched_kernelIfLi16ELi16ELi32ELi32ELi8ELi32ELi8ELi8ELi32ELc67ELc84EK16rocblas_bfloat16S2_S1_EEvlllT_PT11_llS5_llS3_PT12_llPT13_lli
; %bb.0:
	s_load_dwordx2 s[20:21], s[4:5], 0x10
	s_mov_b32 s0, s7
	v_mov_b32_e32 v9, 0
	v_mov_b32_e32 v8, 0
	;; [unrolled: 1-line block ×4, first 2 shown]
	s_ashr_i32 s7, s6, 31
	s_ashr_i32 s1, s0, 31
	s_lshl_b64 s[6:7], s[6:7], 5
	s_lshl_b64 s[10:11], s[0:1], 5
	s_waitcnt lgkmcnt(0)
	v_cmp_lt_i64_e64 s2, s[20:21], 1
	s_and_b32 vcc_lo, exec_lo, s2
	s_cbranch_vccnz .LBB433_3
; %bb.1:
	s_clause 0x1
	s_load_dwordx8 s[12:19], s[4:5], 0x20
	s_load_dwordx4 s[0:3], s[4:5], 0x40
	v_lshl_add_u32 v2, v1, 4, v0
	v_and_b32_e32 v7, 7, v0
	v_mov_b32_e32 v6, 0
	v_lshlrev_b32_e32 v10, 2, v0
	v_lshrrev_b32_e32 v8, 3, v2
	v_and_b32_e32 v9, 31, v2
	v_lshrrev_b32_e32 v12, 5, v2
	v_lshlrev_b32_e32 v11, 2, v7
	v_add_co_u32 v2, s9, v8, s10
	v_add_co_ci_u32_e64 v3, null, 0, s11, s9
	v_add_co_u32 v4, s9, s6, v9
	v_add_co_ci_u32_e64 v5, null, s7, 0, s9
	v_lshl_or_b32 v8, v8, 5, v11
	s_waitcnt lgkmcnt(0)
	v_mul_lo_u32 v14, s15, v4
	v_mad_u64_u32 v[2:3], null, s0, v7, v[2:3]
	v_mul_lo_u32 v15, s14, v5
	v_mad_u64_u32 v[4:5], null, s14, v4, 0
	v_add_nc_u32_e32 v13, 0x400, v8
	s_mul_i32 s9, s17, s8
	s_mul_hi_u32 s15, s16, s8
	s_mul_i32 s14, s16, s8
	s_add_i32 s15, s15, s9
	v_lshlrev_b32_e32 v16, 1, v12
	v_add3_u32 v5, v5, v15, v14
	v_mad_u64_u32 v[7:8], null, s1, v7, v[3:4]
	s_lshl_b64 s[14:15], s[14:15], 1
	s_mul_i32 s3, s3, s8
	v_lshlrev_b64 v[4:5], 1, v[4:5]
	s_mul_hi_u32 s9, s2, s8
	s_mul_i32 s2, s2, s8
	s_add_i32 s3, s9, s3
	v_mov_b32_e32 v3, v7
	s_lshl_b64 s[2:3], s[2:3], 1
	v_add_co_u32 v4, vcc_lo, v4, s14
	v_add_co_ci_u32_e64 v5, null, s15, v5, vcc_lo
	v_lshlrev_b32_e32 v9, 2, v9
	v_add_co_u32 v7, vcc_lo, v4, v16
	v_add_co_ci_u32_e64 v8, null, 0, v5, vcc_lo
	v_lshlrev_b64 v[4:5], 1, v[2:3]
	v_add_co_u32 v2, vcc_lo, s12, v7
	s_add_u32 s2, s18, s2
	v_add_co_ci_u32_e64 v3, null, s13, v8, vcc_lo
	s_addc_u32 s3, s19, s3
	v_add_co_u32 v4, vcc_lo, s2, v4
	v_lshl_add_u32 v11, v1, 5, 0x400
	v_lshl_or_b32 v12, v12, 7, v9
	v_add_co_ci_u32_e64 v5, null, s3, v5, vcc_lo
	v_mov_b32_e32 v7, 0
	v_mov_b32_e32 v8, 0
	;; [unrolled: 1-line block ×3, first 2 shown]
	s_lshl_b64 s[0:1], s[0:1], 4
	s_mov_b64 s[2:3], 0
.LBB433_2:                              ; =>This Inner Loop Header: Depth=1
	global_load_ushort v14, v[2:3], off
	global_load_ushort v15, v[4:5], off
	s_add_u32 s2, s2, 8
	s_addc_u32 s3, s3, 0
	v_add_co_u32 v2, vcc_lo, v2, 16
	v_cmp_lt_i64_e64 s9, s[2:3], s[20:21]
	v_add_co_ci_u32_e64 v3, null, 0, v3, vcc_lo
	v_add_co_u32 v4, vcc_lo, v4, s0
	v_add_co_ci_u32_e64 v5, null, s1, v5, vcc_lo
	s_and_b32 vcc_lo, exec_lo, s9
	s_waitcnt vmcnt(1)
	v_lshlrev_b32_e32 v14, 16, v14
	s_waitcnt vmcnt(0)
	v_lshlrev_b32_e32 v15, 16, v15
	ds_write_b32 v12, v14
	ds_write_b32 v13, v15
	s_waitcnt lgkmcnt(0)
	s_barrier
	buffer_gl0_inv
	ds_read_b128 v[14:17], v11
	ds_read2_b32 v[30:31], v10 offset1:16
	ds_read_b128 v[18:21], v11 offset:512
	ds_read2_b32 v[32:33], v10 offset0:32 offset1:48
	ds_read2_b32 v[34:35], v10 offset0:64 offset1:80
	ds_read_b128 v[22:25], v11 offset:16
	ds_read2_b32 v[36:37], v10 offset0:96 offset1:112
	ds_read2_b32 v[38:39], v10 offset0:128 offset1:144
	;; [unrolled: 3-line block ×3, first 2 shown]
	ds_read2_b32 v[44:45], v10 offset0:224 offset1:240
	s_waitcnt lgkmcnt(0)
	s_barrier
	buffer_gl0_inv
	v_fmac_f32_e32 v9, v30, v14
	v_fmac_f32_e32 v8, v31, v14
	;; [unrolled: 1-line block ×32, first 2 shown]
	s_cbranch_vccnz .LBB433_2
.LBB433_3:
	s_clause 0x3
	s_load_dwordx4 s[0:3], s[4:5], 0x78
	s_load_dword s9, s[4:5], 0x50
	s_load_dwordx8 s[12:19], s[4:5], 0x58
	s_load_dword s4, s[4:5], 0x18
	v_add_co_u32 v10, s5, s10, v1
	v_add_co_ci_u32_e64 v11, null, s11, 0, s5
	v_add_co_u32 v0, s6, s6, v0
	v_add_co_ci_u32_e64 v1, null, s7, 0, s6
	s_waitcnt lgkmcnt(0)
	s_mul_i32 s3, s3, s8
	s_mul_hi_u32 s5, s2, s8
	s_mul_i32 s2, s2, s8
	s_add_i32 s3, s5, s3
	v_cmp_neq_f32_e64 s5, s9, 0
	s_lshl_b64 s[2:3], s[2:3], 1
	s_add_u32 s2, s18, s2
	s_addc_u32 s3, s19, s3
	s_and_b32 vcc_lo, exec_lo, s5
	s_cbranch_vccnz .LBB433_52
; %bb.4:
	v_mul_f32_e32 v2, s4, v9
	s_mov_b32 s5, exec_lo
                                        ; implicit-def: $vgpr14
	v_and_b32_e32 v3, 0x7f800000, v2
	v_cmpx_ne_u32_e32 0x7f800000, v3
	s_xor_b32 s5, exec_lo, s5
; %bb.5:
	v_bfe_u32 v3, v2, 16, 1
	v_add3_u32 v14, v2, v3, 0x7fff
                                        ; implicit-def: $vgpr2
; %bb.6:
	s_andn2_saveexec_b32 s5, s5
; %bb.7:
	v_mov_b32_e32 v3, 0
	v_or_b32_e32 v4, 0x10000, v2
	v_cmp_eq_u32_sdwa vcc_lo, v2, v3 src0_sel:WORD_0 src1_sel:DWORD
	v_cndmask_b32_e32 v14, v4, v2, vcc_lo
; %bb.8:
	s_or_b32 exec_lo, exec_lo, s5
	v_mul_lo_u32 v4, v11, s0
	v_mul_lo_u32 v5, v10, s1
	v_mad_u64_u32 v[2:3], null, v10, s0, 0
	v_mul_f32_e32 v15, s4, v8
	v_and_b32_e32 v16, 0x7f800000, v15
	v_add3_u32 v3, v3, v5, v4
	v_lshlrev_b64 v[4:5], 1, v[2:3]
	v_lshlrev_b64 v[2:3], 1, v[0:1]
	v_add_co_u32 v12, vcc_lo, s2, v4
	v_add_co_ci_u32_e64 v13, null, s3, v5, vcc_lo
	v_add_co_u32 v4, vcc_lo, v12, v2
	v_add_co_ci_u32_e64 v5, null, v13, v3, vcc_lo
	v_cmp_ne_u32_e32 vcc_lo, 0x7f800000, v16
                                        ; implicit-def: $vgpr16
	global_store_short_d16_hi v[4:5], v14, off
	s_and_saveexec_b32 s5, vcc_lo
	s_xor_b32 s5, exec_lo, s5
; %bb.9:
	v_bfe_u32 v14, v15, 16, 1
	v_add3_u32 v16, v15, v14, 0x7fff
                                        ; implicit-def: $vgpr15
; %bb.10:
	s_andn2_saveexec_b32 s5, s5
; %bb.11:
	v_mov_b32_e32 v14, 0
	v_or_b32_e32 v16, 0x10000, v15
	v_cmp_eq_u32_sdwa vcc_lo, v15, v14 src0_sel:WORD_0 src1_sel:DWORD
	v_cndmask_b32_e32 v16, v16, v15, vcc_lo
; %bb.12:
	s_or_b32 exec_lo, exec_lo, s5
	v_mul_f32_e32 v14, s4, v7
	s_mov_b32 s5, exec_lo
	global_store_short_d16_hi v[4:5], v16, off offset:32
                                        ; implicit-def: $vgpr4
	v_and_b32_e32 v15, 0x7f800000, v14
	v_cmpx_ne_u32_e32 0x7f800000, v15
	s_xor_b32 s5, exec_lo, s5
; %bb.13:
	v_bfe_u32 v4, v14, 16, 1
	v_add3_u32 v4, v14, v4, 0x7fff
                                        ; implicit-def: $vgpr14
; %bb.14:
	s_andn2_saveexec_b32 s5, s5
; %bb.15:
	v_mov_b32_e32 v4, 0
	v_or_b32_e32 v5, 0x10000, v14
	v_cmp_eq_u32_sdwa vcc_lo, v14, v4 src0_sel:WORD_0 src1_sel:DWORD
	v_cndmask_b32_e32 v4, v5, v14, vcc_lo
; %bb.16:
	s_or_b32 exec_lo, exec_lo, s5
	s_lshl_b64 s[6:7], s[0:1], 5
	v_mul_f32_e32 v5, s4, v6
	v_add_co_u32 v12, vcc_lo, v12, s6
	v_add_co_ci_u32_e64 v13, null, s7, v13, vcc_lo
	v_and_b32_e32 v14, 0x7f800000, v5
	v_add_co_u32 v2, vcc_lo, v12, v2
	v_add_co_ci_u32_e64 v3, null, v13, v3, vcc_lo
	s_mov_b32 s5, exec_lo
	global_store_short_d16_hi v[2:3], v4, off
                                        ; implicit-def: $vgpr4
	v_cmpx_ne_u32_e32 0x7f800000, v14
	s_xor_b32 s5, exec_lo, s5
; %bb.17:
	v_bfe_u32 v4, v5, 16, 1
	v_add3_u32 v4, v5, v4, 0x7fff
                                        ; implicit-def: $vgpr5
; %bb.18:
	s_andn2_saveexec_b32 s5, s5
; %bb.19:
	v_mov_b32_e32 v4, 0
	v_or_b32_e32 v12, 0x10000, v5
	v_cmp_eq_u32_sdwa vcc_lo, v5, v4 src0_sel:WORD_0 src1_sel:DWORD
	v_cndmask_b32_e32 v4, v12, v5, vcc_lo
; %bb.20:
	s_or_b32 exec_lo, exec_lo, s5
	global_store_short_d16_hi v[2:3], v4, off offset:32
	s_branch .LBB433_53
.LBB433_21:
	v_mul_lo_u32 v4, v11, s14
	v_mul_lo_u32 v5, v10, s15
	v_mad_u64_u32 v[2:3], null, v10, s14, 0
	s_mul_i32 s5, s17, s8
	s_mul_hi_u32 s7, s16, s8
	s_mul_i32 s6, s16, s8
	s_add_i32 s7, s7, s5
	v_lshlrev_b64 v[0:1], 1, v[0:1]
	s_lshl_b64 s[6:7], s[6:7], 1
	v_add3_u32 v3, v3, v5, v4
	s_add_u32 s5, s12, s6
	s_addc_u32 s6, s13, s7
	v_lshlrev_b64 v[2:3], 1, v[2:3]
	v_add_co_u32 v12, vcc_lo, s5, v2
	v_add_co_ci_u32_e64 v13, null, s6, v3, vcc_lo
	v_add_co_u32 v2, vcc_lo, v12, v0
	v_add_co_ci_u32_e64 v3, null, v13, v1, vcc_lo
	global_load_ushort v4, v[2:3], off
	s_waitcnt vmcnt(0)
	v_lshlrev_b32_e32 v4, 16, v4
	v_mul_f32_e32 v4, s9, v4
	v_and_b32_e32 v5, 0x7f800000, v4
	v_cmp_ne_u32_e32 vcc_lo, 0x7f800000, v5
                                        ; implicit-def: $vgpr5
	s_and_saveexec_b32 s5, vcc_lo
	s_xor_b32 s5, exec_lo, s5
; %bb.22:
	v_bfe_u32 v5, v4, 16, 1
	v_add3_u32 v5, v4, v5, 0x7fff
                                        ; implicit-def: $vgpr4
; %bb.23:
	s_andn2_saveexec_b32 s5, s5
; %bb.24:
	v_mov_b32_e32 v5, 0
	v_or_b32_e32 v14, 0x10000, v4
	v_cmp_eq_u32_sdwa vcc_lo, v4, v5 src0_sel:WORD_0 src1_sel:DWORD
	v_cndmask_b32_e32 v5, v14, v4, vcc_lo
; %bb.25:
	s_or_b32 exec_lo, exec_lo, s5
	v_and_b32_e32 v4, 0xffff0000, v5
	s_mov_b32 s5, exec_lo
                                        ; implicit-def: $vgpr14
	v_fmac_f32_e32 v4, s4, v9
	v_and_b32_e32 v5, 0x7f800000, v4
	v_cmpx_ne_u32_e32 0x7f800000, v5
	s_xor_b32 s5, exec_lo, s5
; %bb.26:
	v_bfe_u32 v5, v4, 16, 1
	v_add3_u32 v14, v4, v5, 0x7fff
                                        ; implicit-def: $vgpr4
; %bb.27:
	s_andn2_saveexec_b32 s5, s5
; %bb.28:
	v_mov_b32_e32 v5, 0
	v_or_b32_e32 v9, 0x10000, v4
	v_cmp_eq_u32_sdwa vcc_lo, v4, v5 src0_sel:WORD_0 src1_sel:DWORD
	v_cndmask_b32_e32 v14, v9, v4, vcc_lo
; %bb.29:
	s_or_b32 exec_lo, exec_lo, s5
	v_mul_lo_u32 v9, v11, s0
	v_mul_lo_u32 v11, v10, s1
	v_mad_u64_u32 v[4:5], null, v10, s0, 0
	v_add3_u32 v5, v5, v11, v9
	v_lshlrev_b64 v[4:5], 1, v[4:5]
	v_add_co_u32 v9, vcc_lo, s2, v4
	v_add_co_ci_u32_e64 v10, null, s3, v5, vcc_lo
	v_add_co_u32 v4, vcc_lo, v9, v0
	v_add_co_ci_u32_e64 v5, null, v10, v1, vcc_lo
	global_store_short_d16_hi v[4:5], v14, off
	global_load_ushort v2, v[2:3], off offset:32
	s_waitcnt vmcnt(0)
	v_lshlrev_b32_e32 v2, 16, v2
	v_mul_f32_e32 v2, s9, v2
	v_and_b32_e32 v3, 0x7f800000, v2
	v_cmp_ne_u32_e32 vcc_lo, 0x7f800000, v3
                                        ; implicit-def: $vgpr3
	s_and_saveexec_b32 s2, vcc_lo
	s_xor_b32 s2, exec_lo, s2
; %bb.30:
	v_bfe_u32 v3, v2, 16, 1
	v_add3_u32 v3, v2, v3, 0x7fff
                                        ; implicit-def: $vgpr2
; %bb.31:
	s_andn2_saveexec_b32 s2, s2
; %bb.32:
	v_mov_b32_e32 v3, 0
	v_or_b32_e32 v11, 0x10000, v2
	v_cmp_eq_u32_sdwa vcc_lo, v2, v3 src0_sel:WORD_0 src1_sel:DWORD
	v_cndmask_b32_e32 v3, v11, v2, vcc_lo
; %bb.33:
	s_or_b32 exec_lo, exec_lo, s2
	v_and_b32_e32 v2, 0xffff0000, v3
	s_mov_b32 s2, exec_lo
	v_fmac_f32_e32 v2, s4, v8
                                        ; implicit-def: $vgpr8
	v_and_b32_e32 v3, 0x7f800000, v2
	v_cmpx_ne_u32_e32 0x7f800000, v3
	s_xor_b32 s2, exec_lo, s2
; %bb.34:
	v_bfe_u32 v3, v2, 16, 1
	v_add3_u32 v8, v2, v3, 0x7fff
                                        ; implicit-def: $vgpr2
; %bb.35:
	s_andn2_saveexec_b32 s2, s2
; %bb.36:
	v_mov_b32_e32 v3, 0
	v_or_b32_e32 v8, 0x10000, v2
	v_cmp_eq_u32_sdwa vcc_lo, v2, v3 src0_sel:WORD_0 src1_sel:DWORD
	v_cndmask_b32_e32 v8, v8, v2, vcc_lo
; %bb.37:
	s_or_b32 exec_lo, exec_lo, s2
	s_lshl_b64 s[2:3], s[14:15], 5
	global_store_short_d16_hi v[4:5], v8, off offset:32
	v_add_co_u32 v2, vcc_lo, v12, s2
	v_add_co_ci_u32_e64 v3, null, s3, v13, vcc_lo
	v_add_co_u32 v2, vcc_lo, v2, v0
	v_add_co_ci_u32_e64 v3, null, v3, v1, vcc_lo
	global_load_ushort v4, v[2:3], off
	s_waitcnt vmcnt(0)
	v_lshlrev_b32_e32 v4, 16, v4
	v_mul_f32_e32 v4, s9, v4
	v_and_b32_e32 v5, 0x7f800000, v4
	v_cmp_ne_u32_e32 vcc_lo, 0x7f800000, v5
                                        ; implicit-def: $vgpr5
	s_and_saveexec_b32 s2, vcc_lo
	s_xor_b32 s2, exec_lo, s2
; %bb.38:
	v_bfe_u32 v5, v4, 16, 1
	v_add3_u32 v5, v4, v5, 0x7fff
                                        ; implicit-def: $vgpr4
; %bb.39:
	s_andn2_saveexec_b32 s2, s2
; %bb.40:
	v_mov_b32_e32 v5, 0
	v_or_b32_e32 v8, 0x10000, v4
	v_cmp_eq_u32_sdwa vcc_lo, v4, v5 src0_sel:WORD_0 src1_sel:DWORD
	v_cndmask_b32_e32 v5, v8, v4, vcc_lo
; %bb.41:
	s_or_b32 exec_lo, exec_lo, s2
	v_and_b32_e32 v5, 0xffff0000, v5
	v_fmac_f32_e32 v5, s4, v7
	v_and_b32_e32 v4, 0x7f800000, v5
	v_cmp_ne_u32_e32 vcc_lo, 0x7f800000, v4
                                        ; implicit-def: $vgpr4
	s_and_saveexec_b32 s2, vcc_lo
	s_xor_b32 s2, exec_lo, s2
; %bb.42:
	v_bfe_u32 v4, v5, 16, 1
	v_add3_u32 v4, v5, v4, 0x7fff
                                        ; implicit-def: $vgpr5
; %bb.43:
	s_andn2_saveexec_b32 s2, s2
; %bb.44:
	v_mov_b32_e32 v4, 0
	v_or_b32_e32 v7, 0x10000, v5
	v_cmp_eq_u32_sdwa vcc_lo, v5, v4 src0_sel:WORD_0 src1_sel:DWORD
	v_cndmask_b32_e32 v4, v7, v5, vcc_lo
; %bb.45:
	s_or_b32 exec_lo, exec_lo, s2
	s_lshl_b64 s[0:1], s[0:1], 5
	v_add_co_u32 v5, vcc_lo, v9, s0
	v_add_co_ci_u32_e64 v7, null, s1, v10, vcc_lo
	v_add_co_u32 v0, vcc_lo, v5, v0
	v_add_co_ci_u32_e64 v1, null, v7, v1, vcc_lo
	global_store_short_d16_hi v[0:1], v4, off
	global_load_ushort v2, v[2:3], off offset:32
	s_waitcnt vmcnt(0)
	v_lshlrev_b32_e32 v2, 16, v2
	v_mul_f32_e32 v2, s9, v2
	v_and_b32_e32 v3, 0x7f800000, v2
	v_cmp_ne_u32_e32 vcc_lo, 0x7f800000, v3
                                        ; implicit-def: $vgpr3
	s_and_saveexec_b32 s0, vcc_lo
	s_xor_b32 s0, exec_lo, s0
; %bb.46:
	v_bfe_u32 v3, v2, 16, 1
	v_add3_u32 v3, v2, v3, 0x7fff
                                        ; implicit-def: $vgpr2
; %bb.47:
	s_andn2_saveexec_b32 s0, s0
; %bb.48:
	v_mov_b32_e32 v3, 0
	v_or_b32_e32 v4, 0x10000, v2
	v_cmp_eq_u32_sdwa vcc_lo, v2, v3 src0_sel:WORD_0 src1_sel:DWORD
	v_cndmask_b32_e32 v3, v4, v2, vcc_lo
; %bb.49:
	s_or_b32 exec_lo, exec_lo, s0
	v_and_b32_e32 v2, 0xffff0000, v3
	v_fmac_f32_e32 v2, s4, v6
	v_and_b32_e32 v3, 0x7f800000, v2
	v_cmp_ne_u32_e32 vcc_lo, 0x7f800000, v3
                                        ; implicit-def: $vgpr3
	s_and_saveexec_b32 s0, vcc_lo
	s_xor_b32 s0, exec_lo, s0
	s_cbranch_execnz .LBB433_54
; %bb.50:
	s_andn2_saveexec_b32 s0, s0
	s_cbranch_execnz .LBB433_55
.LBB433_51:
	s_or_b32 exec_lo, exec_lo, s0
	global_store_short_d16_hi v[0:1], v3, off offset:32
	s_endpgm
.LBB433_52:
	s_cbranch_execnz .LBB433_21
.LBB433_53:
	s_endpgm
.LBB433_54:
	v_bfe_u32 v3, v2, 16, 1
	v_add3_u32 v3, v2, v3, 0x7fff
                                        ; implicit-def: $vgpr2
	s_andn2_saveexec_b32 s0, s0
	s_cbranch_execz .LBB433_51
.LBB433_55:
	v_mov_b32_e32 v3, 0
	v_or_b32_e32 v4, 0x10000, v2
	v_cmp_eq_u32_sdwa vcc_lo, v2, v3 src0_sel:WORD_0 src1_sel:DWORD
	v_cndmask_b32_e32 v3, v4, v2, vcc_lo
	s_or_b32 exec_lo, exec_lo, s0
	global_store_short_d16_hi v[0:1], v3, off offset:32
	s_endpgm
	.section	.rodata,"a",@progbits
	.p2align	6, 0x0
	.amdhsa_kernel _ZN12_GLOBAL__N_127rocblas_gemm_batched_kernelIfLi16ELi16ELi32ELi32ELi8ELi32ELi8ELi8ELi32ELc67ELc84EK16rocblas_bfloat16S2_S1_EEvlllT_PT11_llS5_llS3_PT12_llPT13_lli
		.amdhsa_group_segment_fixed_size 2048
		.amdhsa_private_segment_fixed_size 0
		.amdhsa_kernarg_size 140
		.amdhsa_user_sgpr_count 6
		.amdhsa_user_sgpr_private_segment_buffer 1
		.amdhsa_user_sgpr_dispatch_ptr 0
		.amdhsa_user_sgpr_queue_ptr 0
		.amdhsa_user_sgpr_kernarg_segment_ptr 1
		.amdhsa_user_sgpr_dispatch_id 0
		.amdhsa_user_sgpr_flat_scratch_init 0
		.amdhsa_user_sgpr_private_segment_size 0
		.amdhsa_wavefront_size32 1
		.amdhsa_uses_dynamic_stack 0
		.amdhsa_system_sgpr_private_segment_wavefront_offset 0
		.amdhsa_system_sgpr_workgroup_id_x 1
		.amdhsa_system_sgpr_workgroup_id_y 1
		.amdhsa_system_sgpr_workgroup_id_z 1
		.amdhsa_system_sgpr_workgroup_info 0
		.amdhsa_system_vgpr_workitem_id 1
		.amdhsa_next_free_vgpr 46
		.amdhsa_next_free_sgpr 22
		.amdhsa_reserve_vcc 1
		.amdhsa_reserve_flat_scratch 0
		.amdhsa_float_round_mode_32 0
		.amdhsa_float_round_mode_16_64 0
		.amdhsa_float_denorm_mode_32 3
		.amdhsa_float_denorm_mode_16_64 3
		.amdhsa_dx10_clamp 1
		.amdhsa_ieee_mode 1
		.amdhsa_fp16_overflow 0
		.amdhsa_workgroup_processor_mode 1
		.amdhsa_memory_ordered 1
		.amdhsa_forward_progress 1
		.amdhsa_shared_vgpr_count 0
		.amdhsa_exception_fp_ieee_invalid_op 0
		.amdhsa_exception_fp_denorm_src 0
		.amdhsa_exception_fp_ieee_div_zero 0
		.amdhsa_exception_fp_ieee_overflow 0
		.amdhsa_exception_fp_ieee_underflow 0
		.amdhsa_exception_fp_ieee_inexact 0
		.amdhsa_exception_int_div_zero 0
	.end_amdhsa_kernel
	.section	.text._ZN12_GLOBAL__N_127rocblas_gemm_batched_kernelIfLi16ELi16ELi32ELi32ELi8ELi32ELi8ELi8ELi32ELc67ELc84EK16rocblas_bfloat16S2_S1_EEvlllT_PT11_llS5_llS3_PT12_llPT13_lli,"axG",@progbits,_ZN12_GLOBAL__N_127rocblas_gemm_batched_kernelIfLi16ELi16ELi32ELi32ELi8ELi32ELi8ELi8ELi32ELc67ELc84EK16rocblas_bfloat16S2_S1_EEvlllT_PT11_llS5_llS3_PT12_llPT13_lli,comdat
.Lfunc_end433:
	.size	_ZN12_GLOBAL__N_127rocblas_gemm_batched_kernelIfLi16ELi16ELi32ELi32ELi8ELi32ELi8ELi8ELi32ELc67ELc84EK16rocblas_bfloat16S2_S1_EEvlllT_PT11_llS5_llS3_PT12_llPT13_lli, .Lfunc_end433-_ZN12_GLOBAL__N_127rocblas_gemm_batched_kernelIfLi16ELi16ELi32ELi32ELi8ELi32ELi8ELi8ELi32ELc67ELc84EK16rocblas_bfloat16S2_S1_EEvlllT_PT11_llS5_llS3_PT12_llPT13_lli
                                        ; -- End function
	.set _ZN12_GLOBAL__N_127rocblas_gemm_batched_kernelIfLi16ELi16ELi32ELi32ELi8ELi32ELi8ELi8ELi32ELc67ELc84EK16rocblas_bfloat16S2_S1_EEvlllT_PT11_llS5_llS3_PT12_llPT13_lli.num_vgpr, 46
	.set _ZN12_GLOBAL__N_127rocblas_gemm_batched_kernelIfLi16ELi16ELi32ELi32ELi8ELi32ELi8ELi8ELi32ELc67ELc84EK16rocblas_bfloat16S2_S1_EEvlllT_PT11_llS5_llS3_PT12_llPT13_lli.num_agpr, 0
	.set _ZN12_GLOBAL__N_127rocblas_gemm_batched_kernelIfLi16ELi16ELi32ELi32ELi8ELi32ELi8ELi8ELi32ELc67ELc84EK16rocblas_bfloat16S2_S1_EEvlllT_PT11_llS5_llS3_PT12_llPT13_lli.numbered_sgpr, 22
	.set _ZN12_GLOBAL__N_127rocblas_gemm_batched_kernelIfLi16ELi16ELi32ELi32ELi8ELi32ELi8ELi8ELi32ELc67ELc84EK16rocblas_bfloat16S2_S1_EEvlllT_PT11_llS5_llS3_PT12_llPT13_lli.num_named_barrier, 0
	.set _ZN12_GLOBAL__N_127rocblas_gemm_batched_kernelIfLi16ELi16ELi32ELi32ELi8ELi32ELi8ELi8ELi32ELc67ELc84EK16rocblas_bfloat16S2_S1_EEvlllT_PT11_llS5_llS3_PT12_llPT13_lli.private_seg_size, 0
	.set _ZN12_GLOBAL__N_127rocblas_gemm_batched_kernelIfLi16ELi16ELi32ELi32ELi8ELi32ELi8ELi8ELi32ELc67ELc84EK16rocblas_bfloat16S2_S1_EEvlllT_PT11_llS5_llS3_PT12_llPT13_lli.uses_vcc, 1
	.set _ZN12_GLOBAL__N_127rocblas_gemm_batched_kernelIfLi16ELi16ELi32ELi32ELi8ELi32ELi8ELi8ELi32ELc67ELc84EK16rocblas_bfloat16S2_S1_EEvlllT_PT11_llS5_llS3_PT12_llPT13_lli.uses_flat_scratch, 0
	.set _ZN12_GLOBAL__N_127rocblas_gemm_batched_kernelIfLi16ELi16ELi32ELi32ELi8ELi32ELi8ELi8ELi32ELc67ELc84EK16rocblas_bfloat16S2_S1_EEvlllT_PT11_llS5_llS3_PT12_llPT13_lli.has_dyn_sized_stack, 0
	.set _ZN12_GLOBAL__N_127rocblas_gemm_batched_kernelIfLi16ELi16ELi32ELi32ELi8ELi32ELi8ELi8ELi32ELc67ELc84EK16rocblas_bfloat16S2_S1_EEvlllT_PT11_llS5_llS3_PT12_llPT13_lli.has_recursion, 0
	.set _ZN12_GLOBAL__N_127rocblas_gemm_batched_kernelIfLi16ELi16ELi32ELi32ELi8ELi32ELi8ELi8ELi32ELc67ELc84EK16rocblas_bfloat16S2_S1_EEvlllT_PT11_llS5_llS3_PT12_llPT13_lli.has_indirect_call, 0
	.section	.AMDGPU.csdata,"",@progbits
; Kernel info:
; codeLenInByte = 2412
; TotalNumSgprs: 24
; NumVgprs: 46
; ScratchSize: 0
; MemoryBound: 0
; FloatMode: 240
; IeeeMode: 1
; LDSByteSize: 2048 bytes/workgroup (compile time only)
; SGPRBlocks: 0
; VGPRBlocks: 5
; NumSGPRsForWavesPerEU: 24
; NumVGPRsForWavesPerEU: 46
; Occupancy: 16
; WaveLimiterHint : 0
; COMPUTE_PGM_RSRC2:SCRATCH_EN: 0
; COMPUTE_PGM_RSRC2:USER_SGPR: 6
; COMPUTE_PGM_RSRC2:TRAP_HANDLER: 0
; COMPUTE_PGM_RSRC2:TGID_X_EN: 1
; COMPUTE_PGM_RSRC2:TGID_Y_EN: 1
; COMPUTE_PGM_RSRC2:TGID_Z_EN: 1
; COMPUTE_PGM_RSRC2:TIDIG_COMP_CNT: 1
	.section	.text._ZN12_GLOBAL__N_127rocblas_gemm_batched_kernelIfLi16ELi16ELi32ELi32ELi8ELi32ELi8ELi8ELi32ELc78ELc67EK16rocblas_bfloat16S2_S1_EEvlllT_PT11_llS5_llS3_PT12_llPT13_lli,"axG",@progbits,_ZN12_GLOBAL__N_127rocblas_gemm_batched_kernelIfLi16ELi16ELi32ELi32ELi8ELi32ELi8ELi8ELi32ELc78ELc67EK16rocblas_bfloat16S2_S1_EEvlllT_PT11_llS5_llS3_PT12_llPT13_lli,comdat
	.globl	_ZN12_GLOBAL__N_127rocblas_gemm_batched_kernelIfLi16ELi16ELi32ELi32ELi8ELi32ELi8ELi8ELi32ELc78ELc67EK16rocblas_bfloat16S2_S1_EEvlllT_PT11_llS5_llS3_PT12_llPT13_lli ; -- Begin function _ZN12_GLOBAL__N_127rocblas_gemm_batched_kernelIfLi16ELi16ELi32ELi32ELi8ELi32ELi8ELi8ELi32ELc78ELc67EK16rocblas_bfloat16S2_S1_EEvlllT_PT11_llS5_llS3_PT12_llPT13_lli
	.p2align	8
	.type	_ZN12_GLOBAL__N_127rocblas_gemm_batched_kernelIfLi16ELi16ELi32ELi32ELi8ELi32ELi8ELi8ELi32ELc78ELc67EK16rocblas_bfloat16S2_S1_EEvlllT_PT11_llS5_llS3_PT12_llPT13_lli,@function
_ZN12_GLOBAL__N_127rocblas_gemm_batched_kernelIfLi16ELi16ELi32ELi32ELi8ELi32ELi8ELi8ELi32ELc78ELc67EK16rocblas_bfloat16S2_S1_EEvlllT_PT11_llS5_llS3_PT12_llPT13_lli: ; @_ZN12_GLOBAL__N_127rocblas_gemm_batched_kernelIfLi16ELi16ELi32ELi32ELi8ELi32ELi8ELi8ELi32ELc78ELc67EK16rocblas_bfloat16S2_S1_EEvlllT_PT11_llS5_llS3_PT12_llPT13_lli
; %bb.0:
	s_load_dwordx2 s[20:21], s[4:5], 0x10
	s_mov_b32 s0, s7
	v_mov_b32_e32 v9, 0
	v_mov_b32_e32 v8, 0
	v_mov_b32_e32 v7, 0
	v_mov_b32_e32 v6, 0
	s_ashr_i32 s7, s6, 31
	s_ashr_i32 s1, s0, 31
	s_lshl_b64 s[6:7], s[6:7], 5
	s_lshl_b64 s[10:11], s[0:1], 5
	s_waitcnt lgkmcnt(0)
	v_cmp_lt_i64_e64 s2, s[20:21], 1
	s_and_b32 vcc_lo, exec_lo, s2
	s_cbranch_vccnz .LBB434_3
; %bb.1:
	s_clause 0x1
	s_load_dwordx8 s[12:19], s[4:5], 0x20
	s_load_dwordx4 s[0:3], s[4:5], 0x40
	v_lshl_add_u32 v2, v1, 4, v0
	v_and_b32_e32 v9, 7, v0
	v_mov_b32_e32 v6, 0
	v_lshlrev_b32_e32 v10, 2, v0
	v_lshl_add_u32 v11, v1, 5, 0x400
	v_lshrrev_b32_e32 v4, 3, v2
	v_and_b32_e32 v14, 31, v2
	v_lshrrev_b32_e32 v7, 5, v2
	v_lshlrev_b32_e32 v5, 2, v9
	v_add_co_u32 v2, s9, v4, s10
	v_add_co_ci_u32_e64 v3, null, 0, s11, s9
	v_lshl_or_b32 v13, v4, 5, v5
	v_lshlrev_b32_e32 v8, 2, v14
	s_waitcnt lgkmcnt(0)
	v_mad_u64_u32 v[4:5], null, s14, v7, s[6:7]
	v_mad_u64_u32 v[2:3], null, s0, v9, v[2:3]
	v_lshl_or_b32 v12, v7, 7, v8
	s_mul_i32 s9, s17, s8
	s_mul_hi_u32 s17, s16, s8
	s_mul_i32 s16, s16, s8
	v_mad_u64_u32 v[7:8], null, s15, v7, v[5:6]
	v_mad_u64_u32 v[8:9], null, s1, v9, v[3:4]
	v_add_co_u32 v4, vcc_lo, v4, v14
	s_add_i32 s17, s17, s9
	s_mul_i32 s3, s3, s8
	v_add_co_ci_u32_e64 v5, null, 0, v7, vcc_lo
	v_mov_b32_e32 v3, v8
	s_lshl_b64 s[16:17], s[16:17], 1
	s_mul_hi_u32 s9, s2, s8
	v_lshlrev_b64 v[4:5], 1, v[4:5]
	s_add_u32 s16, s12, s16
	s_mul_i32 s22, s2, s8
	s_addc_u32 s17, s13, s17
	s_add_i32 s23, s9, s3
	v_lshlrev_b64 v[7:8], 1, v[2:3]
	s_lshl_b64 s[12:13], s[22:23], 1
	s_lshl_b64 s[2:3], s[14:15], 4
	v_add_co_u32 v2, vcc_lo, s16, v4
	s_add_u32 s9, s18, s12
	v_add_co_ci_u32_e64 v3, null, s17, v5, vcc_lo
	s_addc_u32 s12, s19, s13
	v_add_co_u32 v4, vcc_lo, s9, v7
	v_add_nc_u32_e32 v13, 0x400, v13
	v_add_co_ci_u32_e64 v5, null, s12, v8, vcc_lo
	v_mov_b32_e32 v7, 0
	v_mov_b32_e32 v8, 0
	;; [unrolled: 1-line block ×3, first 2 shown]
	s_lshl_b64 s[0:1], s[0:1], 4
	s_mov_b64 s[12:13], 0
.LBB434_2:                              ; =>This Inner Loop Header: Depth=1
	global_load_ushort v14, v[2:3], off
	global_load_ushort v15, v[4:5], off
	s_add_u32 s12, s12, 8
	s_addc_u32 s13, s13, 0
	v_add_co_u32 v2, vcc_lo, v2, s2
	v_cmp_lt_i64_e64 s9, s[12:13], s[20:21]
	v_add_co_ci_u32_e64 v3, null, s3, v3, vcc_lo
	v_add_co_u32 v4, vcc_lo, v4, s0
	v_add_co_ci_u32_e64 v5, null, s1, v5, vcc_lo
	s_and_b32 vcc_lo, exec_lo, s9
	s_waitcnt vmcnt(1)
	v_lshlrev_b32_e32 v14, 16, v14
	s_waitcnt vmcnt(0)
	v_lshlrev_b32_e32 v15, 16, v15
	ds_write_b32 v12, v14
	ds_write_b32 v13, v15
	s_waitcnt lgkmcnt(0)
	s_barrier
	buffer_gl0_inv
	ds_read_b128 v[14:17], v11
	ds_read2_b32 v[30:31], v10 offset1:16
	ds_read_b128 v[18:21], v11 offset:512
	ds_read2_b32 v[32:33], v10 offset0:32 offset1:48
	ds_read2_b32 v[34:35], v10 offset0:64 offset1:80
	ds_read_b128 v[22:25], v11 offset:16
	ds_read2_b32 v[36:37], v10 offset0:96 offset1:112
	ds_read2_b32 v[38:39], v10 offset0:128 offset1:144
	;; [unrolled: 3-line block ×3, first 2 shown]
	ds_read2_b32 v[44:45], v10 offset0:224 offset1:240
	s_waitcnt lgkmcnt(0)
	s_barrier
	buffer_gl0_inv
	v_fmac_f32_e32 v9, v30, v14
	v_fmac_f32_e32 v8, v31, v14
	;; [unrolled: 1-line block ×32, first 2 shown]
	s_cbranch_vccnz .LBB434_2
.LBB434_3:
	s_clause 0x3
	s_load_dwordx4 s[0:3], s[4:5], 0x78
	s_load_dword s9, s[4:5], 0x50
	s_load_dwordx8 s[12:19], s[4:5], 0x58
	s_load_dword s4, s[4:5], 0x18
	v_add_co_u32 v10, s5, s10, v1
	v_add_co_ci_u32_e64 v11, null, s11, 0, s5
	v_add_co_u32 v0, s6, s6, v0
	v_add_co_ci_u32_e64 v1, null, s7, 0, s6
	s_waitcnt lgkmcnt(0)
	s_mul_i32 s3, s3, s8
	s_mul_hi_u32 s5, s2, s8
	s_mul_i32 s2, s2, s8
	s_add_i32 s3, s5, s3
	v_cmp_neq_f32_e64 s5, s9, 0
	s_lshl_b64 s[2:3], s[2:3], 1
	s_add_u32 s2, s18, s2
	s_addc_u32 s3, s19, s3
	s_and_b32 vcc_lo, exec_lo, s5
	s_cbranch_vccnz .LBB434_52
; %bb.4:
	v_mul_f32_e32 v2, s4, v9
	s_mov_b32 s5, exec_lo
                                        ; implicit-def: $vgpr14
	v_and_b32_e32 v3, 0x7f800000, v2
	v_cmpx_ne_u32_e32 0x7f800000, v3
	s_xor_b32 s5, exec_lo, s5
; %bb.5:
	v_bfe_u32 v3, v2, 16, 1
	v_add3_u32 v14, v2, v3, 0x7fff
                                        ; implicit-def: $vgpr2
; %bb.6:
	s_andn2_saveexec_b32 s5, s5
; %bb.7:
	v_mov_b32_e32 v3, 0
	v_or_b32_e32 v4, 0x10000, v2
	v_cmp_eq_u32_sdwa vcc_lo, v2, v3 src0_sel:WORD_0 src1_sel:DWORD
	v_cndmask_b32_e32 v14, v4, v2, vcc_lo
; %bb.8:
	s_or_b32 exec_lo, exec_lo, s5
	v_mul_lo_u32 v4, v11, s0
	v_mul_lo_u32 v5, v10, s1
	v_mad_u64_u32 v[2:3], null, v10, s0, 0
	v_mul_f32_e32 v15, s4, v8
	v_and_b32_e32 v16, 0x7f800000, v15
	v_add3_u32 v3, v3, v5, v4
	v_lshlrev_b64 v[4:5], 1, v[2:3]
	v_lshlrev_b64 v[2:3], 1, v[0:1]
	v_add_co_u32 v12, vcc_lo, s2, v4
	v_add_co_ci_u32_e64 v13, null, s3, v5, vcc_lo
	v_add_co_u32 v4, vcc_lo, v12, v2
	v_add_co_ci_u32_e64 v5, null, v13, v3, vcc_lo
	v_cmp_ne_u32_e32 vcc_lo, 0x7f800000, v16
                                        ; implicit-def: $vgpr16
	global_store_short_d16_hi v[4:5], v14, off
	s_and_saveexec_b32 s5, vcc_lo
	s_xor_b32 s5, exec_lo, s5
; %bb.9:
	v_bfe_u32 v14, v15, 16, 1
	v_add3_u32 v16, v15, v14, 0x7fff
                                        ; implicit-def: $vgpr15
; %bb.10:
	s_andn2_saveexec_b32 s5, s5
; %bb.11:
	v_mov_b32_e32 v14, 0
	v_or_b32_e32 v16, 0x10000, v15
	v_cmp_eq_u32_sdwa vcc_lo, v15, v14 src0_sel:WORD_0 src1_sel:DWORD
	v_cndmask_b32_e32 v16, v16, v15, vcc_lo
; %bb.12:
	s_or_b32 exec_lo, exec_lo, s5
	v_mul_f32_e32 v14, s4, v7
	s_mov_b32 s5, exec_lo
	global_store_short_d16_hi v[4:5], v16, off offset:32
                                        ; implicit-def: $vgpr4
	v_and_b32_e32 v15, 0x7f800000, v14
	v_cmpx_ne_u32_e32 0x7f800000, v15
	s_xor_b32 s5, exec_lo, s5
; %bb.13:
	v_bfe_u32 v4, v14, 16, 1
	v_add3_u32 v4, v14, v4, 0x7fff
                                        ; implicit-def: $vgpr14
; %bb.14:
	s_andn2_saveexec_b32 s5, s5
; %bb.15:
	v_mov_b32_e32 v4, 0
	v_or_b32_e32 v5, 0x10000, v14
	v_cmp_eq_u32_sdwa vcc_lo, v14, v4 src0_sel:WORD_0 src1_sel:DWORD
	v_cndmask_b32_e32 v4, v5, v14, vcc_lo
; %bb.16:
	s_or_b32 exec_lo, exec_lo, s5
	s_lshl_b64 s[6:7], s[0:1], 5
	v_mul_f32_e32 v5, s4, v6
	v_add_co_u32 v12, vcc_lo, v12, s6
	v_add_co_ci_u32_e64 v13, null, s7, v13, vcc_lo
	v_and_b32_e32 v14, 0x7f800000, v5
	v_add_co_u32 v2, vcc_lo, v12, v2
	v_add_co_ci_u32_e64 v3, null, v13, v3, vcc_lo
	s_mov_b32 s5, exec_lo
	global_store_short_d16_hi v[2:3], v4, off
                                        ; implicit-def: $vgpr4
	v_cmpx_ne_u32_e32 0x7f800000, v14
	s_xor_b32 s5, exec_lo, s5
; %bb.17:
	v_bfe_u32 v4, v5, 16, 1
	v_add3_u32 v4, v5, v4, 0x7fff
                                        ; implicit-def: $vgpr5
; %bb.18:
	s_andn2_saveexec_b32 s5, s5
; %bb.19:
	v_mov_b32_e32 v4, 0
	v_or_b32_e32 v12, 0x10000, v5
	v_cmp_eq_u32_sdwa vcc_lo, v5, v4 src0_sel:WORD_0 src1_sel:DWORD
	v_cndmask_b32_e32 v4, v12, v5, vcc_lo
; %bb.20:
	s_or_b32 exec_lo, exec_lo, s5
	global_store_short_d16_hi v[2:3], v4, off offset:32
	s_branch .LBB434_53
.LBB434_21:
	v_mul_lo_u32 v4, v11, s14
	v_mul_lo_u32 v5, v10, s15
	v_mad_u64_u32 v[2:3], null, v10, s14, 0
	s_mul_i32 s5, s17, s8
	s_mul_hi_u32 s7, s16, s8
	s_mul_i32 s6, s16, s8
	s_add_i32 s7, s7, s5
	v_lshlrev_b64 v[0:1], 1, v[0:1]
	s_lshl_b64 s[6:7], s[6:7], 1
	v_add3_u32 v3, v3, v5, v4
	s_add_u32 s5, s12, s6
	s_addc_u32 s6, s13, s7
	v_lshlrev_b64 v[2:3], 1, v[2:3]
	v_add_co_u32 v12, vcc_lo, s5, v2
	v_add_co_ci_u32_e64 v13, null, s6, v3, vcc_lo
	v_add_co_u32 v2, vcc_lo, v12, v0
	v_add_co_ci_u32_e64 v3, null, v13, v1, vcc_lo
	global_load_ushort v4, v[2:3], off
	s_waitcnt vmcnt(0)
	v_lshlrev_b32_e32 v4, 16, v4
	v_mul_f32_e32 v4, s9, v4
	v_and_b32_e32 v5, 0x7f800000, v4
	v_cmp_ne_u32_e32 vcc_lo, 0x7f800000, v5
                                        ; implicit-def: $vgpr5
	s_and_saveexec_b32 s5, vcc_lo
	s_xor_b32 s5, exec_lo, s5
; %bb.22:
	v_bfe_u32 v5, v4, 16, 1
	v_add3_u32 v5, v4, v5, 0x7fff
                                        ; implicit-def: $vgpr4
; %bb.23:
	s_andn2_saveexec_b32 s5, s5
; %bb.24:
	v_mov_b32_e32 v5, 0
	v_or_b32_e32 v14, 0x10000, v4
	v_cmp_eq_u32_sdwa vcc_lo, v4, v5 src0_sel:WORD_0 src1_sel:DWORD
	v_cndmask_b32_e32 v5, v14, v4, vcc_lo
; %bb.25:
	s_or_b32 exec_lo, exec_lo, s5
	v_and_b32_e32 v4, 0xffff0000, v5
	s_mov_b32 s5, exec_lo
                                        ; implicit-def: $vgpr14
	v_fmac_f32_e32 v4, s4, v9
	v_and_b32_e32 v5, 0x7f800000, v4
	v_cmpx_ne_u32_e32 0x7f800000, v5
	s_xor_b32 s5, exec_lo, s5
; %bb.26:
	v_bfe_u32 v5, v4, 16, 1
	v_add3_u32 v14, v4, v5, 0x7fff
                                        ; implicit-def: $vgpr4
; %bb.27:
	s_andn2_saveexec_b32 s5, s5
; %bb.28:
	v_mov_b32_e32 v5, 0
	v_or_b32_e32 v9, 0x10000, v4
	v_cmp_eq_u32_sdwa vcc_lo, v4, v5 src0_sel:WORD_0 src1_sel:DWORD
	v_cndmask_b32_e32 v14, v9, v4, vcc_lo
; %bb.29:
	s_or_b32 exec_lo, exec_lo, s5
	v_mul_lo_u32 v9, v11, s0
	v_mul_lo_u32 v11, v10, s1
	v_mad_u64_u32 v[4:5], null, v10, s0, 0
	v_add3_u32 v5, v5, v11, v9
	v_lshlrev_b64 v[4:5], 1, v[4:5]
	v_add_co_u32 v9, vcc_lo, s2, v4
	v_add_co_ci_u32_e64 v10, null, s3, v5, vcc_lo
	v_add_co_u32 v4, vcc_lo, v9, v0
	v_add_co_ci_u32_e64 v5, null, v10, v1, vcc_lo
	global_store_short_d16_hi v[4:5], v14, off
	global_load_ushort v2, v[2:3], off offset:32
	s_waitcnt vmcnt(0)
	v_lshlrev_b32_e32 v2, 16, v2
	v_mul_f32_e32 v2, s9, v2
	v_and_b32_e32 v3, 0x7f800000, v2
	v_cmp_ne_u32_e32 vcc_lo, 0x7f800000, v3
                                        ; implicit-def: $vgpr3
	s_and_saveexec_b32 s2, vcc_lo
	s_xor_b32 s2, exec_lo, s2
; %bb.30:
	v_bfe_u32 v3, v2, 16, 1
	v_add3_u32 v3, v2, v3, 0x7fff
                                        ; implicit-def: $vgpr2
; %bb.31:
	s_andn2_saveexec_b32 s2, s2
; %bb.32:
	v_mov_b32_e32 v3, 0
	v_or_b32_e32 v11, 0x10000, v2
	v_cmp_eq_u32_sdwa vcc_lo, v2, v3 src0_sel:WORD_0 src1_sel:DWORD
	v_cndmask_b32_e32 v3, v11, v2, vcc_lo
; %bb.33:
	s_or_b32 exec_lo, exec_lo, s2
	v_and_b32_e32 v2, 0xffff0000, v3
	s_mov_b32 s2, exec_lo
	v_fmac_f32_e32 v2, s4, v8
                                        ; implicit-def: $vgpr8
	v_and_b32_e32 v3, 0x7f800000, v2
	v_cmpx_ne_u32_e32 0x7f800000, v3
	s_xor_b32 s2, exec_lo, s2
; %bb.34:
	v_bfe_u32 v3, v2, 16, 1
	v_add3_u32 v8, v2, v3, 0x7fff
                                        ; implicit-def: $vgpr2
; %bb.35:
	s_andn2_saveexec_b32 s2, s2
; %bb.36:
	v_mov_b32_e32 v3, 0
	v_or_b32_e32 v8, 0x10000, v2
	v_cmp_eq_u32_sdwa vcc_lo, v2, v3 src0_sel:WORD_0 src1_sel:DWORD
	v_cndmask_b32_e32 v8, v8, v2, vcc_lo
; %bb.37:
	s_or_b32 exec_lo, exec_lo, s2
	s_lshl_b64 s[2:3], s[14:15], 5
	global_store_short_d16_hi v[4:5], v8, off offset:32
	v_add_co_u32 v2, vcc_lo, v12, s2
	v_add_co_ci_u32_e64 v3, null, s3, v13, vcc_lo
	v_add_co_u32 v2, vcc_lo, v2, v0
	v_add_co_ci_u32_e64 v3, null, v3, v1, vcc_lo
	global_load_ushort v4, v[2:3], off
	s_waitcnt vmcnt(0)
	v_lshlrev_b32_e32 v4, 16, v4
	v_mul_f32_e32 v4, s9, v4
	v_and_b32_e32 v5, 0x7f800000, v4
	v_cmp_ne_u32_e32 vcc_lo, 0x7f800000, v5
                                        ; implicit-def: $vgpr5
	s_and_saveexec_b32 s2, vcc_lo
	s_xor_b32 s2, exec_lo, s2
; %bb.38:
	v_bfe_u32 v5, v4, 16, 1
	v_add3_u32 v5, v4, v5, 0x7fff
                                        ; implicit-def: $vgpr4
; %bb.39:
	s_andn2_saveexec_b32 s2, s2
; %bb.40:
	v_mov_b32_e32 v5, 0
	v_or_b32_e32 v8, 0x10000, v4
	v_cmp_eq_u32_sdwa vcc_lo, v4, v5 src0_sel:WORD_0 src1_sel:DWORD
	v_cndmask_b32_e32 v5, v8, v4, vcc_lo
; %bb.41:
	s_or_b32 exec_lo, exec_lo, s2
	v_and_b32_e32 v5, 0xffff0000, v5
	v_fmac_f32_e32 v5, s4, v7
	v_and_b32_e32 v4, 0x7f800000, v5
	v_cmp_ne_u32_e32 vcc_lo, 0x7f800000, v4
                                        ; implicit-def: $vgpr4
	s_and_saveexec_b32 s2, vcc_lo
	s_xor_b32 s2, exec_lo, s2
; %bb.42:
	v_bfe_u32 v4, v5, 16, 1
	v_add3_u32 v4, v5, v4, 0x7fff
                                        ; implicit-def: $vgpr5
; %bb.43:
	s_andn2_saveexec_b32 s2, s2
; %bb.44:
	v_mov_b32_e32 v4, 0
	v_or_b32_e32 v7, 0x10000, v5
	v_cmp_eq_u32_sdwa vcc_lo, v5, v4 src0_sel:WORD_0 src1_sel:DWORD
	v_cndmask_b32_e32 v4, v7, v5, vcc_lo
; %bb.45:
	s_or_b32 exec_lo, exec_lo, s2
	s_lshl_b64 s[0:1], s[0:1], 5
	v_add_co_u32 v5, vcc_lo, v9, s0
	v_add_co_ci_u32_e64 v7, null, s1, v10, vcc_lo
	v_add_co_u32 v0, vcc_lo, v5, v0
	v_add_co_ci_u32_e64 v1, null, v7, v1, vcc_lo
	global_store_short_d16_hi v[0:1], v4, off
	global_load_ushort v2, v[2:3], off offset:32
	s_waitcnt vmcnt(0)
	v_lshlrev_b32_e32 v2, 16, v2
	v_mul_f32_e32 v2, s9, v2
	v_and_b32_e32 v3, 0x7f800000, v2
	v_cmp_ne_u32_e32 vcc_lo, 0x7f800000, v3
                                        ; implicit-def: $vgpr3
	s_and_saveexec_b32 s0, vcc_lo
	s_xor_b32 s0, exec_lo, s0
; %bb.46:
	v_bfe_u32 v3, v2, 16, 1
	v_add3_u32 v3, v2, v3, 0x7fff
                                        ; implicit-def: $vgpr2
; %bb.47:
	s_andn2_saveexec_b32 s0, s0
; %bb.48:
	v_mov_b32_e32 v3, 0
	v_or_b32_e32 v4, 0x10000, v2
	v_cmp_eq_u32_sdwa vcc_lo, v2, v3 src0_sel:WORD_0 src1_sel:DWORD
	v_cndmask_b32_e32 v3, v4, v2, vcc_lo
; %bb.49:
	s_or_b32 exec_lo, exec_lo, s0
	v_and_b32_e32 v2, 0xffff0000, v3
	v_fmac_f32_e32 v2, s4, v6
	v_and_b32_e32 v3, 0x7f800000, v2
	v_cmp_ne_u32_e32 vcc_lo, 0x7f800000, v3
                                        ; implicit-def: $vgpr3
	s_and_saveexec_b32 s0, vcc_lo
	s_xor_b32 s0, exec_lo, s0
	s_cbranch_execnz .LBB434_54
; %bb.50:
	s_andn2_saveexec_b32 s0, s0
	s_cbranch_execnz .LBB434_55
.LBB434_51:
	s_or_b32 exec_lo, exec_lo, s0
	global_store_short_d16_hi v[0:1], v3, off offset:32
	s_endpgm
.LBB434_52:
	s_cbranch_execnz .LBB434_21
.LBB434_53:
	s_endpgm
.LBB434_54:
	v_bfe_u32 v3, v2, 16, 1
	v_add3_u32 v3, v2, v3, 0x7fff
                                        ; implicit-def: $vgpr2
	s_andn2_saveexec_b32 s0, s0
	s_cbranch_execz .LBB434_51
.LBB434_55:
	v_mov_b32_e32 v3, 0
	v_or_b32_e32 v4, 0x10000, v2
	v_cmp_eq_u32_sdwa vcc_lo, v2, v3 src0_sel:WORD_0 src1_sel:DWORD
	v_cndmask_b32_e32 v3, v4, v2, vcc_lo
	s_or_b32 exec_lo, exec_lo, s0
	global_store_short_d16_hi v[0:1], v3, off offset:32
	s_endpgm
	.section	.rodata,"a",@progbits
	.p2align	6, 0x0
	.amdhsa_kernel _ZN12_GLOBAL__N_127rocblas_gemm_batched_kernelIfLi16ELi16ELi32ELi32ELi8ELi32ELi8ELi8ELi32ELc78ELc67EK16rocblas_bfloat16S2_S1_EEvlllT_PT11_llS5_llS3_PT12_llPT13_lli
		.amdhsa_group_segment_fixed_size 2048
		.amdhsa_private_segment_fixed_size 0
		.amdhsa_kernarg_size 140
		.amdhsa_user_sgpr_count 6
		.amdhsa_user_sgpr_private_segment_buffer 1
		.amdhsa_user_sgpr_dispatch_ptr 0
		.amdhsa_user_sgpr_queue_ptr 0
		.amdhsa_user_sgpr_kernarg_segment_ptr 1
		.amdhsa_user_sgpr_dispatch_id 0
		.amdhsa_user_sgpr_flat_scratch_init 0
		.amdhsa_user_sgpr_private_segment_size 0
		.amdhsa_wavefront_size32 1
		.amdhsa_uses_dynamic_stack 0
		.amdhsa_system_sgpr_private_segment_wavefront_offset 0
		.amdhsa_system_sgpr_workgroup_id_x 1
		.amdhsa_system_sgpr_workgroup_id_y 1
		.amdhsa_system_sgpr_workgroup_id_z 1
		.amdhsa_system_sgpr_workgroup_info 0
		.amdhsa_system_vgpr_workitem_id 1
		.amdhsa_next_free_vgpr 46
		.amdhsa_next_free_sgpr 24
		.amdhsa_reserve_vcc 1
		.amdhsa_reserve_flat_scratch 0
		.amdhsa_float_round_mode_32 0
		.amdhsa_float_round_mode_16_64 0
		.amdhsa_float_denorm_mode_32 3
		.amdhsa_float_denorm_mode_16_64 3
		.amdhsa_dx10_clamp 1
		.amdhsa_ieee_mode 1
		.amdhsa_fp16_overflow 0
		.amdhsa_workgroup_processor_mode 1
		.amdhsa_memory_ordered 1
		.amdhsa_forward_progress 1
		.amdhsa_shared_vgpr_count 0
		.amdhsa_exception_fp_ieee_invalid_op 0
		.amdhsa_exception_fp_denorm_src 0
		.amdhsa_exception_fp_ieee_div_zero 0
		.amdhsa_exception_fp_ieee_overflow 0
		.amdhsa_exception_fp_ieee_underflow 0
		.amdhsa_exception_fp_ieee_inexact 0
		.amdhsa_exception_int_div_zero 0
	.end_amdhsa_kernel
	.section	.text._ZN12_GLOBAL__N_127rocblas_gemm_batched_kernelIfLi16ELi16ELi32ELi32ELi8ELi32ELi8ELi8ELi32ELc78ELc67EK16rocblas_bfloat16S2_S1_EEvlllT_PT11_llS5_llS3_PT12_llPT13_lli,"axG",@progbits,_ZN12_GLOBAL__N_127rocblas_gemm_batched_kernelIfLi16ELi16ELi32ELi32ELi8ELi32ELi8ELi8ELi32ELc78ELc67EK16rocblas_bfloat16S2_S1_EEvlllT_PT11_llS5_llS3_PT12_llPT13_lli,comdat
.Lfunc_end434:
	.size	_ZN12_GLOBAL__N_127rocblas_gemm_batched_kernelIfLi16ELi16ELi32ELi32ELi8ELi32ELi8ELi8ELi32ELc78ELc67EK16rocblas_bfloat16S2_S1_EEvlllT_PT11_llS5_llS3_PT12_llPT13_lli, .Lfunc_end434-_ZN12_GLOBAL__N_127rocblas_gemm_batched_kernelIfLi16ELi16ELi32ELi32ELi8ELi32ELi8ELi8ELi32ELc78ELc67EK16rocblas_bfloat16S2_S1_EEvlllT_PT11_llS5_llS3_PT12_llPT13_lli
                                        ; -- End function
	.set _ZN12_GLOBAL__N_127rocblas_gemm_batched_kernelIfLi16ELi16ELi32ELi32ELi8ELi32ELi8ELi8ELi32ELc78ELc67EK16rocblas_bfloat16S2_S1_EEvlllT_PT11_llS5_llS3_PT12_llPT13_lli.num_vgpr, 46
	.set _ZN12_GLOBAL__N_127rocblas_gemm_batched_kernelIfLi16ELi16ELi32ELi32ELi8ELi32ELi8ELi8ELi32ELc78ELc67EK16rocblas_bfloat16S2_S1_EEvlllT_PT11_llS5_llS3_PT12_llPT13_lli.num_agpr, 0
	.set _ZN12_GLOBAL__N_127rocblas_gemm_batched_kernelIfLi16ELi16ELi32ELi32ELi8ELi32ELi8ELi8ELi32ELc78ELc67EK16rocblas_bfloat16S2_S1_EEvlllT_PT11_llS5_llS3_PT12_llPT13_lli.numbered_sgpr, 24
	.set _ZN12_GLOBAL__N_127rocblas_gemm_batched_kernelIfLi16ELi16ELi32ELi32ELi8ELi32ELi8ELi8ELi32ELc78ELc67EK16rocblas_bfloat16S2_S1_EEvlllT_PT11_llS5_llS3_PT12_llPT13_lli.num_named_barrier, 0
	.set _ZN12_GLOBAL__N_127rocblas_gemm_batched_kernelIfLi16ELi16ELi32ELi32ELi8ELi32ELi8ELi8ELi32ELc78ELc67EK16rocblas_bfloat16S2_S1_EEvlllT_PT11_llS5_llS3_PT12_llPT13_lli.private_seg_size, 0
	.set _ZN12_GLOBAL__N_127rocblas_gemm_batched_kernelIfLi16ELi16ELi32ELi32ELi8ELi32ELi8ELi8ELi32ELc78ELc67EK16rocblas_bfloat16S2_S1_EEvlllT_PT11_llS5_llS3_PT12_llPT13_lli.uses_vcc, 1
	.set _ZN12_GLOBAL__N_127rocblas_gemm_batched_kernelIfLi16ELi16ELi32ELi32ELi8ELi32ELi8ELi8ELi32ELc78ELc67EK16rocblas_bfloat16S2_S1_EEvlllT_PT11_llS5_llS3_PT12_llPT13_lli.uses_flat_scratch, 0
	.set _ZN12_GLOBAL__N_127rocblas_gemm_batched_kernelIfLi16ELi16ELi32ELi32ELi8ELi32ELi8ELi8ELi32ELc78ELc67EK16rocblas_bfloat16S2_S1_EEvlllT_PT11_llS5_llS3_PT12_llPT13_lli.has_dyn_sized_stack, 0
	.set _ZN12_GLOBAL__N_127rocblas_gemm_batched_kernelIfLi16ELi16ELi32ELi32ELi8ELi32ELi8ELi8ELi32ELc78ELc67EK16rocblas_bfloat16S2_S1_EEvlllT_PT11_llS5_llS3_PT12_llPT13_lli.has_recursion, 0
	.set _ZN12_GLOBAL__N_127rocblas_gemm_batched_kernelIfLi16ELi16ELi32ELi32ELi8ELi32ELi8ELi8ELi32ELc78ELc67EK16rocblas_bfloat16S2_S1_EEvlllT_PT11_llS5_llS3_PT12_llPT13_lli.has_indirect_call, 0
	.section	.AMDGPU.csdata,"",@progbits
; Kernel info:
; codeLenInByte = 2372
; TotalNumSgprs: 26
; NumVgprs: 46
; ScratchSize: 0
; MemoryBound: 0
; FloatMode: 240
; IeeeMode: 1
; LDSByteSize: 2048 bytes/workgroup (compile time only)
; SGPRBlocks: 0
; VGPRBlocks: 5
; NumSGPRsForWavesPerEU: 26
; NumVGPRsForWavesPerEU: 46
; Occupancy: 16
; WaveLimiterHint : 0
; COMPUTE_PGM_RSRC2:SCRATCH_EN: 0
; COMPUTE_PGM_RSRC2:USER_SGPR: 6
; COMPUTE_PGM_RSRC2:TRAP_HANDLER: 0
; COMPUTE_PGM_RSRC2:TGID_X_EN: 1
; COMPUTE_PGM_RSRC2:TGID_Y_EN: 1
; COMPUTE_PGM_RSRC2:TGID_Z_EN: 1
; COMPUTE_PGM_RSRC2:TIDIG_COMP_CNT: 1
	.section	.text._ZN12_GLOBAL__N_127rocblas_gemm_batched_kernelIfLi16ELi16ELi32ELi32ELi8ELi32ELi8ELi8ELi32ELc84ELc67EK16rocblas_bfloat16S2_S1_EEvlllT_PT11_llS5_llS3_PT12_llPT13_lli,"axG",@progbits,_ZN12_GLOBAL__N_127rocblas_gemm_batched_kernelIfLi16ELi16ELi32ELi32ELi8ELi32ELi8ELi8ELi32ELc84ELc67EK16rocblas_bfloat16S2_S1_EEvlllT_PT11_llS5_llS3_PT12_llPT13_lli,comdat
	.globl	_ZN12_GLOBAL__N_127rocblas_gemm_batched_kernelIfLi16ELi16ELi32ELi32ELi8ELi32ELi8ELi8ELi32ELc84ELc67EK16rocblas_bfloat16S2_S1_EEvlllT_PT11_llS5_llS3_PT12_llPT13_lli ; -- Begin function _ZN12_GLOBAL__N_127rocblas_gemm_batched_kernelIfLi16ELi16ELi32ELi32ELi8ELi32ELi8ELi8ELi32ELc84ELc67EK16rocblas_bfloat16S2_S1_EEvlllT_PT11_llS5_llS3_PT12_llPT13_lli
	.p2align	8
	.type	_ZN12_GLOBAL__N_127rocblas_gemm_batched_kernelIfLi16ELi16ELi32ELi32ELi8ELi32ELi8ELi8ELi32ELc84ELc67EK16rocblas_bfloat16S2_S1_EEvlllT_PT11_llS5_llS3_PT12_llPT13_lli,@function
_ZN12_GLOBAL__N_127rocblas_gemm_batched_kernelIfLi16ELi16ELi32ELi32ELi8ELi32ELi8ELi8ELi32ELc84ELc67EK16rocblas_bfloat16S2_S1_EEvlllT_PT11_llS5_llS3_PT12_llPT13_lli: ; @_ZN12_GLOBAL__N_127rocblas_gemm_batched_kernelIfLi16ELi16ELi32ELi32ELi8ELi32ELi8ELi8ELi32ELc84ELc67EK16rocblas_bfloat16S2_S1_EEvlllT_PT11_llS5_llS3_PT12_llPT13_lli
; %bb.0:
	s_load_dwordx2 s[20:21], s[4:5], 0x10
	s_mov_b32 s0, s7
	v_mov_b32_e32 v9, 0
	v_mov_b32_e32 v8, 0
	;; [unrolled: 1-line block ×4, first 2 shown]
	s_ashr_i32 s7, s6, 31
	s_ashr_i32 s1, s0, 31
	s_lshl_b64 s[6:7], s[6:7], 5
	s_lshl_b64 s[10:11], s[0:1], 5
	s_waitcnt lgkmcnt(0)
	v_cmp_lt_i64_e64 s2, s[20:21], 1
	s_and_b32 vcc_lo, exec_lo, s2
	s_cbranch_vccnz .LBB435_3
; %bb.1:
	s_clause 0x1
	s_load_dwordx8 s[12:19], s[4:5], 0x20
	s_load_dwordx4 s[0:3], s[4:5], 0x40
	v_lshl_add_u32 v2, v1, 4, v0
	v_and_b32_e32 v7, 7, v0
	v_mov_b32_e32 v6, 0
	v_lshlrev_b32_e32 v10, 2, v0
	v_lshrrev_b32_e32 v8, 3, v2
	v_and_b32_e32 v9, 31, v2
	v_lshrrev_b32_e32 v12, 5, v2
	v_lshlrev_b32_e32 v11, 2, v7
	v_add_co_u32 v2, s9, v8, s10
	v_add_co_ci_u32_e64 v3, null, 0, s11, s9
	v_add_co_u32 v4, s9, s6, v9
	v_add_co_ci_u32_e64 v5, null, s7, 0, s9
	v_lshl_or_b32 v8, v8, 5, v11
	s_waitcnt lgkmcnt(0)
	v_mul_lo_u32 v14, s15, v4
	v_mad_u64_u32 v[2:3], null, s0, v7, v[2:3]
	v_mul_lo_u32 v15, s14, v5
	v_mad_u64_u32 v[4:5], null, s14, v4, 0
	v_add_nc_u32_e32 v13, 0x400, v8
	s_mul_i32 s9, s17, s8
	s_mul_hi_u32 s15, s16, s8
	s_mul_i32 s14, s16, s8
	s_add_i32 s15, s15, s9
	v_lshlrev_b32_e32 v16, 1, v12
	v_add3_u32 v5, v5, v15, v14
	v_mad_u64_u32 v[7:8], null, s1, v7, v[3:4]
	s_lshl_b64 s[14:15], s[14:15], 1
	s_mul_i32 s3, s3, s8
	v_lshlrev_b64 v[4:5], 1, v[4:5]
	s_mul_hi_u32 s9, s2, s8
	s_mul_i32 s2, s2, s8
	s_add_i32 s3, s9, s3
	v_mov_b32_e32 v3, v7
	s_lshl_b64 s[2:3], s[2:3], 1
	v_add_co_u32 v4, vcc_lo, v4, s14
	v_add_co_ci_u32_e64 v5, null, s15, v5, vcc_lo
	v_lshlrev_b32_e32 v9, 2, v9
	v_add_co_u32 v7, vcc_lo, v4, v16
	v_add_co_ci_u32_e64 v8, null, 0, v5, vcc_lo
	v_lshlrev_b64 v[4:5], 1, v[2:3]
	v_add_co_u32 v2, vcc_lo, s12, v7
	s_add_u32 s2, s18, s2
	v_add_co_ci_u32_e64 v3, null, s13, v8, vcc_lo
	s_addc_u32 s3, s19, s3
	v_add_co_u32 v4, vcc_lo, s2, v4
	v_lshl_add_u32 v11, v1, 5, 0x400
	v_lshl_or_b32 v12, v12, 7, v9
	v_add_co_ci_u32_e64 v5, null, s3, v5, vcc_lo
	v_mov_b32_e32 v7, 0
	v_mov_b32_e32 v8, 0
	;; [unrolled: 1-line block ×3, first 2 shown]
	s_lshl_b64 s[0:1], s[0:1], 4
	s_mov_b64 s[2:3], 0
.LBB435_2:                              ; =>This Inner Loop Header: Depth=1
	global_load_ushort v14, v[2:3], off
	global_load_ushort v15, v[4:5], off
	s_add_u32 s2, s2, 8
	s_addc_u32 s3, s3, 0
	v_add_co_u32 v2, vcc_lo, v2, 16
	v_cmp_lt_i64_e64 s9, s[2:3], s[20:21]
	v_add_co_ci_u32_e64 v3, null, 0, v3, vcc_lo
	v_add_co_u32 v4, vcc_lo, v4, s0
	v_add_co_ci_u32_e64 v5, null, s1, v5, vcc_lo
	s_and_b32 vcc_lo, exec_lo, s9
	s_waitcnt vmcnt(1)
	v_lshlrev_b32_e32 v14, 16, v14
	s_waitcnt vmcnt(0)
	v_lshlrev_b32_e32 v15, 16, v15
	ds_write_b32 v12, v14
	ds_write_b32 v13, v15
	s_waitcnt lgkmcnt(0)
	s_barrier
	buffer_gl0_inv
	ds_read_b128 v[14:17], v11
	ds_read2_b32 v[30:31], v10 offset1:16
	ds_read_b128 v[18:21], v11 offset:512
	ds_read2_b32 v[32:33], v10 offset0:32 offset1:48
	ds_read2_b32 v[34:35], v10 offset0:64 offset1:80
	ds_read_b128 v[22:25], v11 offset:16
	ds_read2_b32 v[36:37], v10 offset0:96 offset1:112
	ds_read2_b32 v[38:39], v10 offset0:128 offset1:144
	;; [unrolled: 3-line block ×3, first 2 shown]
	ds_read2_b32 v[44:45], v10 offset0:224 offset1:240
	s_waitcnt lgkmcnt(0)
	s_barrier
	buffer_gl0_inv
	v_fmac_f32_e32 v9, v30, v14
	v_fmac_f32_e32 v8, v31, v14
	;; [unrolled: 1-line block ×32, first 2 shown]
	s_cbranch_vccnz .LBB435_2
.LBB435_3:
	s_clause 0x3
	s_load_dwordx4 s[0:3], s[4:5], 0x78
	s_load_dword s9, s[4:5], 0x50
	s_load_dwordx8 s[12:19], s[4:5], 0x58
	s_load_dword s4, s[4:5], 0x18
	v_add_co_u32 v10, s5, s10, v1
	v_add_co_ci_u32_e64 v11, null, s11, 0, s5
	v_add_co_u32 v0, s6, s6, v0
	v_add_co_ci_u32_e64 v1, null, s7, 0, s6
	s_waitcnt lgkmcnt(0)
	s_mul_i32 s3, s3, s8
	s_mul_hi_u32 s5, s2, s8
	s_mul_i32 s2, s2, s8
	s_add_i32 s3, s5, s3
	v_cmp_neq_f32_e64 s5, s9, 0
	s_lshl_b64 s[2:3], s[2:3], 1
	s_add_u32 s2, s18, s2
	s_addc_u32 s3, s19, s3
	s_and_b32 vcc_lo, exec_lo, s5
	s_cbranch_vccnz .LBB435_52
; %bb.4:
	v_mul_f32_e32 v2, s4, v9
	s_mov_b32 s5, exec_lo
                                        ; implicit-def: $vgpr14
	v_and_b32_e32 v3, 0x7f800000, v2
	v_cmpx_ne_u32_e32 0x7f800000, v3
	s_xor_b32 s5, exec_lo, s5
; %bb.5:
	v_bfe_u32 v3, v2, 16, 1
	v_add3_u32 v14, v2, v3, 0x7fff
                                        ; implicit-def: $vgpr2
; %bb.6:
	s_andn2_saveexec_b32 s5, s5
; %bb.7:
	v_mov_b32_e32 v3, 0
	v_or_b32_e32 v4, 0x10000, v2
	v_cmp_eq_u32_sdwa vcc_lo, v2, v3 src0_sel:WORD_0 src1_sel:DWORD
	v_cndmask_b32_e32 v14, v4, v2, vcc_lo
; %bb.8:
	s_or_b32 exec_lo, exec_lo, s5
	v_mul_lo_u32 v4, v11, s0
	v_mul_lo_u32 v5, v10, s1
	v_mad_u64_u32 v[2:3], null, v10, s0, 0
	v_mul_f32_e32 v15, s4, v8
	v_and_b32_e32 v16, 0x7f800000, v15
	v_add3_u32 v3, v3, v5, v4
	v_lshlrev_b64 v[4:5], 1, v[2:3]
	v_lshlrev_b64 v[2:3], 1, v[0:1]
	v_add_co_u32 v12, vcc_lo, s2, v4
	v_add_co_ci_u32_e64 v13, null, s3, v5, vcc_lo
	v_add_co_u32 v4, vcc_lo, v12, v2
	v_add_co_ci_u32_e64 v5, null, v13, v3, vcc_lo
	v_cmp_ne_u32_e32 vcc_lo, 0x7f800000, v16
                                        ; implicit-def: $vgpr16
	global_store_short_d16_hi v[4:5], v14, off
	s_and_saveexec_b32 s5, vcc_lo
	s_xor_b32 s5, exec_lo, s5
; %bb.9:
	v_bfe_u32 v14, v15, 16, 1
	v_add3_u32 v16, v15, v14, 0x7fff
                                        ; implicit-def: $vgpr15
; %bb.10:
	s_andn2_saveexec_b32 s5, s5
; %bb.11:
	v_mov_b32_e32 v14, 0
	v_or_b32_e32 v16, 0x10000, v15
	v_cmp_eq_u32_sdwa vcc_lo, v15, v14 src0_sel:WORD_0 src1_sel:DWORD
	v_cndmask_b32_e32 v16, v16, v15, vcc_lo
; %bb.12:
	s_or_b32 exec_lo, exec_lo, s5
	v_mul_f32_e32 v14, s4, v7
	s_mov_b32 s5, exec_lo
	global_store_short_d16_hi v[4:5], v16, off offset:32
                                        ; implicit-def: $vgpr4
	v_and_b32_e32 v15, 0x7f800000, v14
	v_cmpx_ne_u32_e32 0x7f800000, v15
	s_xor_b32 s5, exec_lo, s5
; %bb.13:
	v_bfe_u32 v4, v14, 16, 1
	v_add3_u32 v4, v14, v4, 0x7fff
                                        ; implicit-def: $vgpr14
; %bb.14:
	s_andn2_saveexec_b32 s5, s5
; %bb.15:
	v_mov_b32_e32 v4, 0
	v_or_b32_e32 v5, 0x10000, v14
	v_cmp_eq_u32_sdwa vcc_lo, v14, v4 src0_sel:WORD_0 src1_sel:DWORD
	v_cndmask_b32_e32 v4, v5, v14, vcc_lo
; %bb.16:
	s_or_b32 exec_lo, exec_lo, s5
	s_lshl_b64 s[6:7], s[0:1], 5
	v_mul_f32_e32 v5, s4, v6
	v_add_co_u32 v12, vcc_lo, v12, s6
	v_add_co_ci_u32_e64 v13, null, s7, v13, vcc_lo
	v_and_b32_e32 v14, 0x7f800000, v5
	v_add_co_u32 v2, vcc_lo, v12, v2
	v_add_co_ci_u32_e64 v3, null, v13, v3, vcc_lo
	s_mov_b32 s5, exec_lo
	global_store_short_d16_hi v[2:3], v4, off
                                        ; implicit-def: $vgpr4
	v_cmpx_ne_u32_e32 0x7f800000, v14
	s_xor_b32 s5, exec_lo, s5
; %bb.17:
	v_bfe_u32 v4, v5, 16, 1
	v_add3_u32 v4, v5, v4, 0x7fff
                                        ; implicit-def: $vgpr5
; %bb.18:
	s_andn2_saveexec_b32 s5, s5
; %bb.19:
	v_mov_b32_e32 v4, 0
	v_or_b32_e32 v12, 0x10000, v5
	v_cmp_eq_u32_sdwa vcc_lo, v5, v4 src0_sel:WORD_0 src1_sel:DWORD
	v_cndmask_b32_e32 v4, v12, v5, vcc_lo
; %bb.20:
	s_or_b32 exec_lo, exec_lo, s5
	global_store_short_d16_hi v[2:3], v4, off offset:32
	s_branch .LBB435_53
.LBB435_21:
	v_mul_lo_u32 v4, v11, s14
	v_mul_lo_u32 v5, v10, s15
	v_mad_u64_u32 v[2:3], null, v10, s14, 0
	s_mul_i32 s5, s17, s8
	s_mul_hi_u32 s7, s16, s8
	s_mul_i32 s6, s16, s8
	s_add_i32 s7, s7, s5
	v_lshlrev_b64 v[0:1], 1, v[0:1]
	s_lshl_b64 s[6:7], s[6:7], 1
	v_add3_u32 v3, v3, v5, v4
	s_add_u32 s5, s12, s6
	s_addc_u32 s6, s13, s7
	v_lshlrev_b64 v[2:3], 1, v[2:3]
	v_add_co_u32 v12, vcc_lo, s5, v2
	v_add_co_ci_u32_e64 v13, null, s6, v3, vcc_lo
	v_add_co_u32 v2, vcc_lo, v12, v0
	v_add_co_ci_u32_e64 v3, null, v13, v1, vcc_lo
	global_load_ushort v4, v[2:3], off
	s_waitcnt vmcnt(0)
	v_lshlrev_b32_e32 v4, 16, v4
	v_mul_f32_e32 v4, s9, v4
	v_and_b32_e32 v5, 0x7f800000, v4
	v_cmp_ne_u32_e32 vcc_lo, 0x7f800000, v5
                                        ; implicit-def: $vgpr5
	s_and_saveexec_b32 s5, vcc_lo
	s_xor_b32 s5, exec_lo, s5
; %bb.22:
	v_bfe_u32 v5, v4, 16, 1
	v_add3_u32 v5, v4, v5, 0x7fff
                                        ; implicit-def: $vgpr4
; %bb.23:
	s_andn2_saveexec_b32 s5, s5
; %bb.24:
	v_mov_b32_e32 v5, 0
	v_or_b32_e32 v14, 0x10000, v4
	v_cmp_eq_u32_sdwa vcc_lo, v4, v5 src0_sel:WORD_0 src1_sel:DWORD
	v_cndmask_b32_e32 v5, v14, v4, vcc_lo
; %bb.25:
	s_or_b32 exec_lo, exec_lo, s5
	v_and_b32_e32 v4, 0xffff0000, v5
	s_mov_b32 s5, exec_lo
                                        ; implicit-def: $vgpr14
	v_fmac_f32_e32 v4, s4, v9
	v_and_b32_e32 v5, 0x7f800000, v4
	v_cmpx_ne_u32_e32 0x7f800000, v5
	s_xor_b32 s5, exec_lo, s5
; %bb.26:
	v_bfe_u32 v5, v4, 16, 1
	v_add3_u32 v14, v4, v5, 0x7fff
                                        ; implicit-def: $vgpr4
; %bb.27:
	s_andn2_saveexec_b32 s5, s5
; %bb.28:
	v_mov_b32_e32 v5, 0
	v_or_b32_e32 v9, 0x10000, v4
	v_cmp_eq_u32_sdwa vcc_lo, v4, v5 src0_sel:WORD_0 src1_sel:DWORD
	v_cndmask_b32_e32 v14, v9, v4, vcc_lo
; %bb.29:
	s_or_b32 exec_lo, exec_lo, s5
	v_mul_lo_u32 v9, v11, s0
	v_mul_lo_u32 v11, v10, s1
	v_mad_u64_u32 v[4:5], null, v10, s0, 0
	v_add3_u32 v5, v5, v11, v9
	v_lshlrev_b64 v[4:5], 1, v[4:5]
	v_add_co_u32 v9, vcc_lo, s2, v4
	v_add_co_ci_u32_e64 v10, null, s3, v5, vcc_lo
	v_add_co_u32 v4, vcc_lo, v9, v0
	v_add_co_ci_u32_e64 v5, null, v10, v1, vcc_lo
	global_store_short_d16_hi v[4:5], v14, off
	global_load_ushort v2, v[2:3], off offset:32
	s_waitcnt vmcnt(0)
	v_lshlrev_b32_e32 v2, 16, v2
	v_mul_f32_e32 v2, s9, v2
	v_and_b32_e32 v3, 0x7f800000, v2
	v_cmp_ne_u32_e32 vcc_lo, 0x7f800000, v3
                                        ; implicit-def: $vgpr3
	s_and_saveexec_b32 s2, vcc_lo
	s_xor_b32 s2, exec_lo, s2
; %bb.30:
	v_bfe_u32 v3, v2, 16, 1
	v_add3_u32 v3, v2, v3, 0x7fff
                                        ; implicit-def: $vgpr2
; %bb.31:
	s_andn2_saveexec_b32 s2, s2
; %bb.32:
	v_mov_b32_e32 v3, 0
	v_or_b32_e32 v11, 0x10000, v2
	v_cmp_eq_u32_sdwa vcc_lo, v2, v3 src0_sel:WORD_0 src1_sel:DWORD
	v_cndmask_b32_e32 v3, v11, v2, vcc_lo
; %bb.33:
	s_or_b32 exec_lo, exec_lo, s2
	v_and_b32_e32 v2, 0xffff0000, v3
	s_mov_b32 s2, exec_lo
	v_fmac_f32_e32 v2, s4, v8
                                        ; implicit-def: $vgpr8
	v_and_b32_e32 v3, 0x7f800000, v2
	v_cmpx_ne_u32_e32 0x7f800000, v3
	s_xor_b32 s2, exec_lo, s2
; %bb.34:
	v_bfe_u32 v3, v2, 16, 1
	v_add3_u32 v8, v2, v3, 0x7fff
                                        ; implicit-def: $vgpr2
; %bb.35:
	s_andn2_saveexec_b32 s2, s2
; %bb.36:
	v_mov_b32_e32 v3, 0
	v_or_b32_e32 v8, 0x10000, v2
	v_cmp_eq_u32_sdwa vcc_lo, v2, v3 src0_sel:WORD_0 src1_sel:DWORD
	v_cndmask_b32_e32 v8, v8, v2, vcc_lo
; %bb.37:
	s_or_b32 exec_lo, exec_lo, s2
	s_lshl_b64 s[2:3], s[14:15], 5
	global_store_short_d16_hi v[4:5], v8, off offset:32
	v_add_co_u32 v2, vcc_lo, v12, s2
	v_add_co_ci_u32_e64 v3, null, s3, v13, vcc_lo
	v_add_co_u32 v2, vcc_lo, v2, v0
	v_add_co_ci_u32_e64 v3, null, v3, v1, vcc_lo
	global_load_ushort v4, v[2:3], off
	s_waitcnt vmcnt(0)
	v_lshlrev_b32_e32 v4, 16, v4
	v_mul_f32_e32 v4, s9, v4
	v_and_b32_e32 v5, 0x7f800000, v4
	v_cmp_ne_u32_e32 vcc_lo, 0x7f800000, v5
                                        ; implicit-def: $vgpr5
	s_and_saveexec_b32 s2, vcc_lo
	s_xor_b32 s2, exec_lo, s2
; %bb.38:
	v_bfe_u32 v5, v4, 16, 1
	v_add3_u32 v5, v4, v5, 0x7fff
                                        ; implicit-def: $vgpr4
; %bb.39:
	s_andn2_saveexec_b32 s2, s2
; %bb.40:
	v_mov_b32_e32 v5, 0
	v_or_b32_e32 v8, 0x10000, v4
	v_cmp_eq_u32_sdwa vcc_lo, v4, v5 src0_sel:WORD_0 src1_sel:DWORD
	v_cndmask_b32_e32 v5, v8, v4, vcc_lo
; %bb.41:
	s_or_b32 exec_lo, exec_lo, s2
	v_and_b32_e32 v5, 0xffff0000, v5
	v_fmac_f32_e32 v5, s4, v7
	v_and_b32_e32 v4, 0x7f800000, v5
	v_cmp_ne_u32_e32 vcc_lo, 0x7f800000, v4
                                        ; implicit-def: $vgpr4
	s_and_saveexec_b32 s2, vcc_lo
	s_xor_b32 s2, exec_lo, s2
; %bb.42:
	v_bfe_u32 v4, v5, 16, 1
	v_add3_u32 v4, v5, v4, 0x7fff
                                        ; implicit-def: $vgpr5
; %bb.43:
	s_andn2_saveexec_b32 s2, s2
; %bb.44:
	v_mov_b32_e32 v4, 0
	v_or_b32_e32 v7, 0x10000, v5
	v_cmp_eq_u32_sdwa vcc_lo, v5, v4 src0_sel:WORD_0 src1_sel:DWORD
	v_cndmask_b32_e32 v4, v7, v5, vcc_lo
; %bb.45:
	s_or_b32 exec_lo, exec_lo, s2
	s_lshl_b64 s[0:1], s[0:1], 5
	v_add_co_u32 v5, vcc_lo, v9, s0
	v_add_co_ci_u32_e64 v7, null, s1, v10, vcc_lo
	v_add_co_u32 v0, vcc_lo, v5, v0
	v_add_co_ci_u32_e64 v1, null, v7, v1, vcc_lo
	global_store_short_d16_hi v[0:1], v4, off
	global_load_ushort v2, v[2:3], off offset:32
	s_waitcnt vmcnt(0)
	v_lshlrev_b32_e32 v2, 16, v2
	v_mul_f32_e32 v2, s9, v2
	v_and_b32_e32 v3, 0x7f800000, v2
	v_cmp_ne_u32_e32 vcc_lo, 0x7f800000, v3
                                        ; implicit-def: $vgpr3
	s_and_saveexec_b32 s0, vcc_lo
	s_xor_b32 s0, exec_lo, s0
; %bb.46:
	v_bfe_u32 v3, v2, 16, 1
	v_add3_u32 v3, v2, v3, 0x7fff
                                        ; implicit-def: $vgpr2
; %bb.47:
	s_andn2_saveexec_b32 s0, s0
; %bb.48:
	v_mov_b32_e32 v3, 0
	v_or_b32_e32 v4, 0x10000, v2
	v_cmp_eq_u32_sdwa vcc_lo, v2, v3 src0_sel:WORD_0 src1_sel:DWORD
	v_cndmask_b32_e32 v3, v4, v2, vcc_lo
; %bb.49:
	s_or_b32 exec_lo, exec_lo, s0
	v_and_b32_e32 v2, 0xffff0000, v3
	v_fmac_f32_e32 v2, s4, v6
	v_and_b32_e32 v3, 0x7f800000, v2
	v_cmp_ne_u32_e32 vcc_lo, 0x7f800000, v3
                                        ; implicit-def: $vgpr3
	s_and_saveexec_b32 s0, vcc_lo
	s_xor_b32 s0, exec_lo, s0
	s_cbranch_execnz .LBB435_54
; %bb.50:
	s_andn2_saveexec_b32 s0, s0
	s_cbranch_execnz .LBB435_55
.LBB435_51:
	s_or_b32 exec_lo, exec_lo, s0
	global_store_short_d16_hi v[0:1], v3, off offset:32
	s_endpgm
.LBB435_52:
	s_cbranch_execnz .LBB435_21
.LBB435_53:
	s_endpgm
.LBB435_54:
	v_bfe_u32 v3, v2, 16, 1
	v_add3_u32 v3, v2, v3, 0x7fff
                                        ; implicit-def: $vgpr2
	s_andn2_saveexec_b32 s0, s0
	s_cbranch_execz .LBB435_51
.LBB435_55:
	v_mov_b32_e32 v3, 0
	v_or_b32_e32 v4, 0x10000, v2
	v_cmp_eq_u32_sdwa vcc_lo, v2, v3 src0_sel:WORD_0 src1_sel:DWORD
	v_cndmask_b32_e32 v3, v4, v2, vcc_lo
	s_or_b32 exec_lo, exec_lo, s0
	global_store_short_d16_hi v[0:1], v3, off offset:32
	s_endpgm
	.section	.rodata,"a",@progbits
	.p2align	6, 0x0
	.amdhsa_kernel _ZN12_GLOBAL__N_127rocblas_gemm_batched_kernelIfLi16ELi16ELi32ELi32ELi8ELi32ELi8ELi8ELi32ELc84ELc67EK16rocblas_bfloat16S2_S1_EEvlllT_PT11_llS5_llS3_PT12_llPT13_lli
		.amdhsa_group_segment_fixed_size 2048
		.amdhsa_private_segment_fixed_size 0
		.amdhsa_kernarg_size 140
		.amdhsa_user_sgpr_count 6
		.amdhsa_user_sgpr_private_segment_buffer 1
		.amdhsa_user_sgpr_dispatch_ptr 0
		.amdhsa_user_sgpr_queue_ptr 0
		.amdhsa_user_sgpr_kernarg_segment_ptr 1
		.amdhsa_user_sgpr_dispatch_id 0
		.amdhsa_user_sgpr_flat_scratch_init 0
		.amdhsa_user_sgpr_private_segment_size 0
		.amdhsa_wavefront_size32 1
		.amdhsa_uses_dynamic_stack 0
		.amdhsa_system_sgpr_private_segment_wavefront_offset 0
		.amdhsa_system_sgpr_workgroup_id_x 1
		.amdhsa_system_sgpr_workgroup_id_y 1
		.amdhsa_system_sgpr_workgroup_id_z 1
		.amdhsa_system_sgpr_workgroup_info 0
		.amdhsa_system_vgpr_workitem_id 1
		.amdhsa_next_free_vgpr 46
		.amdhsa_next_free_sgpr 22
		.amdhsa_reserve_vcc 1
		.amdhsa_reserve_flat_scratch 0
		.amdhsa_float_round_mode_32 0
		.amdhsa_float_round_mode_16_64 0
		.amdhsa_float_denorm_mode_32 3
		.amdhsa_float_denorm_mode_16_64 3
		.amdhsa_dx10_clamp 1
		.amdhsa_ieee_mode 1
		.amdhsa_fp16_overflow 0
		.amdhsa_workgroup_processor_mode 1
		.amdhsa_memory_ordered 1
		.amdhsa_forward_progress 1
		.amdhsa_shared_vgpr_count 0
		.amdhsa_exception_fp_ieee_invalid_op 0
		.amdhsa_exception_fp_denorm_src 0
		.amdhsa_exception_fp_ieee_div_zero 0
		.amdhsa_exception_fp_ieee_overflow 0
		.amdhsa_exception_fp_ieee_underflow 0
		.amdhsa_exception_fp_ieee_inexact 0
		.amdhsa_exception_int_div_zero 0
	.end_amdhsa_kernel
	.section	.text._ZN12_GLOBAL__N_127rocblas_gemm_batched_kernelIfLi16ELi16ELi32ELi32ELi8ELi32ELi8ELi8ELi32ELc84ELc67EK16rocblas_bfloat16S2_S1_EEvlllT_PT11_llS5_llS3_PT12_llPT13_lli,"axG",@progbits,_ZN12_GLOBAL__N_127rocblas_gemm_batched_kernelIfLi16ELi16ELi32ELi32ELi8ELi32ELi8ELi8ELi32ELc84ELc67EK16rocblas_bfloat16S2_S1_EEvlllT_PT11_llS5_llS3_PT12_llPT13_lli,comdat
.Lfunc_end435:
	.size	_ZN12_GLOBAL__N_127rocblas_gemm_batched_kernelIfLi16ELi16ELi32ELi32ELi8ELi32ELi8ELi8ELi32ELc84ELc67EK16rocblas_bfloat16S2_S1_EEvlllT_PT11_llS5_llS3_PT12_llPT13_lli, .Lfunc_end435-_ZN12_GLOBAL__N_127rocblas_gemm_batched_kernelIfLi16ELi16ELi32ELi32ELi8ELi32ELi8ELi8ELi32ELc84ELc67EK16rocblas_bfloat16S2_S1_EEvlllT_PT11_llS5_llS3_PT12_llPT13_lli
                                        ; -- End function
	.set _ZN12_GLOBAL__N_127rocblas_gemm_batched_kernelIfLi16ELi16ELi32ELi32ELi8ELi32ELi8ELi8ELi32ELc84ELc67EK16rocblas_bfloat16S2_S1_EEvlllT_PT11_llS5_llS3_PT12_llPT13_lli.num_vgpr, 46
	.set _ZN12_GLOBAL__N_127rocblas_gemm_batched_kernelIfLi16ELi16ELi32ELi32ELi8ELi32ELi8ELi8ELi32ELc84ELc67EK16rocblas_bfloat16S2_S1_EEvlllT_PT11_llS5_llS3_PT12_llPT13_lli.num_agpr, 0
	.set _ZN12_GLOBAL__N_127rocblas_gemm_batched_kernelIfLi16ELi16ELi32ELi32ELi8ELi32ELi8ELi8ELi32ELc84ELc67EK16rocblas_bfloat16S2_S1_EEvlllT_PT11_llS5_llS3_PT12_llPT13_lli.numbered_sgpr, 22
	.set _ZN12_GLOBAL__N_127rocblas_gemm_batched_kernelIfLi16ELi16ELi32ELi32ELi8ELi32ELi8ELi8ELi32ELc84ELc67EK16rocblas_bfloat16S2_S1_EEvlllT_PT11_llS5_llS3_PT12_llPT13_lli.num_named_barrier, 0
	.set _ZN12_GLOBAL__N_127rocblas_gemm_batched_kernelIfLi16ELi16ELi32ELi32ELi8ELi32ELi8ELi8ELi32ELc84ELc67EK16rocblas_bfloat16S2_S1_EEvlllT_PT11_llS5_llS3_PT12_llPT13_lli.private_seg_size, 0
	.set _ZN12_GLOBAL__N_127rocblas_gemm_batched_kernelIfLi16ELi16ELi32ELi32ELi8ELi32ELi8ELi8ELi32ELc84ELc67EK16rocblas_bfloat16S2_S1_EEvlllT_PT11_llS5_llS3_PT12_llPT13_lli.uses_vcc, 1
	.set _ZN12_GLOBAL__N_127rocblas_gemm_batched_kernelIfLi16ELi16ELi32ELi32ELi8ELi32ELi8ELi8ELi32ELc84ELc67EK16rocblas_bfloat16S2_S1_EEvlllT_PT11_llS5_llS3_PT12_llPT13_lli.uses_flat_scratch, 0
	.set _ZN12_GLOBAL__N_127rocblas_gemm_batched_kernelIfLi16ELi16ELi32ELi32ELi8ELi32ELi8ELi8ELi32ELc84ELc67EK16rocblas_bfloat16S2_S1_EEvlllT_PT11_llS5_llS3_PT12_llPT13_lli.has_dyn_sized_stack, 0
	.set _ZN12_GLOBAL__N_127rocblas_gemm_batched_kernelIfLi16ELi16ELi32ELi32ELi8ELi32ELi8ELi8ELi32ELc84ELc67EK16rocblas_bfloat16S2_S1_EEvlllT_PT11_llS5_llS3_PT12_llPT13_lli.has_recursion, 0
	.set _ZN12_GLOBAL__N_127rocblas_gemm_batched_kernelIfLi16ELi16ELi32ELi32ELi8ELi32ELi8ELi8ELi32ELc84ELc67EK16rocblas_bfloat16S2_S1_EEvlllT_PT11_llS5_llS3_PT12_llPT13_lli.has_indirect_call, 0
	.section	.AMDGPU.csdata,"",@progbits
; Kernel info:
; codeLenInByte = 2412
; TotalNumSgprs: 24
; NumVgprs: 46
; ScratchSize: 0
; MemoryBound: 0
; FloatMode: 240
; IeeeMode: 1
; LDSByteSize: 2048 bytes/workgroup (compile time only)
; SGPRBlocks: 0
; VGPRBlocks: 5
; NumSGPRsForWavesPerEU: 24
; NumVGPRsForWavesPerEU: 46
; Occupancy: 16
; WaveLimiterHint : 0
; COMPUTE_PGM_RSRC2:SCRATCH_EN: 0
; COMPUTE_PGM_RSRC2:USER_SGPR: 6
; COMPUTE_PGM_RSRC2:TRAP_HANDLER: 0
; COMPUTE_PGM_RSRC2:TGID_X_EN: 1
; COMPUTE_PGM_RSRC2:TGID_Y_EN: 1
; COMPUTE_PGM_RSRC2:TGID_Z_EN: 1
; COMPUTE_PGM_RSRC2:TIDIG_COMP_CNT: 1
	.section	.text._ZN12_GLOBAL__N_135rocblas_gemm_batched_general_kernelIfLi16ELi16ELi32ELi32ELi8ELi32ELi8ELi8ELi32ELc78ELc78EK16rocblas_bfloat16S2_S1_EEvlllT_PT11_llS5_llS3_PT12_llPT13_lli,"axG",@progbits,_ZN12_GLOBAL__N_135rocblas_gemm_batched_general_kernelIfLi16ELi16ELi32ELi32ELi8ELi32ELi8ELi8ELi32ELc78ELc78EK16rocblas_bfloat16S2_S1_EEvlllT_PT11_llS5_llS3_PT12_llPT13_lli,comdat
	.globl	_ZN12_GLOBAL__N_135rocblas_gemm_batched_general_kernelIfLi16ELi16ELi32ELi32ELi8ELi32ELi8ELi8ELi32ELc78ELc78EK16rocblas_bfloat16S2_S1_EEvlllT_PT11_llS5_llS3_PT12_llPT13_lli ; -- Begin function _ZN12_GLOBAL__N_135rocblas_gemm_batched_general_kernelIfLi16ELi16ELi32ELi32ELi8ELi32ELi8ELi8ELi32ELc78ELc78EK16rocblas_bfloat16S2_S1_EEvlllT_PT11_llS5_llS3_PT12_llPT13_lli
	.p2align	8
	.type	_ZN12_GLOBAL__N_135rocblas_gemm_batched_general_kernelIfLi16ELi16ELi32ELi32ELi8ELi32ELi8ELi8ELi32ELc78ELc78EK16rocblas_bfloat16S2_S1_EEvlllT_PT11_llS5_llS3_PT12_llPT13_lli,@function
_ZN12_GLOBAL__N_135rocblas_gemm_batched_general_kernelIfLi16ELi16ELi32ELi32ELi8ELi32ELi8ELi8ELi32ELc78ELc78EK16rocblas_bfloat16S2_S1_EEvlllT_PT11_llS5_llS3_PT12_llPT13_lli: ; @_ZN12_GLOBAL__N_135rocblas_gemm_batched_general_kernelIfLi16ELi16ELi32ELi32ELi8ELi32ELi8ELi8ELi32ELc78ELc78EK16rocblas_bfloat16S2_S1_EEvlllT_PT11_llS5_llS3_PT12_llPT13_lli
; %bb.0:
	s_clause 0x1
	s_load_dwordx2 s[24:25], s[4:5], 0x10
	s_load_dwordx4 s[20:23], s[4:5], 0x0
	s_mov_b32 s0, s7
	v_mov_b32_e32 v10, 0
	v_mov_b32_e32 v9, 0
	;; [unrolled: 1-line block ×4, first 2 shown]
	s_ashr_i32 s7, s6, 31
	s_ashr_i32 s1, s0, 31
	s_lshl_b64 s[10:11], s[6:7], 5
	s_lshl_b64 s[28:29], s[0:1], 5
	s_waitcnt lgkmcnt(0)
	v_cmp_lt_i64_e64 s2, s[24:25], 1
	s_and_b32 vcc_lo, exec_lo, s2
	s_cbranch_vccnz .LBB436_7
; %bb.1:
	s_clause 0x1
	s_load_dwordx4 s[0:3], s[4:5], 0x40
	s_load_dwordx8 s[12:19], s[4:5], 0x20
	v_lshl_add_u32 v2, v1, 4, v0
	v_mov_b32_e32 v3, s11
	v_and_b32_e32 v6, 7, v0
	s_lshl_b64 s[6:7], s[6:7], 6
	v_mov_b32_e32 v7, 0
	v_lshrrev_b32_e32 v10, 3, v2
	v_lshrrev_b32_e32 v13, 5, v2
	v_and_b32_e32 v18, 31, v2
	v_lshlrev_b32_e32 v14, 2, v6
	v_lshlrev_b32_e32 v11, 2, v0
	v_add_co_u32 v4, s9, v10, s28
	v_add_co_ci_u32_e64 v5, null, 0, s29, s9
	v_or_b32_e32 v2, s10, v18
	v_lshlrev_b32_e32 v15, 2, v18
	v_lshl_or_b32 v10, v10, 5, v14
	v_lshl_add_u32 v12, v1, 5, 0x400
	s_waitcnt lgkmcnt(0)
	v_mul_lo_u32 v19, s1, v4
	v_mad_u64_u32 v[8:9], null, s14, v13, 0
	v_mul_lo_u32 v20, s0, v5
	v_mad_u64_u32 v[16:17], null, s0, v4, 0
	v_cmp_gt_i64_e64 s0, s[20:21], v[2:3]
	v_cmp_gt_i64_e64 s1, s[22:23], v[4:5]
	s_mul_i32 s3, s3, s8
	v_mov_b32_e32 v2, v9
	s_mul_hi_u32 s9, s2, s8
	s_mul_i32 s2, s2, s8
	v_add3_u32 v17, v17, v20, v19
	s_add_i32 s3, s9, s3
	v_mad_u64_u32 v[2:3], null, s15, v13, v[2:3]
	s_lshl_b64 s[2:3], s[2:3], 1
	v_lshlrev_b64 v[3:4], 1, v[16:17]
	s_mul_i32 s17, s17, s8
	s_mul_hi_u32 s9, s16, s8
	v_lshl_or_b32 v14, v13, 7, v15
	v_add_nc_u32_e32 v15, 0x400, v10
	v_mov_b32_e32 v9, v2
	v_add_co_u32 v5, vcc_lo, v3, s2
	v_add_co_ci_u32_e64 v4, null, s3, v4, vcc_lo
	s_add_i32 s3, s9, s17
	s_mul_i32 s2, s16, s8
	v_lshlrev_b64 v[2:3], 1, v[8:9]
	s_lshl_b64 s[2:3], s[2:3], 1
	v_lshlrev_b32_e32 v8, 1, v6
	s_add_u32 s2, s6, s2
	s_addc_u32 s3, s7, s3
	v_lshlrev_b32_e32 v9, 1, v18
	v_add_co_u32 v2, vcc_lo, s2, v2
	v_add_co_ci_u32_e64 v3, null, s3, v3, vcc_lo
	v_add_co_u32 v5, vcc_lo, v5, v8
	v_add_co_ci_u32_e64 v4, null, 0, v4, vcc_lo
	;; [unrolled: 2-line block ×5, first 2 shown]
	v_mov_b32_e32 v8, 0
	v_mov_b32_e32 v9, 0
	;; [unrolled: 1-line block ×3, first 2 shown]
	s_lshl_b64 s[2:3], s[14:15], 4
	s_mov_b64 s[6:7], 0
	s_branch .LBB436_3
.LBB436_2:                              ;   in Loop: Header=BB436_3 Depth=1
	s_or_b32 exec_lo, exec_lo, s9
	ds_write_b32 v15, v17
	s_waitcnt lgkmcnt(0)
	s_barrier
	buffer_gl0_inv
	ds_read_b128 v[16:19], v12
	ds_read2_b32 v[32:33], v11 offset1:16
	ds_read_b128 v[20:23], v12 offset:512
	ds_read2_b32 v[34:35], v11 offset0:32 offset1:48
	ds_read2_b32 v[36:37], v11 offset0:64 offset1:80
	;; [unrolled: 1-line block ×3, first 2 shown]
	ds_read_b128 v[24:27], v12 offset:16
	ds_read2_b32 v[40:41], v11 offset0:128 offset1:144
	ds_read_b128 v[28:31], v12 offset:528
	ds_read2_b32 v[42:43], v11 offset0:160 offset1:176
	s_add_u32 s6, s6, 8
	s_addc_u32 s7, s7, 0
	v_add_co_u32 v2, vcc_lo, v2, 16
	v_cmp_lt_i64_e64 s9, s[6:7], s[24:25]
	v_add_co_ci_u32_e64 v3, null, 0, v3, vcc_lo
	v_add_co_u32 v4, vcc_lo, v4, s2
	v_add_co_ci_u32_e64 v5, null, s3, v5, vcc_lo
	s_waitcnt lgkmcnt(8)
	v_fmac_f32_e32 v10, v32, v16
	v_fmac_f32_e32 v9, v33, v16
	s_waitcnt lgkmcnt(7)
	v_fmac_f32_e32 v8, v32, v20
	v_fmac_f32_e32 v7, v33, v20
	ds_read2_b32 v[32:33], v11 offset0:192 offset1:208
	s_waitcnt lgkmcnt(7)
	v_fmac_f32_e32 v10, v34, v17
	v_fmac_f32_e32 v9, v35, v17
	;; [unrolled: 1-line block ×4, first 2 shown]
	ds_read2_b32 v[16:17], v11 offset0:224 offset1:240
	s_waitcnt lgkmcnt(7)
	v_fmac_f32_e32 v10, v36, v18
	v_fmac_f32_e32 v9, v37, v18
	;; [unrolled: 1-line block ×4, first 2 shown]
	s_and_b32 vcc_lo, exec_lo, s9
	s_waitcnt lgkmcnt(6)
	v_fmac_f32_e32 v10, v38, v19
	v_fmac_f32_e32 v9, v39, v19
	;; [unrolled: 1-line block ×4, first 2 shown]
	s_waitcnt lgkmcnt(0)
	v_fmac_f32_e32 v10, v40, v24
	v_fmac_f32_e32 v9, v41, v24
	;; [unrolled: 1-line block ×4, first 2 shown]
	s_barrier
	v_fmac_f32_e32 v10, v42, v25
	v_fmac_f32_e32 v9, v43, v25
	;; [unrolled: 1-line block ×4, first 2 shown]
	buffer_gl0_inv
	v_fmac_f32_e32 v10, v32, v26
	v_fmac_f32_e32 v9, v33, v26
	;; [unrolled: 1-line block ×8, first 2 shown]
	s_cbranch_vccz .LBB436_7
.LBB436_3:                              ; =>This Inner Loop Header: Depth=1
	v_add_co_u32 v16, s9, v13, s6
	v_add_co_ci_u32_e64 v17, null, 0, s7, s9
	v_cmp_gt_i64_e32 vcc_lo, s[24:25], v[16:17]
	v_mov_b32_e32 v16, 0
	s_and_b32 s12, s0, vcc_lo
	s_and_saveexec_b32 s9, s12
	s_cbranch_execz .LBB436_5
; %bb.4:                                ;   in Loop: Header=BB436_3 Depth=1
	global_load_ushort v16, v[4:5], off
	s_waitcnt vmcnt(0)
	v_lshlrev_b32_e32 v16, 16, v16
.LBB436_5:                              ;   in Loop: Header=BB436_3 Depth=1
	s_or_b32 exec_lo, exec_lo, s9
	v_add_co_u32 v17, s9, v6, s6
	v_add_co_ci_u32_e64 v18, null, 0, s7, s9
	ds_write_b32 v14, v16
	v_cmp_gt_i64_e32 vcc_lo, s[24:25], v[17:18]
	v_mov_b32_e32 v17, 0
	s_and_b32 s12, vcc_lo, s1
	s_and_saveexec_b32 s9, s12
	s_cbranch_execz .LBB436_2
; %bb.6:                                ;   in Loop: Header=BB436_3 Depth=1
	global_load_ushort v16, v[2:3], off
	s_waitcnt vmcnt(0)
	v_lshlrev_b32_e32 v17, 16, v16
	s_branch .LBB436_2
.LBB436_7:
	s_clause 0x3
	s_load_dwordx4 s[24:27], s[4:5], 0x78
	s_load_dword s6, s[4:5], 0x50
	s_load_dwordx8 s[12:19], s[4:5], 0x58
	s_load_dword s3, s[4:5], 0x18
	v_add_co_u32 v1, s0, s28, v1
	v_add_co_ci_u32_e64 v2, null, s29, 0, s0
	s_waitcnt lgkmcnt(0)
	s_mul_i32 s1, s27, s8
	s_mul_hi_u32 s2, s26, s8
	s_mul_i32 s0, s26, s8
	s_add_i32 s1, s2, s1
	v_cmp_neq_f32_e64 s2, s6, 0
	s_lshl_b64 s[4:5], s[0:1], 1
	v_cmp_gt_i64_e64 s0, s[22:23], v[1:2]
	s_add_u32 s4, s18, s4
	s_addc_u32 s5, s19, s5
	s_and_b32 vcc_lo, exec_lo, s2
	s_cbranch_vccnz .LBB436_28
; %bb.8:
	s_and_saveexec_b32 s7, s0
	s_cbranch_execz .LBB436_26
; %bb.9:
	v_mul_lo_u32 v3, v2, s24
	v_mul_lo_u32 v4, v1, s25
	v_mad_u64_u32 v[5:6], null, v1, s24, 0
	v_add3_u32 v6, v6, v4, v3
	v_add_co_u32 v3, s1, s10, v0
	v_add_co_ci_u32_e64 v4, null, s11, 0, s1
	v_lshlrev_b64 v[5:6], 1, v[5:6]
	v_cmp_gt_i64_e32 vcc_lo, s[20:21], v[3:4]
	v_add_co_u32 v5, s1, s4, v5
	v_add_co_ci_u32_e64 v6, null, s5, v6, s1
	s_and_saveexec_b32 s2, vcc_lo
	s_cbranch_execz .LBB436_15
; %bb.10:
	v_mul_f32_e32 v12, s3, v10
	v_and_b32_e32 v11, 0x7f800000, v12
	v_cmp_ne_u32_e64 s1, 0x7f800000, v11
                                        ; implicit-def: $vgpr11
	s_and_saveexec_b32 s9, s1
	s_xor_b32 s1, exec_lo, s9
; %bb.11:
	v_bfe_u32 v11, v12, 16, 1
	v_add3_u32 v11, v12, v11, 0x7fff
                                        ; implicit-def: $vgpr12
; %bb.12:
	s_andn2_saveexec_b32 s9, s1
; %bb.13:
	v_mov_b32_e32 v11, 0
	v_or_b32_e32 v13, 0x10000, v12
	v_cmp_eq_u32_sdwa s1, v12, v11 src0_sel:WORD_0 src1_sel:DWORD
	v_cndmask_b32_e64 v11, v13, v12, s1
; %bb.14:
	s_or_b32 exec_lo, exec_lo, s9
	v_lshlrev_b64 v[12:13], 1, v[3:4]
	v_add_co_u32 v12, s1, v5, v12
	v_add_co_ci_u32_e64 v13, null, v6, v13, s1
	global_store_short_d16_hi v[12:13], v11, off
.LBB436_15:
	s_or_b32 exec_lo, exec_lo, s2
	v_add_co_u32 v11, s1, v3, 16
	v_add_co_ci_u32_e64 v12, null, 0, v4, s1
	v_cmp_gt_i64_e64 s1, s[20:21], v[11:12]
	s_and_saveexec_b32 s9, s1
	s_cbranch_execz .LBB436_21
; %bb.16:
	v_mul_f32_e32 v12, s3, v9
	v_and_b32_e32 v11, 0x7f800000, v12
	v_cmp_ne_u32_e64 s2, 0x7f800000, v11
                                        ; implicit-def: $vgpr11
	s_and_saveexec_b32 s18, s2
	s_xor_b32 s2, exec_lo, s18
; %bb.17:
	v_bfe_u32 v11, v12, 16, 1
	v_add3_u32 v11, v12, v11, 0x7fff
                                        ; implicit-def: $vgpr12
; %bb.18:
	s_andn2_saveexec_b32 s18, s2
; %bb.19:
	v_mov_b32_e32 v11, 0
	v_or_b32_e32 v13, 0x10000, v12
	v_cmp_eq_u32_sdwa s2, v12, v11 src0_sel:WORD_0 src1_sel:DWORD
	v_cndmask_b32_e64 v11, v13, v12, s2
; %bb.20:
	s_or_b32 exec_lo, exec_lo, s18
	v_lshlrev_b64 v[12:13], 1, v[3:4]
	v_add_co_u32 v12, s2, v5, v12
	v_add_co_ci_u32_e64 v13, null, v6, v13, s2
	global_store_short_d16_hi v[12:13], v11, off offset:32
.LBB436_21:
	s_or_b32 exec_lo, exec_lo, s9
	v_add_co_u32 v11, s2, v1, 16
	v_add_co_ci_u32_e64 v12, null, 0, v2, s2
	v_cmp_gt_i64_e64 s2, s[22:23], v[11:12]
	s_and_b32 exec_lo, exec_lo, s2
	s_cbranch_execz .LBB436_26
; %bb.22:
	s_lshl_b64 s[18:19], s[24:25], 5
	v_lshlrev_b64 v[3:4], 1, v[3:4]
	v_add_co_u32 v5, s2, v5, s18
	v_add_co_ci_u32_e64 v6, null, s19, v6, s2
	v_add_co_u32 v3, s2, v5, v3
	v_add_co_ci_u32_e64 v4, null, v6, v4, s2
	s_and_saveexec_b32 s2, vcc_lo
	s_cbranch_execz .LBB436_24
; %bb.23:
	v_mul_f32_e32 v5, s3, v8
	v_mov_b32_e32 v11, 0
	v_bfe_u32 v6, v5, 16, 1
	v_or_b32_e32 v12, 0x10000, v5
	v_and_b32_e32 v13, 0x7f800000, v5
	v_cmp_eq_u32_sdwa vcc_lo, v5, v11 src0_sel:WORD_0 src1_sel:DWORD
	v_add3_u32 v6, v5, v6, 0x7fff
	v_cndmask_b32_e32 v5, v12, v5, vcc_lo
	v_cmp_eq_u32_e32 vcc_lo, 0x7f800000, v13
	v_cndmask_b32_e32 v5, v6, v5, vcc_lo
	global_store_short_d16_hi v[3:4], v5, off
.LBB436_24:
	s_or_b32 exec_lo, exec_lo, s2
	s_and_b32 exec_lo, exec_lo, s1
	s_cbranch_execz .LBB436_26
; %bb.25:
	v_mul_f32_e32 v5, s3, v7
	v_mov_b32_e32 v11, 0
	v_bfe_u32 v6, v5, 16, 1
	v_or_b32_e32 v12, 0x10000, v5
	v_and_b32_e32 v13, 0x7f800000, v5
	v_cmp_eq_u32_sdwa vcc_lo, v5, v11 src0_sel:WORD_0 src1_sel:DWORD
	v_add3_u32 v6, v5, v6, 0x7fff
	v_cndmask_b32_e32 v5, v12, v5, vcc_lo
	v_cmp_eq_u32_e32 vcc_lo, 0x7f800000, v13
	v_cndmask_b32_e32 v5, v6, v5, vcc_lo
	global_store_short_d16_hi v[3:4], v5, off offset:32
.LBB436_26:
	s_or_b32 exec_lo, exec_lo, s7
	s_cbranch_execz .LBB436_29
.LBB436_27:
	s_endpgm
.LBB436_28:
.LBB436_29:
	s_and_saveexec_b32 s1, s0
	s_cbranch_execz .LBB436_27
; %bb.30:
	v_mul_lo_u32 v5, v2, s14
	v_mul_lo_u32 v6, v1, s15
	v_mad_u64_u32 v[3:4], null, v1, s14, 0
	v_mul_lo_u32 v13, v2, s24
	v_mul_lo_u32 v14, v1, s25
	v_mad_u64_u32 v[11:12], null, v1, s24, 0
	s_mul_i32 s0, s17, s8
	s_mul_hi_u32 s1, s16, s8
	v_add3_u32 v4, v4, v6, v5
	s_add_i32 s1, s1, s0
	s_mul_i32 s0, s16, s8
	v_add_co_u32 v5, s2, s10, v0
	v_add3_u32 v12, v12, v14, v13
	v_lshlrev_b64 v[3:4], 1, v[3:4]
	s_lshl_b64 s[0:1], s[0:1], 1
	v_add_co_ci_u32_e64 v6, null, s11, 0, s2
	v_lshlrev_b64 v[12:13], 1, v[11:12]
	s_add_u32 s0, s12, s0
	s_addc_u32 s1, s13, s1
	v_add_co_u32 v0, s0, s0, v3
	v_add_co_ci_u32_e64 v11, null, s1, v4, s0
	v_add_co_u32 v12, s0, s4, v12
	v_cmp_gt_i64_e32 vcc_lo, s[20:21], v[5:6]
	v_lshlrev_b64 v[3:4], 1, v[5:6]
	v_add_co_ci_u32_e64 v13, null, s5, v13, s0
	s_and_saveexec_b32 s1, vcc_lo
	s_cbranch_execz .LBB436_40
; %bb.31:
	v_add_co_u32 v14, s0, v0, v3
	v_add_co_ci_u32_e64 v15, null, v11, v4, s0
	global_load_ushort v14, v[14:15], off
	s_waitcnt vmcnt(0)
	v_lshlrev_b32_e32 v14, 16, v14
	v_mul_f32_e32 v14, s6, v14
	v_and_b32_e32 v15, 0x7f800000, v14
	v_cmp_ne_u32_e64 s0, 0x7f800000, v15
                                        ; implicit-def: $vgpr15
	s_and_saveexec_b32 s2, s0
	s_xor_b32 s0, exec_lo, s2
; %bb.32:
	v_bfe_u32 v15, v14, 16, 1
	v_add3_u32 v15, v14, v15, 0x7fff
                                        ; implicit-def: $vgpr14
; %bb.33:
	s_andn2_saveexec_b32 s2, s0
; %bb.34:
	v_mov_b32_e32 v15, 0
	v_or_b32_e32 v16, 0x10000, v14
	v_cmp_eq_u32_sdwa s0, v14, v15 src0_sel:WORD_0 src1_sel:DWORD
	v_cndmask_b32_e64 v15, v16, v14, s0
; %bb.35:
	s_or_b32 exec_lo, exec_lo, s2
	v_and_b32_e32 v14, 0xffff0000, v15
	v_fmac_f32_e32 v14, s3, v10
	v_and_b32_e32 v10, 0x7f800000, v14
	v_cmp_ne_u32_e64 s0, 0x7f800000, v10
                                        ; implicit-def: $vgpr10
	s_and_saveexec_b32 s2, s0
	s_xor_b32 s0, exec_lo, s2
; %bb.36:
	v_bfe_u32 v10, v14, 16, 1
	v_add3_u32 v10, v14, v10, 0x7fff
                                        ; implicit-def: $vgpr14
; %bb.37:
	s_andn2_saveexec_b32 s2, s0
; %bb.38:
	v_mov_b32_e32 v10, 0
	v_or_b32_e32 v15, 0x10000, v14
	v_cmp_eq_u32_sdwa s0, v14, v10 src0_sel:WORD_0 src1_sel:DWORD
	v_cndmask_b32_e64 v10, v15, v14, s0
; %bb.39:
	s_or_b32 exec_lo, exec_lo, s2
	v_add_co_u32 v14, s0, v12, v3
	v_add_co_ci_u32_e64 v15, null, v13, v4, s0
	global_store_short_d16_hi v[14:15], v10, off
.LBB436_40:
	s_or_b32 exec_lo, exec_lo, s1
	v_add_co_u32 v5, s0, v5, 16
	v_add_co_ci_u32_e64 v6, null, 0, v6, s0
	v_cmp_gt_i64_e64 s0, s[20:21], v[5:6]
	s_and_saveexec_b32 s2, s0
	s_cbranch_execz .LBB436_50
; %bb.41:
	v_add_co_u32 v5, s1, v0, v3
	v_add_co_ci_u32_e64 v6, null, v11, v4, s1
	global_load_ushort v5, v[5:6], off offset:32
	s_waitcnt vmcnt(0)
	v_lshlrev_b32_e32 v5, 16, v5
	v_mul_f32_e32 v5, s6, v5
	v_and_b32_e32 v6, 0x7f800000, v5
	v_cmp_ne_u32_e64 s1, 0x7f800000, v6
                                        ; implicit-def: $vgpr6
	s_and_saveexec_b32 s4, s1
	s_xor_b32 s1, exec_lo, s4
; %bb.42:
	v_bfe_u32 v6, v5, 16, 1
	v_add3_u32 v6, v5, v6, 0x7fff
                                        ; implicit-def: $vgpr5
; %bb.43:
	s_andn2_saveexec_b32 s4, s1
; %bb.44:
	v_mov_b32_e32 v6, 0
	v_or_b32_e32 v10, 0x10000, v5
	v_cmp_eq_u32_sdwa s1, v5, v6 src0_sel:WORD_0 src1_sel:DWORD
	v_cndmask_b32_e64 v6, v10, v5, s1
; %bb.45:
	s_or_b32 exec_lo, exec_lo, s4
	v_and_b32_e32 v5, 0xffff0000, v6
	v_fmac_f32_e32 v5, s3, v9
	v_and_b32_e32 v6, 0x7f800000, v5
	v_cmp_ne_u32_e64 s1, 0x7f800000, v6
                                        ; implicit-def: $vgpr6
	s_and_saveexec_b32 s4, s1
	s_xor_b32 s1, exec_lo, s4
; %bb.46:
	v_bfe_u32 v6, v5, 16, 1
	v_add3_u32 v6, v5, v6, 0x7fff
                                        ; implicit-def: $vgpr5
; %bb.47:
	s_andn2_saveexec_b32 s4, s1
; %bb.48:
	v_mov_b32_e32 v6, 0
	v_or_b32_e32 v9, 0x10000, v5
	v_cmp_eq_u32_sdwa s1, v5, v6 src0_sel:WORD_0 src1_sel:DWORD
	v_cndmask_b32_e64 v6, v9, v5, s1
; %bb.49:
	s_or_b32 exec_lo, exec_lo, s4
	v_add_co_u32 v9, s1, v12, v3
	v_add_co_ci_u32_e64 v10, null, v13, v4, s1
	global_store_short_d16_hi v[9:10], v6, off offset:32
.LBB436_50:
	s_or_b32 exec_lo, exec_lo, s2
	v_add_co_u32 v1, s1, v1, 16
	v_add_co_ci_u32_e64 v2, null, 0, v2, s1
	v_cmp_gt_i64_e64 s1, s[22:23], v[1:2]
	s_and_b32 exec_lo, exec_lo, s1
	s_cbranch_execz .LBB436_27
; %bb.51:
	s_lshl_b64 s[4:5], s[14:15], 5
	v_add_co_u32 v0, s1, v0, s4
	v_add_co_ci_u32_e64 v1, null, s5, v11, s1
	s_lshl_b64 s[4:5], s[24:25], 5
	v_add_co_u32 v2, s1, v12, s4
	v_add_co_ci_u32_e64 v9, null, s5, v13, s1
	v_add_co_u32 v5, s1, v0, v3
	v_add_co_ci_u32_e64 v6, null, v1, v4, s1
	;; [unrolled: 2-line block ×3, first 2 shown]
	s_and_saveexec_b32 s1, vcc_lo
	s_cbranch_execz .LBB436_61
; %bb.52:
	global_load_ushort v2, v[5:6], off
	s_waitcnt vmcnt(0)
	v_lshlrev_b32_e32 v2, 16, v2
	v_mul_f32_e32 v2, s6, v2
	v_and_b32_e32 v3, 0x7f800000, v2
	v_cmp_ne_u32_e32 vcc_lo, 0x7f800000, v3
                                        ; implicit-def: $vgpr3
	s_and_saveexec_b32 s2, vcc_lo
	s_xor_b32 s2, exec_lo, s2
; %bb.53:
	v_bfe_u32 v3, v2, 16, 1
	v_add3_u32 v3, v2, v3, 0x7fff
                                        ; implicit-def: $vgpr2
; %bb.54:
	s_andn2_saveexec_b32 s2, s2
; %bb.55:
	v_mov_b32_e32 v3, 0
	v_or_b32_e32 v4, 0x10000, v2
	v_cmp_eq_u32_sdwa vcc_lo, v2, v3 src0_sel:WORD_0 src1_sel:DWORD
	v_cndmask_b32_e32 v3, v4, v2, vcc_lo
; %bb.56:
	s_or_b32 exec_lo, exec_lo, s2
	v_and_b32_e32 v2, 0xffff0000, v3
	v_fmac_f32_e32 v2, s3, v8
	v_and_b32_e32 v3, 0x7f800000, v2
	v_cmp_ne_u32_e32 vcc_lo, 0x7f800000, v3
                                        ; implicit-def: $vgpr3
	s_and_saveexec_b32 s2, vcc_lo
	s_xor_b32 s2, exec_lo, s2
; %bb.57:
	v_bfe_u32 v3, v2, 16, 1
	v_add3_u32 v3, v2, v3, 0x7fff
                                        ; implicit-def: $vgpr2
; %bb.58:
	s_andn2_saveexec_b32 s2, s2
; %bb.59:
	v_mov_b32_e32 v3, 0
	v_or_b32_e32 v4, 0x10000, v2
	v_cmp_eq_u32_sdwa vcc_lo, v2, v3 src0_sel:WORD_0 src1_sel:DWORD
	v_cndmask_b32_e32 v3, v4, v2, vcc_lo
; %bb.60:
	s_or_b32 exec_lo, exec_lo, s2
	global_store_short_d16_hi v[0:1], v3, off
.LBB436_61:
	s_or_b32 exec_lo, exec_lo, s1
	s_and_b32 exec_lo, exec_lo, s0
	s_cbranch_execz .LBB436_27
; %bb.62:
	global_load_ushort v2, v[5:6], off offset:32
	s_waitcnt vmcnt(0)
	v_lshlrev_b32_e32 v2, 16, v2
	v_mul_f32_e32 v2, s6, v2
	v_and_b32_e32 v3, 0x7f800000, v2
	v_cmp_ne_u32_e32 vcc_lo, 0x7f800000, v3
                                        ; implicit-def: $vgpr3
	s_and_saveexec_b32 s0, vcc_lo
	s_xor_b32 s0, exec_lo, s0
; %bb.63:
	v_bfe_u32 v3, v2, 16, 1
	v_add3_u32 v3, v2, v3, 0x7fff
                                        ; implicit-def: $vgpr2
; %bb.64:
	s_andn2_saveexec_b32 s0, s0
; %bb.65:
	v_mov_b32_e32 v3, 0
	v_or_b32_e32 v4, 0x10000, v2
	v_cmp_eq_u32_sdwa vcc_lo, v2, v3 src0_sel:WORD_0 src1_sel:DWORD
	v_cndmask_b32_e32 v3, v4, v2, vcc_lo
; %bb.66:
	s_or_b32 exec_lo, exec_lo, s0
	v_and_b32_e32 v2, 0xffff0000, v3
	v_fmac_f32_e32 v2, s3, v7
	v_and_b32_e32 v3, 0x7f800000, v2
	v_cmp_ne_u32_e32 vcc_lo, 0x7f800000, v3
                                        ; implicit-def: $vgpr3
	s_and_saveexec_b32 s0, vcc_lo
	s_xor_b32 s0, exec_lo, s0
; %bb.67:
	v_bfe_u32 v3, v2, 16, 1
	v_add3_u32 v3, v2, v3, 0x7fff
                                        ; implicit-def: $vgpr2
; %bb.68:
	s_andn2_saveexec_b32 s0, s0
; %bb.69:
	v_mov_b32_e32 v3, 0
	v_or_b32_e32 v4, 0x10000, v2
	v_cmp_eq_u32_sdwa vcc_lo, v2, v3 src0_sel:WORD_0 src1_sel:DWORD
	v_cndmask_b32_e32 v3, v4, v2, vcc_lo
; %bb.70:
	s_or_b32 exec_lo, exec_lo, s0
	global_store_short_d16_hi v[0:1], v3, off offset:32
	s_endpgm
	.section	.rodata,"a",@progbits
	.p2align	6, 0x0
	.amdhsa_kernel _ZN12_GLOBAL__N_135rocblas_gemm_batched_general_kernelIfLi16ELi16ELi32ELi32ELi8ELi32ELi8ELi8ELi32ELc78ELc78EK16rocblas_bfloat16S2_S1_EEvlllT_PT11_llS5_llS3_PT12_llPT13_lli
		.amdhsa_group_segment_fixed_size 2048
		.amdhsa_private_segment_fixed_size 0
		.amdhsa_kernarg_size 140
		.amdhsa_user_sgpr_count 6
		.amdhsa_user_sgpr_private_segment_buffer 1
		.amdhsa_user_sgpr_dispatch_ptr 0
		.amdhsa_user_sgpr_queue_ptr 0
		.amdhsa_user_sgpr_kernarg_segment_ptr 1
		.amdhsa_user_sgpr_dispatch_id 0
		.amdhsa_user_sgpr_flat_scratch_init 0
		.amdhsa_user_sgpr_private_segment_size 0
		.amdhsa_wavefront_size32 1
		.amdhsa_uses_dynamic_stack 0
		.amdhsa_system_sgpr_private_segment_wavefront_offset 0
		.amdhsa_system_sgpr_workgroup_id_x 1
		.amdhsa_system_sgpr_workgroup_id_y 1
		.amdhsa_system_sgpr_workgroup_id_z 1
		.amdhsa_system_sgpr_workgroup_info 0
		.amdhsa_system_vgpr_workitem_id 1
		.amdhsa_next_free_vgpr 44
		.amdhsa_next_free_sgpr 30
		.amdhsa_reserve_vcc 1
		.amdhsa_reserve_flat_scratch 0
		.amdhsa_float_round_mode_32 0
		.amdhsa_float_round_mode_16_64 0
		.amdhsa_float_denorm_mode_32 3
		.amdhsa_float_denorm_mode_16_64 3
		.amdhsa_dx10_clamp 1
		.amdhsa_ieee_mode 1
		.amdhsa_fp16_overflow 0
		.amdhsa_workgroup_processor_mode 1
		.amdhsa_memory_ordered 1
		.amdhsa_forward_progress 1
		.amdhsa_shared_vgpr_count 0
		.amdhsa_exception_fp_ieee_invalid_op 0
		.amdhsa_exception_fp_denorm_src 0
		.amdhsa_exception_fp_ieee_div_zero 0
		.amdhsa_exception_fp_ieee_overflow 0
		.amdhsa_exception_fp_ieee_underflow 0
		.amdhsa_exception_fp_ieee_inexact 0
		.amdhsa_exception_int_div_zero 0
	.end_amdhsa_kernel
	.section	.text._ZN12_GLOBAL__N_135rocblas_gemm_batched_general_kernelIfLi16ELi16ELi32ELi32ELi8ELi32ELi8ELi8ELi32ELc78ELc78EK16rocblas_bfloat16S2_S1_EEvlllT_PT11_llS5_llS3_PT12_llPT13_lli,"axG",@progbits,_ZN12_GLOBAL__N_135rocblas_gemm_batched_general_kernelIfLi16ELi16ELi32ELi32ELi8ELi32ELi8ELi8ELi32ELc78ELc78EK16rocblas_bfloat16S2_S1_EEvlllT_PT11_llS5_llS3_PT12_llPT13_lli,comdat
.Lfunc_end436:
	.size	_ZN12_GLOBAL__N_135rocblas_gemm_batched_general_kernelIfLi16ELi16ELi32ELi32ELi8ELi32ELi8ELi8ELi32ELc78ELc78EK16rocblas_bfloat16S2_S1_EEvlllT_PT11_llS5_llS3_PT12_llPT13_lli, .Lfunc_end436-_ZN12_GLOBAL__N_135rocblas_gemm_batched_general_kernelIfLi16ELi16ELi32ELi32ELi8ELi32ELi8ELi8ELi32ELc78ELc78EK16rocblas_bfloat16S2_S1_EEvlllT_PT11_llS5_llS3_PT12_llPT13_lli
                                        ; -- End function
	.set _ZN12_GLOBAL__N_135rocblas_gemm_batched_general_kernelIfLi16ELi16ELi32ELi32ELi8ELi32ELi8ELi8ELi32ELc78ELc78EK16rocblas_bfloat16S2_S1_EEvlllT_PT11_llS5_llS3_PT12_llPT13_lli.num_vgpr, 44
	.set _ZN12_GLOBAL__N_135rocblas_gemm_batched_general_kernelIfLi16ELi16ELi32ELi32ELi8ELi32ELi8ELi8ELi32ELc78ELc78EK16rocblas_bfloat16S2_S1_EEvlllT_PT11_llS5_llS3_PT12_llPT13_lli.num_agpr, 0
	.set _ZN12_GLOBAL__N_135rocblas_gemm_batched_general_kernelIfLi16ELi16ELi32ELi32ELi8ELi32ELi8ELi8ELi32ELc78ELc78EK16rocblas_bfloat16S2_S1_EEvlllT_PT11_llS5_llS3_PT12_llPT13_lli.numbered_sgpr, 30
	.set _ZN12_GLOBAL__N_135rocblas_gemm_batched_general_kernelIfLi16ELi16ELi32ELi32ELi8ELi32ELi8ELi8ELi32ELc78ELc78EK16rocblas_bfloat16S2_S1_EEvlllT_PT11_llS5_llS3_PT12_llPT13_lli.num_named_barrier, 0
	.set _ZN12_GLOBAL__N_135rocblas_gemm_batched_general_kernelIfLi16ELi16ELi32ELi32ELi8ELi32ELi8ELi8ELi32ELc78ELc78EK16rocblas_bfloat16S2_S1_EEvlllT_PT11_llS5_llS3_PT12_llPT13_lli.private_seg_size, 0
	.set _ZN12_GLOBAL__N_135rocblas_gemm_batched_general_kernelIfLi16ELi16ELi32ELi32ELi8ELi32ELi8ELi8ELi32ELc78ELc78EK16rocblas_bfloat16S2_S1_EEvlllT_PT11_llS5_llS3_PT12_llPT13_lli.uses_vcc, 1
	.set _ZN12_GLOBAL__N_135rocblas_gemm_batched_general_kernelIfLi16ELi16ELi32ELi32ELi8ELi32ELi8ELi8ELi32ELc78ELc78EK16rocblas_bfloat16S2_S1_EEvlllT_PT11_llS5_llS3_PT12_llPT13_lli.uses_flat_scratch, 0
	.set _ZN12_GLOBAL__N_135rocblas_gemm_batched_general_kernelIfLi16ELi16ELi32ELi32ELi8ELi32ELi8ELi8ELi32ELc78ELc78EK16rocblas_bfloat16S2_S1_EEvlllT_PT11_llS5_llS3_PT12_llPT13_lli.has_dyn_sized_stack, 0
	.set _ZN12_GLOBAL__N_135rocblas_gemm_batched_general_kernelIfLi16ELi16ELi32ELi32ELi8ELi32ELi8ELi8ELi32ELc78ELc78EK16rocblas_bfloat16S2_S1_EEvlllT_PT11_llS5_llS3_PT12_llPT13_lli.has_recursion, 0
	.set _ZN12_GLOBAL__N_135rocblas_gemm_batched_general_kernelIfLi16ELi16ELi32ELi32ELi8ELi32ELi8ELi8ELi32ELc78ELc78EK16rocblas_bfloat16S2_S1_EEvlllT_PT11_llS5_llS3_PT12_llPT13_lli.has_indirect_call, 0
	.section	.AMDGPU.csdata,"",@progbits
; Kernel info:
; codeLenInByte = 2888
; TotalNumSgprs: 32
; NumVgprs: 44
; ScratchSize: 0
; MemoryBound: 0
; FloatMode: 240
; IeeeMode: 1
; LDSByteSize: 2048 bytes/workgroup (compile time only)
; SGPRBlocks: 0
; VGPRBlocks: 5
; NumSGPRsForWavesPerEU: 32
; NumVGPRsForWavesPerEU: 44
; Occupancy: 16
; WaveLimiterHint : 0
; COMPUTE_PGM_RSRC2:SCRATCH_EN: 0
; COMPUTE_PGM_RSRC2:USER_SGPR: 6
; COMPUTE_PGM_RSRC2:TRAP_HANDLER: 0
; COMPUTE_PGM_RSRC2:TGID_X_EN: 1
; COMPUTE_PGM_RSRC2:TGID_Y_EN: 1
; COMPUTE_PGM_RSRC2:TGID_Z_EN: 1
; COMPUTE_PGM_RSRC2:TIDIG_COMP_CNT: 1
	.section	.text._ZN12_GLOBAL__N_135rocblas_gemm_batched_general_kernelIfLi16ELi16ELi32ELi32ELi8ELi32ELi8ELi8ELi32ELc84ELc78EK16rocblas_bfloat16S2_S1_EEvlllT_PT11_llS5_llS3_PT12_llPT13_lli,"axG",@progbits,_ZN12_GLOBAL__N_135rocblas_gemm_batched_general_kernelIfLi16ELi16ELi32ELi32ELi8ELi32ELi8ELi8ELi32ELc84ELc78EK16rocblas_bfloat16S2_S1_EEvlllT_PT11_llS5_llS3_PT12_llPT13_lli,comdat
	.globl	_ZN12_GLOBAL__N_135rocblas_gemm_batched_general_kernelIfLi16ELi16ELi32ELi32ELi8ELi32ELi8ELi8ELi32ELc84ELc78EK16rocblas_bfloat16S2_S1_EEvlllT_PT11_llS5_llS3_PT12_llPT13_lli ; -- Begin function _ZN12_GLOBAL__N_135rocblas_gemm_batched_general_kernelIfLi16ELi16ELi32ELi32ELi8ELi32ELi8ELi8ELi32ELc84ELc78EK16rocblas_bfloat16S2_S1_EEvlllT_PT11_llS5_llS3_PT12_llPT13_lli
	.p2align	8
	.type	_ZN12_GLOBAL__N_135rocblas_gemm_batched_general_kernelIfLi16ELi16ELi32ELi32ELi8ELi32ELi8ELi8ELi32ELc84ELc78EK16rocblas_bfloat16S2_S1_EEvlllT_PT11_llS5_llS3_PT12_llPT13_lli,@function
_ZN12_GLOBAL__N_135rocblas_gemm_batched_general_kernelIfLi16ELi16ELi32ELi32ELi8ELi32ELi8ELi8ELi32ELc84ELc78EK16rocblas_bfloat16S2_S1_EEvlllT_PT11_llS5_llS3_PT12_llPT13_lli: ; @_ZN12_GLOBAL__N_135rocblas_gemm_batched_general_kernelIfLi16ELi16ELi32ELi32ELi8ELi32ELi8ELi8ELi32ELc84ELc78EK16rocblas_bfloat16S2_S1_EEvlllT_PT11_llS5_llS3_PT12_llPT13_lli
; %bb.0:
	s_clause 0x1
	s_load_dwordx2 s[10:11], s[4:5], 0x10
	s_load_dwordx4 s[20:23], s[4:5], 0x0
	s_mov_b32 s0, s7
	v_mov_b32_e32 v10, 0
	v_mov_b32_e32 v9, 0
	v_mov_b32_e32 v8, 0
	v_mov_b32_e32 v7, 0
	s_ashr_i32 s7, s6, 31
	s_ashr_i32 s1, s0, 31
	s_lshl_b64 s[6:7], s[6:7], 5
	s_waitcnt lgkmcnt(0)
	v_cmp_lt_i64_e64 s2, s[10:11], 1
	s_and_b32 vcc_lo, exec_lo, s2
	s_lshl_b64 s[2:3], s[0:1], 5
	s_cbranch_vccnz .LBB437_7
; %bb.1:
	s_clause 0x1
	s_load_dwordx4 s[24:27], s[4:5], 0x40
	s_load_dwordx8 s[12:19], s[4:5], 0x20
	v_lshl_add_u32 v2, v1, 4, v0
	v_and_b32_e32 v6, 7, v0
	v_mov_b32_e32 v3, s7
	v_mov_b32_e32 v7, 0
	v_lshlrev_b32_e32 v14, 2, v0
	v_lshrrev_b32_e32 v9, 3, v2
	v_and_b32_e32 v8, 31, v2
	v_lshrrev_b32_e32 v11, 5, v2
	v_lshlrev_b32_e32 v13, 2, v6
	v_lshl_add_u32 v15, v1, 5, 0x400
	v_add_co_u32 v4, s0, v9, s2
	v_or_b32_e32 v2, s6, v8
	v_lshlrev_b32_e32 v10, 2, v8
	v_add_co_ci_u32_e64 v5, null, 0, s3, s0
	v_add_co_u32 v8, s9, s6, v8
	v_cmp_gt_i64_e64 s0, s[20:21], v[2:3]
	v_lshl_or_b32 v12, v11, 7, v10
	v_cmp_gt_i64_e64 s1, s[22:23], v[4:5]
	s_waitcnt lgkmcnt(0)
	v_mul_lo_u32 v10, s25, v4
	v_mul_lo_u32 v5, s24, v5
	v_mad_u64_u32 v[2:3], null, s24, v4, 0
	v_lshl_or_b32 v4, v9, 5, v13
	v_add_co_ci_u32_e64 v9, null, s7, 0, s9
	s_mul_i32 s9, s27, s8
	v_add_nc_u32_e32 v13, 0x400, v4
	v_add3_u32 v3, v3, v5, v10
	v_mul_lo_u32 v10, s15, v8
	v_mul_lo_u32 v9, s14, v9
	v_mad_u64_u32 v[4:5], null, s14, v8, 0
	s_mul_hi_u32 s14, s26, s8
	v_lshlrev_b64 v[2:3], 1, v[2:3]
	s_add_i32 s15, s14, s9
	s_mul_i32 s14, s26, s8
	s_mul_i32 s9, s17, s8
	s_lshl_b64 s[14:15], s[14:15], 1
	v_add3_u32 v5, v5, v9, v10
	v_add_co_u32 v8, vcc_lo, v2, s14
	v_add_co_ci_u32_e64 v9, null, s15, v3, vcc_lo
	s_mul_hi_u32 s14, s16, s8
	v_lshlrev_b64 v[2:3], 1, v[4:5]
	s_add_i32 s15, s14, s9
	s_mul_i32 s14, s16, s8
	v_lshlrev_b32_e32 v4, 1, v6
	s_lshl_b64 s[14:15], s[14:15], 1
	v_lshlrev_b32_e32 v5, 1, v11
	v_add_co_u32 v2, vcc_lo, v2, s14
	v_add_co_ci_u32_e64 v3, null, s15, v3, vcc_lo
	v_add_co_u32 v4, vcc_lo, v8, v4
	v_add_co_ci_u32_e64 v8, null, 0, v9, vcc_lo
	;; [unrolled: 2-line block ×5, first 2 shown]
	v_mov_b32_e32 v8, 0
	v_mov_b32_e32 v9, 0
	;; [unrolled: 1-line block ×3, first 2 shown]
	s_mov_b64 s[12:13], 0
	s_branch .LBB437_3
.LBB437_2:                              ;   in Loop: Header=BB437_3 Depth=1
	s_or_b32 exec_lo, exec_lo, s9
	ds_write_b32 v13, v17
	s_waitcnt lgkmcnt(0)
	s_barrier
	buffer_gl0_inv
	ds_read_b128 v[16:19], v15
	ds_read2_b32 v[32:33], v14 offset1:16
	ds_read_b128 v[20:23], v15 offset:512
	ds_read2_b32 v[34:35], v14 offset0:32 offset1:48
	ds_read2_b32 v[36:37], v14 offset0:64 offset1:80
	;; [unrolled: 1-line block ×3, first 2 shown]
	ds_read_b128 v[24:27], v15 offset:16
	ds_read2_b32 v[40:41], v14 offset0:128 offset1:144
	ds_read_b128 v[28:31], v15 offset:528
	ds_read2_b32 v[42:43], v14 offset0:160 offset1:176
	s_add_u32 s12, s12, 8
	s_addc_u32 s13, s13, 0
	v_add_co_u32 v2, vcc_lo, v2, 16
	v_cmp_lt_i64_e64 s9, s[12:13], s[10:11]
	v_add_co_ci_u32_e64 v3, null, 0, v3, vcc_lo
	v_add_co_u32 v4, vcc_lo, v4, 16
	v_add_co_ci_u32_e64 v5, null, 0, v5, vcc_lo
	s_waitcnt lgkmcnt(8)
	v_fmac_f32_e32 v10, v32, v16
	v_fmac_f32_e32 v9, v33, v16
	s_waitcnt lgkmcnt(7)
	v_fmac_f32_e32 v8, v32, v20
	v_fmac_f32_e32 v7, v33, v20
	ds_read2_b32 v[32:33], v14 offset0:192 offset1:208
	s_waitcnt lgkmcnt(7)
	v_fmac_f32_e32 v10, v34, v17
	v_fmac_f32_e32 v9, v35, v17
	v_fmac_f32_e32 v8, v34, v21
	v_fmac_f32_e32 v7, v35, v21
	ds_read2_b32 v[16:17], v14 offset0:224 offset1:240
	s_waitcnt lgkmcnt(7)
	v_fmac_f32_e32 v10, v36, v18
	v_fmac_f32_e32 v9, v37, v18
	;; [unrolled: 1-line block ×4, first 2 shown]
	s_and_b32 vcc_lo, exec_lo, s9
	s_waitcnt lgkmcnt(6)
	v_fmac_f32_e32 v10, v38, v19
	v_fmac_f32_e32 v9, v39, v19
	;; [unrolled: 1-line block ×4, first 2 shown]
	s_waitcnt lgkmcnt(0)
	v_fmac_f32_e32 v10, v40, v24
	v_fmac_f32_e32 v9, v41, v24
	;; [unrolled: 1-line block ×4, first 2 shown]
	s_barrier
	v_fmac_f32_e32 v10, v42, v25
	v_fmac_f32_e32 v9, v43, v25
	v_fmac_f32_e32 v8, v42, v29
	v_fmac_f32_e32 v7, v43, v29
	buffer_gl0_inv
	v_fmac_f32_e32 v10, v32, v26
	v_fmac_f32_e32 v9, v33, v26
	;; [unrolled: 1-line block ×8, first 2 shown]
	s_cbranch_vccz .LBB437_7
.LBB437_3:                              ; =>This Inner Loop Header: Depth=1
	v_add_co_u32 v16, s9, v11, s12
	v_add_co_ci_u32_e64 v17, null, 0, s13, s9
	v_cmp_gt_i64_e32 vcc_lo, s[10:11], v[16:17]
	v_mov_b32_e32 v16, 0
	s_and_b32 s14, s0, vcc_lo
	s_and_saveexec_b32 s9, s14
	s_cbranch_execz .LBB437_5
; %bb.4:                                ;   in Loop: Header=BB437_3 Depth=1
	global_load_ushort v16, v[4:5], off
	s_waitcnt vmcnt(0)
	v_lshlrev_b32_e32 v16, 16, v16
.LBB437_5:                              ;   in Loop: Header=BB437_3 Depth=1
	s_or_b32 exec_lo, exec_lo, s9
	v_add_co_u32 v17, s9, v6, s12
	v_add_co_ci_u32_e64 v18, null, 0, s13, s9
	ds_write_b32 v12, v16
	v_cmp_gt_i64_e32 vcc_lo, s[10:11], v[17:18]
	v_mov_b32_e32 v17, 0
	s_and_b32 s14, vcc_lo, s1
	s_and_saveexec_b32 s9, s14
	s_cbranch_execz .LBB437_2
; %bb.6:                                ;   in Loop: Header=BB437_3 Depth=1
	global_load_ushort v16, v[2:3], off
	s_waitcnt vmcnt(0)
	v_lshlrev_b32_e32 v17, 16, v16
	s_branch .LBB437_2
.LBB437_7:
	s_clause 0x3
	s_load_dwordx4 s[24:27], s[4:5], 0x78
	s_load_dword s9, s[4:5], 0x50
	s_load_dwordx8 s[12:19], s[4:5], 0x58
	s_load_dword s4, s[4:5], 0x18
	v_add_co_u32 v1, s0, s2, v1
	v_add_co_ci_u32_e64 v2, null, s3, 0, s0
	s_waitcnt lgkmcnt(0)
	s_mul_i32 s1, s27, s8
	s_mul_hi_u32 s2, s26, s8
	s_mul_i32 s0, s26, s8
	s_add_i32 s1, s2, s1
	v_cmp_neq_f32_e64 s2, s9, 0
	s_lshl_b64 s[10:11], s[0:1], 1
	v_cmp_gt_i64_e64 s0, s[22:23], v[1:2]
	s_add_u32 s3, s18, s10
	s_addc_u32 s5, s19, s11
	s_and_b32 vcc_lo, exec_lo, s2
	s_cbranch_vccnz .LBB437_28
; %bb.8:
	s_and_saveexec_b32 s10, s0
	s_cbranch_execz .LBB437_26
; %bb.9:
	v_mul_lo_u32 v3, v2, s24
	v_mul_lo_u32 v4, v1, s25
	v_mad_u64_u32 v[5:6], null, v1, s24, 0
	v_add3_u32 v6, v6, v4, v3
	v_add_co_u32 v3, s1, s6, v0
	v_add_co_ci_u32_e64 v4, null, s7, 0, s1
	v_lshlrev_b64 v[5:6], 1, v[5:6]
	v_cmp_gt_i64_e32 vcc_lo, s[20:21], v[3:4]
	v_add_co_u32 v5, s1, s3, v5
	v_add_co_ci_u32_e64 v6, null, s5, v6, s1
	s_and_saveexec_b32 s2, vcc_lo
	s_cbranch_execz .LBB437_15
; %bb.10:
	v_mul_f32_e32 v12, s4, v10
	v_and_b32_e32 v11, 0x7f800000, v12
	v_cmp_ne_u32_e64 s1, 0x7f800000, v11
                                        ; implicit-def: $vgpr11
	s_and_saveexec_b32 s11, s1
	s_xor_b32 s1, exec_lo, s11
; %bb.11:
	v_bfe_u32 v11, v12, 16, 1
	v_add3_u32 v11, v12, v11, 0x7fff
                                        ; implicit-def: $vgpr12
; %bb.12:
	s_andn2_saveexec_b32 s11, s1
; %bb.13:
	v_mov_b32_e32 v11, 0
	v_or_b32_e32 v13, 0x10000, v12
	v_cmp_eq_u32_sdwa s1, v12, v11 src0_sel:WORD_0 src1_sel:DWORD
	v_cndmask_b32_e64 v11, v13, v12, s1
; %bb.14:
	s_or_b32 exec_lo, exec_lo, s11
	v_lshlrev_b64 v[12:13], 1, v[3:4]
	v_add_co_u32 v12, s1, v5, v12
	v_add_co_ci_u32_e64 v13, null, v6, v13, s1
	global_store_short_d16_hi v[12:13], v11, off
.LBB437_15:
	s_or_b32 exec_lo, exec_lo, s2
	v_add_co_u32 v11, s1, v3, 16
	v_add_co_ci_u32_e64 v12, null, 0, v4, s1
	v_cmp_gt_i64_e64 s1, s[20:21], v[11:12]
	s_and_saveexec_b32 s11, s1
	s_cbranch_execz .LBB437_21
; %bb.16:
	v_mul_f32_e32 v12, s4, v9
	v_and_b32_e32 v11, 0x7f800000, v12
	v_cmp_ne_u32_e64 s2, 0x7f800000, v11
                                        ; implicit-def: $vgpr11
	s_and_saveexec_b32 s18, s2
	s_xor_b32 s2, exec_lo, s18
; %bb.17:
	v_bfe_u32 v11, v12, 16, 1
	v_add3_u32 v11, v12, v11, 0x7fff
                                        ; implicit-def: $vgpr12
; %bb.18:
	s_andn2_saveexec_b32 s18, s2
; %bb.19:
	v_mov_b32_e32 v11, 0
	v_or_b32_e32 v13, 0x10000, v12
	v_cmp_eq_u32_sdwa s2, v12, v11 src0_sel:WORD_0 src1_sel:DWORD
	v_cndmask_b32_e64 v11, v13, v12, s2
; %bb.20:
	s_or_b32 exec_lo, exec_lo, s18
	v_lshlrev_b64 v[12:13], 1, v[3:4]
	v_add_co_u32 v12, s2, v5, v12
	v_add_co_ci_u32_e64 v13, null, v6, v13, s2
	global_store_short_d16_hi v[12:13], v11, off offset:32
.LBB437_21:
	s_or_b32 exec_lo, exec_lo, s11
	v_add_co_u32 v11, s2, v1, 16
	v_add_co_ci_u32_e64 v12, null, 0, v2, s2
	v_cmp_gt_i64_e64 s2, s[22:23], v[11:12]
	s_and_b32 exec_lo, exec_lo, s2
	s_cbranch_execz .LBB437_26
; %bb.22:
	s_lshl_b64 s[18:19], s[24:25], 5
	v_lshlrev_b64 v[3:4], 1, v[3:4]
	v_add_co_u32 v5, s2, v5, s18
	v_add_co_ci_u32_e64 v6, null, s19, v6, s2
	v_add_co_u32 v3, s2, v5, v3
	v_add_co_ci_u32_e64 v4, null, v6, v4, s2
	s_and_saveexec_b32 s2, vcc_lo
	s_cbranch_execz .LBB437_24
; %bb.23:
	v_mul_f32_e32 v5, s4, v8
	v_mov_b32_e32 v11, 0
	v_bfe_u32 v6, v5, 16, 1
	v_or_b32_e32 v12, 0x10000, v5
	v_and_b32_e32 v13, 0x7f800000, v5
	v_cmp_eq_u32_sdwa vcc_lo, v5, v11 src0_sel:WORD_0 src1_sel:DWORD
	v_add3_u32 v6, v5, v6, 0x7fff
	v_cndmask_b32_e32 v5, v12, v5, vcc_lo
	v_cmp_eq_u32_e32 vcc_lo, 0x7f800000, v13
	v_cndmask_b32_e32 v5, v6, v5, vcc_lo
	global_store_short_d16_hi v[3:4], v5, off
.LBB437_24:
	s_or_b32 exec_lo, exec_lo, s2
	s_and_b32 exec_lo, exec_lo, s1
	s_cbranch_execz .LBB437_26
; %bb.25:
	v_mul_f32_e32 v5, s4, v7
	v_mov_b32_e32 v11, 0
	v_bfe_u32 v6, v5, 16, 1
	v_or_b32_e32 v12, 0x10000, v5
	v_and_b32_e32 v13, 0x7f800000, v5
	v_cmp_eq_u32_sdwa vcc_lo, v5, v11 src0_sel:WORD_0 src1_sel:DWORD
	v_add3_u32 v6, v5, v6, 0x7fff
	v_cndmask_b32_e32 v5, v12, v5, vcc_lo
	v_cmp_eq_u32_e32 vcc_lo, 0x7f800000, v13
	v_cndmask_b32_e32 v5, v6, v5, vcc_lo
	global_store_short_d16_hi v[3:4], v5, off offset:32
.LBB437_26:
	s_or_b32 exec_lo, exec_lo, s10
	s_cbranch_execz .LBB437_29
.LBB437_27:
	s_endpgm
.LBB437_28:
.LBB437_29:
	s_and_saveexec_b32 s1, s0
	s_cbranch_execz .LBB437_27
; %bb.30:
	v_mul_lo_u32 v5, v2, s14
	v_mul_lo_u32 v6, v1, s15
	v_mad_u64_u32 v[3:4], null, v1, s14, 0
	v_mul_lo_u32 v13, v2, s24
	v_mul_lo_u32 v14, v1, s25
	v_mad_u64_u32 v[11:12], null, v1, s24, 0
	s_mul_i32 s0, s17, s8
	s_mul_hi_u32 s1, s16, s8
	v_add3_u32 v4, v4, v6, v5
	s_add_i32 s1, s1, s0
	s_mul_i32 s0, s16, s8
	v_add_co_u32 v5, s2, s6, v0
	v_add3_u32 v12, v12, v14, v13
	v_lshlrev_b64 v[3:4], 1, v[3:4]
	s_lshl_b64 s[0:1], s[0:1], 1
	v_add_co_ci_u32_e64 v6, null, s7, 0, s2
	v_lshlrev_b64 v[12:13], 1, v[11:12]
	s_add_u32 s0, s12, s0
	s_addc_u32 s1, s13, s1
	v_add_co_u32 v0, s0, s0, v3
	v_add_co_ci_u32_e64 v11, null, s1, v4, s0
	v_add_co_u32 v12, s0, s3, v12
	v_cmp_gt_i64_e32 vcc_lo, s[20:21], v[5:6]
	v_lshlrev_b64 v[3:4], 1, v[5:6]
	v_add_co_ci_u32_e64 v13, null, s5, v13, s0
	s_and_saveexec_b32 s1, vcc_lo
	s_cbranch_execz .LBB437_40
; %bb.31:
	v_add_co_u32 v14, s0, v0, v3
	v_add_co_ci_u32_e64 v15, null, v11, v4, s0
	global_load_ushort v14, v[14:15], off
	s_waitcnt vmcnt(0)
	v_lshlrev_b32_e32 v14, 16, v14
	v_mul_f32_e32 v14, s9, v14
	v_and_b32_e32 v15, 0x7f800000, v14
	v_cmp_ne_u32_e64 s0, 0x7f800000, v15
                                        ; implicit-def: $vgpr15
	s_and_saveexec_b32 s2, s0
	s_xor_b32 s0, exec_lo, s2
; %bb.32:
	v_bfe_u32 v15, v14, 16, 1
	v_add3_u32 v15, v14, v15, 0x7fff
                                        ; implicit-def: $vgpr14
; %bb.33:
	s_andn2_saveexec_b32 s2, s0
; %bb.34:
	v_mov_b32_e32 v15, 0
	v_or_b32_e32 v16, 0x10000, v14
	v_cmp_eq_u32_sdwa s0, v14, v15 src0_sel:WORD_0 src1_sel:DWORD
	v_cndmask_b32_e64 v15, v16, v14, s0
; %bb.35:
	s_or_b32 exec_lo, exec_lo, s2
	v_and_b32_e32 v14, 0xffff0000, v15
	v_fmac_f32_e32 v14, s4, v10
	v_and_b32_e32 v10, 0x7f800000, v14
	v_cmp_ne_u32_e64 s0, 0x7f800000, v10
                                        ; implicit-def: $vgpr10
	s_and_saveexec_b32 s2, s0
	s_xor_b32 s0, exec_lo, s2
; %bb.36:
	v_bfe_u32 v10, v14, 16, 1
	v_add3_u32 v10, v14, v10, 0x7fff
                                        ; implicit-def: $vgpr14
; %bb.37:
	s_andn2_saveexec_b32 s2, s0
; %bb.38:
	v_mov_b32_e32 v10, 0
	v_or_b32_e32 v15, 0x10000, v14
	v_cmp_eq_u32_sdwa s0, v14, v10 src0_sel:WORD_0 src1_sel:DWORD
	v_cndmask_b32_e64 v10, v15, v14, s0
; %bb.39:
	s_or_b32 exec_lo, exec_lo, s2
	v_add_co_u32 v14, s0, v12, v3
	v_add_co_ci_u32_e64 v15, null, v13, v4, s0
	global_store_short_d16_hi v[14:15], v10, off
.LBB437_40:
	s_or_b32 exec_lo, exec_lo, s1
	v_add_co_u32 v5, s0, v5, 16
	v_add_co_ci_u32_e64 v6, null, 0, v6, s0
	v_cmp_gt_i64_e64 s0, s[20:21], v[5:6]
	s_and_saveexec_b32 s2, s0
	s_cbranch_execz .LBB437_50
; %bb.41:
	v_add_co_u32 v5, s1, v0, v3
	v_add_co_ci_u32_e64 v6, null, v11, v4, s1
	global_load_ushort v5, v[5:6], off offset:32
	s_waitcnt vmcnt(0)
	v_lshlrev_b32_e32 v5, 16, v5
	v_mul_f32_e32 v5, s9, v5
	v_and_b32_e32 v6, 0x7f800000, v5
	v_cmp_ne_u32_e64 s1, 0x7f800000, v6
                                        ; implicit-def: $vgpr6
	s_and_saveexec_b32 s3, s1
	s_xor_b32 s1, exec_lo, s3
; %bb.42:
	v_bfe_u32 v6, v5, 16, 1
	v_add3_u32 v6, v5, v6, 0x7fff
                                        ; implicit-def: $vgpr5
; %bb.43:
	s_andn2_saveexec_b32 s3, s1
; %bb.44:
	v_mov_b32_e32 v6, 0
	v_or_b32_e32 v10, 0x10000, v5
	v_cmp_eq_u32_sdwa s1, v5, v6 src0_sel:WORD_0 src1_sel:DWORD
	v_cndmask_b32_e64 v6, v10, v5, s1
; %bb.45:
	s_or_b32 exec_lo, exec_lo, s3
	v_and_b32_e32 v5, 0xffff0000, v6
	v_fmac_f32_e32 v5, s4, v9
	v_and_b32_e32 v6, 0x7f800000, v5
	v_cmp_ne_u32_e64 s1, 0x7f800000, v6
                                        ; implicit-def: $vgpr6
	s_and_saveexec_b32 s3, s1
	s_xor_b32 s1, exec_lo, s3
; %bb.46:
	v_bfe_u32 v6, v5, 16, 1
	v_add3_u32 v6, v5, v6, 0x7fff
                                        ; implicit-def: $vgpr5
; %bb.47:
	s_andn2_saveexec_b32 s3, s1
; %bb.48:
	v_mov_b32_e32 v6, 0
	v_or_b32_e32 v9, 0x10000, v5
	v_cmp_eq_u32_sdwa s1, v5, v6 src0_sel:WORD_0 src1_sel:DWORD
	v_cndmask_b32_e64 v6, v9, v5, s1
; %bb.49:
	s_or_b32 exec_lo, exec_lo, s3
	v_add_co_u32 v9, s1, v12, v3
	v_add_co_ci_u32_e64 v10, null, v13, v4, s1
	global_store_short_d16_hi v[9:10], v6, off offset:32
.LBB437_50:
	s_or_b32 exec_lo, exec_lo, s2
	v_add_co_u32 v1, s1, v1, 16
	v_add_co_ci_u32_e64 v2, null, 0, v2, s1
	v_cmp_gt_i64_e64 s1, s[22:23], v[1:2]
	s_and_b32 exec_lo, exec_lo, s1
	s_cbranch_execz .LBB437_27
; %bb.51:
	s_lshl_b64 s[2:3], s[14:15], 5
	v_add_co_u32 v0, s1, v0, s2
	v_add_co_ci_u32_e64 v1, null, s3, v11, s1
	s_lshl_b64 s[2:3], s[24:25], 5
	v_add_co_u32 v2, s1, v12, s2
	v_add_co_ci_u32_e64 v9, null, s3, v13, s1
	v_add_co_u32 v5, s1, v0, v3
	v_add_co_ci_u32_e64 v6, null, v1, v4, s1
	;; [unrolled: 2-line block ×3, first 2 shown]
	s_and_saveexec_b32 s1, vcc_lo
	s_cbranch_execz .LBB437_61
; %bb.52:
	global_load_ushort v2, v[5:6], off
	s_waitcnt vmcnt(0)
	v_lshlrev_b32_e32 v2, 16, v2
	v_mul_f32_e32 v2, s9, v2
	v_and_b32_e32 v3, 0x7f800000, v2
	v_cmp_ne_u32_e32 vcc_lo, 0x7f800000, v3
                                        ; implicit-def: $vgpr3
	s_and_saveexec_b32 s2, vcc_lo
	s_xor_b32 s2, exec_lo, s2
; %bb.53:
	v_bfe_u32 v3, v2, 16, 1
	v_add3_u32 v3, v2, v3, 0x7fff
                                        ; implicit-def: $vgpr2
; %bb.54:
	s_andn2_saveexec_b32 s2, s2
; %bb.55:
	v_mov_b32_e32 v3, 0
	v_or_b32_e32 v4, 0x10000, v2
	v_cmp_eq_u32_sdwa vcc_lo, v2, v3 src0_sel:WORD_0 src1_sel:DWORD
	v_cndmask_b32_e32 v3, v4, v2, vcc_lo
; %bb.56:
	s_or_b32 exec_lo, exec_lo, s2
	v_and_b32_e32 v2, 0xffff0000, v3
	v_fmac_f32_e32 v2, s4, v8
	v_and_b32_e32 v3, 0x7f800000, v2
	v_cmp_ne_u32_e32 vcc_lo, 0x7f800000, v3
                                        ; implicit-def: $vgpr3
	s_and_saveexec_b32 s2, vcc_lo
	s_xor_b32 s2, exec_lo, s2
; %bb.57:
	v_bfe_u32 v3, v2, 16, 1
	v_add3_u32 v3, v2, v3, 0x7fff
                                        ; implicit-def: $vgpr2
; %bb.58:
	s_andn2_saveexec_b32 s2, s2
; %bb.59:
	v_mov_b32_e32 v3, 0
	v_or_b32_e32 v4, 0x10000, v2
	v_cmp_eq_u32_sdwa vcc_lo, v2, v3 src0_sel:WORD_0 src1_sel:DWORD
	v_cndmask_b32_e32 v3, v4, v2, vcc_lo
; %bb.60:
	s_or_b32 exec_lo, exec_lo, s2
	global_store_short_d16_hi v[0:1], v3, off
.LBB437_61:
	s_or_b32 exec_lo, exec_lo, s1
	s_and_b32 exec_lo, exec_lo, s0
	s_cbranch_execz .LBB437_27
; %bb.62:
	global_load_ushort v2, v[5:6], off offset:32
	s_waitcnt vmcnt(0)
	v_lshlrev_b32_e32 v2, 16, v2
	v_mul_f32_e32 v2, s9, v2
	v_and_b32_e32 v3, 0x7f800000, v2
	v_cmp_ne_u32_e32 vcc_lo, 0x7f800000, v3
                                        ; implicit-def: $vgpr3
	s_and_saveexec_b32 s0, vcc_lo
	s_xor_b32 s0, exec_lo, s0
; %bb.63:
	v_bfe_u32 v3, v2, 16, 1
	v_add3_u32 v3, v2, v3, 0x7fff
                                        ; implicit-def: $vgpr2
; %bb.64:
	s_andn2_saveexec_b32 s0, s0
; %bb.65:
	v_mov_b32_e32 v3, 0
	v_or_b32_e32 v4, 0x10000, v2
	v_cmp_eq_u32_sdwa vcc_lo, v2, v3 src0_sel:WORD_0 src1_sel:DWORD
	v_cndmask_b32_e32 v3, v4, v2, vcc_lo
; %bb.66:
	s_or_b32 exec_lo, exec_lo, s0
	v_and_b32_e32 v2, 0xffff0000, v3
	v_fmac_f32_e32 v2, s4, v7
	v_and_b32_e32 v3, 0x7f800000, v2
	v_cmp_ne_u32_e32 vcc_lo, 0x7f800000, v3
                                        ; implicit-def: $vgpr3
	s_and_saveexec_b32 s0, vcc_lo
	s_xor_b32 s0, exec_lo, s0
; %bb.67:
	v_bfe_u32 v3, v2, 16, 1
	v_add3_u32 v3, v2, v3, 0x7fff
                                        ; implicit-def: $vgpr2
; %bb.68:
	s_andn2_saveexec_b32 s0, s0
; %bb.69:
	v_mov_b32_e32 v3, 0
	v_or_b32_e32 v4, 0x10000, v2
	v_cmp_eq_u32_sdwa vcc_lo, v2, v3 src0_sel:WORD_0 src1_sel:DWORD
	v_cndmask_b32_e32 v3, v4, v2, vcc_lo
; %bb.70:
	s_or_b32 exec_lo, exec_lo, s0
	global_store_short_d16_hi v[0:1], v3, off offset:32
	s_endpgm
	.section	.rodata,"a",@progbits
	.p2align	6, 0x0
	.amdhsa_kernel _ZN12_GLOBAL__N_135rocblas_gemm_batched_general_kernelIfLi16ELi16ELi32ELi32ELi8ELi32ELi8ELi8ELi32ELc84ELc78EK16rocblas_bfloat16S2_S1_EEvlllT_PT11_llS5_llS3_PT12_llPT13_lli
		.amdhsa_group_segment_fixed_size 2048
		.amdhsa_private_segment_fixed_size 0
		.amdhsa_kernarg_size 140
		.amdhsa_user_sgpr_count 6
		.amdhsa_user_sgpr_private_segment_buffer 1
		.amdhsa_user_sgpr_dispatch_ptr 0
		.amdhsa_user_sgpr_queue_ptr 0
		.amdhsa_user_sgpr_kernarg_segment_ptr 1
		.amdhsa_user_sgpr_dispatch_id 0
		.amdhsa_user_sgpr_flat_scratch_init 0
		.amdhsa_user_sgpr_private_segment_size 0
		.amdhsa_wavefront_size32 1
		.amdhsa_uses_dynamic_stack 0
		.amdhsa_system_sgpr_private_segment_wavefront_offset 0
		.amdhsa_system_sgpr_workgroup_id_x 1
		.amdhsa_system_sgpr_workgroup_id_y 1
		.amdhsa_system_sgpr_workgroup_id_z 1
		.amdhsa_system_sgpr_workgroup_info 0
		.amdhsa_system_vgpr_workitem_id 1
		.amdhsa_next_free_vgpr 44
		.amdhsa_next_free_sgpr 28
		.amdhsa_reserve_vcc 1
		.amdhsa_reserve_flat_scratch 0
		.amdhsa_float_round_mode_32 0
		.amdhsa_float_round_mode_16_64 0
		.amdhsa_float_denorm_mode_32 3
		.amdhsa_float_denorm_mode_16_64 3
		.amdhsa_dx10_clamp 1
		.amdhsa_ieee_mode 1
		.amdhsa_fp16_overflow 0
		.amdhsa_workgroup_processor_mode 1
		.amdhsa_memory_ordered 1
		.amdhsa_forward_progress 1
		.amdhsa_shared_vgpr_count 0
		.amdhsa_exception_fp_ieee_invalid_op 0
		.amdhsa_exception_fp_denorm_src 0
		.amdhsa_exception_fp_ieee_div_zero 0
		.amdhsa_exception_fp_ieee_overflow 0
		.amdhsa_exception_fp_ieee_underflow 0
		.amdhsa_exception_fp_ieee_inexact 0
		.amdhsa_exception_int_div_zero 0
	.end_amdhsa_kernel
	.section	.text._ZN12_GLOBAL__N_135rocblas_gemm_batched_general_kernelIfLi16ELi16ELi32ELi32ELi8ELi32ELi8ELi8ELi32ELc84ELc78EK16rocblas_bfloat16S2_S1_EEvlllT_PT11_llS5_llS3_PT12_llPT13_lli,"axG",@progbits,_ZN12_GLOBAL__N_135rocblas_gemm_batched_general_kernelIfLi16ELi16ELi32ELi32ELi8ELi32ELi8ELi8ELi32ELc84ELc78EK16rocblas_bfloat16S2_S1_EEvlllT_PT11_llS5_llS3_PT12_llPT13_lli,comdat
.Lfunc_end437:
	.size	_ZN12_GLOBAL__N_135rocblas_gemm_batched_general_kernelIfLi16ELi16ELi32ELi32ELi8ELi32ELi8ELi8ELi32ELc84ELc78EK16rocblas_bfloat16S2_S1_EEvlllT_PT11_llS5_llS3_PT12_llPT13_lli, .Lfunc_end437-_ZN12_GLOBAL__N_135rocblas_gemm_batched_general_kernelIfLi16ELi16ELi32ELi32ELi8ELi32ELi8ELi8ELi32ELc84ELc78EK16rocblas_bfloat16S2_S1_EEvlllT_PT11_llS5_llS3_PT12_llPT13_lli
                                        ; -- End function
	.set _ZN12_GLOBAL__N_135rocblas_gemm_batched_general_kernelIfLi16ELi16ELi32ELi32ELi8ELi32ELi8ELi8ELi32ELc84ELc78EK16rocblas_bfloat16S2_S1_EEvlllT_PT11_llS5_llS3_PT12_llPT13_lli.num_vgpr, 44
	.set _ZN12_GLOBAL__N_135rocblas_gemm_batched_general_kernelIfLi16ELi16ELi32ELi32ELi8ELi32ELi8ELi8ELi32ELc84ELc78EK16rocblas_bfloat16S2_S1_EEvlllT_PT11_llS5_llS3_PT12_llPT13_lli.num_agpr, 0
	.set _ZN12_GLOBAL__N_135rocblas_gemm_batched_general_kernelIfLi16ELi16ELi32ELi32ELi8ELi32ELi8ELi8ELi32ELc84ELc78EK16rocblas_bfloat16S2_S1_EEvlllT_PT11_llS5_llS3_PT12_llPT13_lli.numbered_sgpr, 28
	.set _ZN12_GLOBAL__N_135rocblas_gemm_batched_general_kernelIfLi16ELi16ELi32ELi32ELi8ELi32ELi8ELi8ELi32ELc84ELc78EK16rocblas_bfloat16S2_S1_EEvlllT_PT11_llS5_llS3_PT12_llPT13_lli.num_named_barrier, 0
	.set _ZN12_GLOBAL__N_135rocblas_gemm_batched_general_kernelIfLi16ELi16ELi32ELi32ELi8ELi32ELi8ELi8ELi32ELc84ELc78EK16rocblas_bfloat16S2_S1_EEvlllT_PT11_llS5_llS3_PT12_llPT13_lli.private_seg_size, 0
	.set _ZN12_GLOBAL__N_135rocblas_gemm_batched_general_kernelIfLi16ELi16ELi32ELi32ELi8ELi32ELi8ELi8ELi32ELc84ELc78EK16rocblas_bfloat16S2_S1_EEvlllT_PT11_llS5_llS3_PT12_llPT13_lli.uses_vcc, 1
	.set _ZN12_GLOBAL__N_135rocblas_gemm_batched_general_kernelIfLi16ELi16ELi32ELi32ELi8ELi32ELi8ELi8ELi32ELc84ELc78EK16rocblas_bfloat16S2_S1_EEvlllT_PT11_llS5_llS3_PT12_llPT13_lli.uses_flat_scratch, 0
	.set _ZN12_GLOBAL__N_135rocblas_gemm_batched_general_kernelIfLi16ELi16ELi32ELi32ELi8ELi32ELi8ELi8ELi32ELc84ELc78EK16rocblas_bfloat16S2_S1_EEvlllT_PT11_llS5_llS3_PT12_llPT13_lli.has_dyn_sized_stack, 0
	.set _ZN12_GLOBAL__N_135rocblas_gemm_batched_general_kernelIfLi16ELi16ELi32ELi32ELi8ELi32ELi8ELi8ELi32ELc84ELc78EK16rocblas_bfloat16S2_S1_EEvlllT_PT11_llS5_llS3_PT12_llPT13_lli.has_recursion, 0
	.set _ZN12_GLOBAL__N_135rocblas_gemm_batched_general_kernelIfLi16ELi16ELi32ELi32ELi8ELi32ELi8ELi8ELi32ELc84ELc78EK16rocblas_bfloat16S2_S1_EEvlllT_PT11_llS5_llS3_PT12_llPT13_lli.has_indirect_call, 0
	.section	.AMDGPU.csdata,"",@progbits
; Kernel info:
; codeLenInByte = 2896
; TotalNumSgprs: 30
; NumVgprs: 44
; ScratchSize: 0
; MemoryBound: 0
; FloatMode: 240
; IeeeMode: 1
; LDSByteSize: 2048 bytes/workgroup (compile time only)
; SGPRBlocks: 0
; VGPRBlocks: 5
; NumSGPRsForWavesPerEU: 30
; NumVGPRsForWavesPerEU: 44
; Occupancy: 16
; WaveLimiterHint : 0
; COMPUTE_PGM_RSRC2:SCRATCH_EN: 0
; COMPUTE_PGM_RSRC2:USER_SGPR: 6
; COMPUTE_PGM_RSRC2:TRAP_HANDLER: 0
; COMPUTE_PGM_RSRC2:TGID_X_EN: 1
; COMPUTE_PGM_RSRC2:TGID_Y_EN: 1
; COMPUTE_PGM_RSRC2:TGID_Z_EN: 1
; COMPUTE_PGM_RSRC2:TIDIG_COMP_CNT: 1
	.section	.text._ZN12_GLOBAL__N_135rocblas_gemm_batched_general_kernelIfLi16ELi16ELi32ELi32ELi8ELi32ELi8ELi8ELi32ELc78ELc84EK16rocblas_bfloat16S2_S1_EEvlllT_PT11_llS5_llS3_PT12_llPT13_lli,"axG",@progbits,_ZN12_GLOBAL__N_135rocblas_gemm_batched_general_kernelIfLi16ELi16ELi32ELi32ELi8ELi32ELi8ELi8ELi32ELc78ELc84EK16rocblas_bfloat16S2_S1_EEvlllT_PT11_llS5_llS3_PT12_llPT13_lli,comdat
	.globl	_ZN12_GLOBAL__N_135rocblas_gemm_batched_general_kernelIfLi16ELi16ELi32ELi32ELi8ELi32ELi8ELi8ELi32ELc78ELc84EK16rocblas_bfloat16S2_S1_EEvlllT_PT11_llS5_llS3_PT12_llPT13_lli ; -- Begin function _ZN12_GLOBAL__N_135rocblas_gemm_batched_general_kernelIfLi16ELi16ELi32ELi32ELi8ELi32ELi8ELi8ELi32ELc78ELc84EK16rocblas_bfloat16S2_S1_EEvlllT_PT11_llS5_llS3_PT12_llPT13_lli
	.p2align	8
	.type	_ZN12_GLOBAL__N_135rocblas_gemm_batched_general_kernelIfLi16ELi16ELi32ELi32ELi8ELi32ELi8ELi8ELi32ELc78ELc84EK16rocblas_bfloat16S2_S1_EEvlllT_PT11_llS5_llS3_PT12_llPT13_lli,@function
_ZN12_GLOBAL__N_135rocblas_gemm_batched_general_kernelIfLi16ELi16ELi32ELi32ELi8ELi32ELi8ELi8ELi32ELc78ELc84EK16rocblas_bfloat16S2_S1_EEvlllT_PT11_llS5_llS3_PT12_llPT13_lli: ; @_ZN12_GLOBAL__N_135rocblas_gemm_batched_general_kernelIfLi16ELi16ELi32ELi32ELi8ELi32ELi8ELi8ELi32ELc78ELc84EK16rocblas_bfloat16S2_S1_EEvlllT_PT11_llS5_llS3_PT12_llPT13_lli
; %bb.0:
	s_clause 0x1
	s_load_dwordx2 s[28:29], s[4:5], 0x10
	s_load_dwordx4 s[20:23], s[4:5], 0x0
	s_mov_b32 s0, s7
	v_mov_b32_e32 v10, 0
	v_mov_b32_e32 v9, 0
	;; [unrolled: 1-line block ×4, first 2 shown]
	s_ashr_i32 s7, s6, 31
	s_ashr_i32 s1, s0, 31
	s_lshl_b64 s[10:11], s[6:7], 5
	s_waitcnt lgkmcnt(0)
	v_cmp_lt_i64_e64 s2, s[28:29], 1
	s_and_b32 vcc_lo, exec_lo, s2
	s_lshl_b64 s[2:3], s[0:1], 5
	s_cbranch_vccnz .LBB438_7
; %bb.1:
	s_clause 0x1
	s_load_dwordx4 s[24:27], s[4:5], 0x40
	s_load_dwordx8 s[12:19], s[4:5], 0x20
	v_lshl_add_u32 v2, v1, 4, v0
	v_and_b32_e32 v6, 7, v0
	v_mov_b32_e32 v3, s11
	s_lshl_b64 s[30:31], s[0:1], 6
	v_mov_b32_e32 v7, 0
	v_and_b32_e32 v10, 31, v2
	v_lshrrev_b32_e32 v14, 3, v2
	v_lshrrev_b32_e32 v13, 5, v2
	v_lshlrev_b32_e32 v15, 2, v6
	v_lshlrev_b32_e32 v11, 2, v0
	v_or_b32_e32 v2, s10, v10
	v_lshlrev_b32_e32 v16, 2, v10
	v_add_co_u32 v8, s0, v14, s2
	v_add_co_ci_u32_e64 v9, null, 0, s3, s0
	v_lshl_or_b32 v15, v14, 5, v15
	v_lshlrev_b32_e32 v18, 1, v14
	s_waitcnt lgkmcnt(0)
	v_mad_u64_u32 v[4:5], null, s24, v6, 0
	v_cmp_gt_i64_e64 s0, s[20:21], v[2:3]
	v_lshl_or_b32 v14, v13, 7, v16
	v_mad_u64_u32 v[16:17], null, s14, v13, 0
	s_mul_i32 s9, s27, s8
	s_mul_hi_u32 s27, s26, s8
	v_mov_b32_e32 v2, v5
	s_mul_i32 s26, s26, s8
	s_add_i32 s27, s27, s9
	s_mul_i32 s17, s17, s8
	s_lshl_b64 s[26:27], s[26:27], 1
	v_mad_u64_u32 v[2:3], null, s25, v6, v[2:3]
	v_mov_b32_e32 v3, v17
	s_mul_hi_u32 s33, s16, s8
	s_add_u32 s9, s30, s26
	s_mul_i32 s16, s16, s8
	s_addc_u32 s26, s31, s27
	s_add_i32 s17, s33, s17
	v_mov_b32_e32 v5, v2
	v_mad_u64_u32 v[2:3], null, s15, v13, v[3:4]
	s_lshl_b64 s[16:17], s[16:17], 1
	v_cmp_gt_i64_e64 s1, s[22:23], v[8:9]
	v_lshlrev_b64 v[3:4], 1, v[4:5]
	v_lshlrev_b32_e32 v8, 1, v10
	v_lshl_add_u32 v12, v1, 5, 0x400
	v_add_nc_u32_e32 v15, 0x400, v15
	v_mov_b32_e32 v17, v2
	v_mov_b32_e32 v10, 0
	v_add_co_u32 v5, vcc_lo, s9, v3
	v_add_co_ci_u32_e64 v4, null, s26, v4, vcc_lo
	v_lshlrev_b64 v[2:3], 1, v[16:17]
	s_lshl_b64 s[26:27], s[6:7], 6
	s_lshl_b64 s[6:7], s[24:25], 4
	s_add_u32 s9, s26, s16
	s_addc_u32 s16, s27, s17
	v_add_co_u32 v2, vcc_lo, s9, v2
	v_add_co_ci_u32_e64 v3, null, s16, v3, vcc_lo
	v_add_co_u32 v5, vcc_lo, v5, v18
	v_add_co_ci_u32_e64 v4, null, 0, v4, vcc_lo
	;; [unrolled: 2-line block ×5, first 2 shown]
	v_mov_b32_e32 v8, 0
	v_mov_b32_e32 v9, 0
	s_lshl_b64 s[12:13], s[14:15], 4
	s_mov_b64 s[14:15], 0
	s_branch .LBB438_3
.LBB438_2:                              ;   in Loop: Header=BB438_3 Depth=1
	s_or_b32 exec_lo, exec_lo, s9
	ds_write_b32 v15, v17
	s_waitcnt lgkmcnt(0)
	s_barrier
	buffer_gl0_inv
	ds_read_b128 v[16:19], v12
	ds_read2_b32 v[32:33], v11 offset1:16
	ds_read_b128 v[20:23], v12 offset:512
	ds_read2_b32 v[34:35], v11 offset0:32 offset1:48
	ds_read2_b32 v[36:37], v11 offset0:64 offset1:80
	;; [unrolled: 1-line block ×3, first 2 shown]
	ds_read_b128 v[24:27], v12 offset:16
	ds_read2_b32 v[40:41], v11 offset0:128 offset1:144
	ds_read_b128 v[28:31], v12 offset:528
	ds_read2_b32 v[42:43], v11 offset0:160 offset1:176
	s_add_u32 s14, s14, 8
	s_addc_u32 s15, s15, 0
	v_add_co_u32 v2, vcc_lo, v2, s6
	v_cmp_lt_i64_e64 s9, s[14:15], s[28:29]
	v_add_co_ci_u32_e64 v3, null, s7, v3, vcc_lo
	v_add_co_u32 v4, vcc_lo, v4, s12
	v_add_co_ci_u32_e64 v5, null, s13, v5, vcc_lo
	s_waitcnt lgkmcnt(8)
	v_fmac_f32_e32 v10, v32, v16
	v_fmac_f32_e32 v9, v33, v16
	s_waitcnt lgkmcnt(7)
	v_fmac_f32_e32 v8, v32, v20
	v_fmac_f32_e32 v7, v33, v20
	ds_read2_b32 v[32:33], v11 offset0:192 offset1:208
	s_waitcnt lgkmcnt(7)
	v_fmac_f32_e32 v10, v34, v17
	v_fmac_f32_e32 v9, v35, v17
	;; [unrolled: 1-line block ×4, first 2 shown]
	ds_read2_b32 v[16:17], v11 offset0:224 offset1:240
	s_waitcnt lgkmcnt(7)
	v_fmac_f32_e32 v10, v36, v18
	v_fmac_f32_e32 v9, v37, v18
	;; [unrolled: 1-line block ×4, first 2 shown]
	s_and_b32 vcc_lo, exec_lo, s9
	s_waitcnt lgkmcnt(6)
	v_fmac_f32_e32 v10, v38, v19
	v_fmac_f32_e32 v9, v39, v19
	;; [unrolled: 1-line block ×4, first 2 shown]
	s_waitcnt lgkmcnt(0)
	v_fmac_f32_e32 v10, v40, v24
	v_fmac_f32_e32 v9, v41, v24
	v_fmac_f32_e32 v8, v40, v28
	v_fmac_f32_e32 v7, v41, v28
	s_barrier
	v_fmac_f32_e32 v10, v42, v25
	v_fmac_f32_e32 v9, v43, v25
	;; [unrolled: 1-line block ×4, first 2 shown]
	buffer_gl0_inv
	v_fmac_f32_e32 v10, v32, v26
	v_fmac_f32_e32 v9, v33, v26
	;; [unrolled: 1-line block ×8, first 2 shown]
	s_cbranch_vccz .LBB438_7
.LBB438_3:                              ; =>This Inner Loop Header: Depth=1
	v_add_co_u32 v16, s9, v13, s14
	v_add_co_ci_u32_e64 v17, null, 0, s15, s9
	v_cmp_gt_i64_e32 vcc_lo, s[28:29], v[16:17]
	v_mov_b32_e32 v16, 0
	s_and_b32 s16, s0, vcc_lo
	s_and_saveexec_b32 s9, s16
	s_cbranch_execz .LBB438_5
; %bb.4:                                ;   in Loop: Header=BB438_3 Depth=1
	global_load_ushort v16, v[4:5], off
	s_waitcnt vmcnt(0)
	v_lshlrev_b32_e32 v16, 16, v16
.LBB438_5:                              ;   in Loop: Header=BB438_3 Depth=1
	s_or_b32 exec_lo, exec_lo, s9
	v_add_co_u32 v17, s9, v6, s14
	v_add_co_ci_u32_e64 v18, null, 0, s15, s9
	ds_write_b32 v14, v16
	v_cmp_gt_i64_e32 vcc_lo, s[28:29], v[17:18]
	v_mov_b32_e32 v17, 0
	s_and_b32 s16, vcc_lo, s1
	s_and_saveexec_b32 s9, s16
	s_cbranch_execz .LBB438_2
; %bb.6:                                ;   in Loop: Header=BB438_3 Depth=1
	global_load_ushort v16, v[2:3], off
	s_waitcnt vmcnt(0)
	v_lshlrev_b32_e32 v17, 16, v16
	s_branch .LBB438_2
.LBB438_7:
	s_clause 0x3
	s_load_dwordx4 s[24:27], s[4:5], 0x78
	s_load_dword s6, s[4:5], 0x50
	s_load_dwordx8 s[12:19], s[4:5], 0x58
	s_load_dword s4, s[4:5], 0x18
	v_add_co_u32 v1, s0, s2, v1
	v_add_co_ci_u32_e64 v2, null, s3, 0, s0
	s_waitcnt lgkmcnt(0)
	s_mul_i32 s1, s27, s8
	s_mul_hi_u32 s2, s26, s8
	s_mul_i32 s0, s26, s8
	s_add_i32 s1, s2, s1
	v_cmp_neq_f32_e64 s2, s6, 0
	s_lshl_b64 s[26:27], s[0:1], 1
	v_cmp_gt_i64_e64 s0, s[22:23], v[1:2]
	s_add_u32 s3, s18, s26
	s_addc_u32 s5, s19, s27
	s_and_b32 vcc_lo, exec_lo, s2
	s_cbranch_vccnz .LBB438_28
; %bb.8:
	s_and_saveexec_b32 s7, s0
	s_cbranch_execz .LBB438_26
; %bb.9:
	v_mul_lo_u32 v3, v2, s24
	v_mul_lo_u32 v4, v1, s25
	v_mad_u64_u32 v[5:6], null, v1, s24, 0
	v_add3_u32 v6, v6, v4, v3
	v_add_co_u32 v3, s1, s10, v0
	v_add_co_ci_u32_e64 v4, null, s11, 0, s1
	v_lshlrev_b64 v[5:6], 1, v[5:6]
	v_cmp_gt_i64_e32 vcc_lo, s[20:21], v[3:4]
	v_add_co_u32 v5, s1, s3, v5
	v_add_co_ci_u32_e64 v6, null, s5, v6, s1
	s_and_saveexec_b32 s2, vcc_lo
	s_cbranch_execz .LBB438_15
; %bb.10:
	v_mul_f32_e32 v12, s4, v10
	v_and_b32_e32 v11, 0x7f800000, v12
	v_cmp_ne_u32_e64 s1, 0x7f800000, v11
                                        ; implicit-def: $vgpr11
	s_and_saveexec_b32 s9, s1
	s_xor_b32 s1, exec_lo, s9
; %bb.11:
	v_bfe_u32 v11, v12, 16, 1
	v_add3_u32 v11, v12, v11, 0x7fff
                                        ; implicit-def: $vgpr12
; %bb.12:
	s_andn2_saveexec_b32 s9, s1
; %bb.13:
	v_mov_b32_e32 v11, 0
	v_or_b32_e32 v13, 0x10000, v12
	v_cmp_eq_u32_sdwa s1, v12, v11 src0_sel:WORD_0 src1_sel:DWORD
	v_cndmask_b32_e64 v11, v13, v12, s1
; %bb.14:
	s_or_b32 exec_lo, exec_lo, s9
	v_lshlrev_b64 v[12:13], 1, v[3:4]
	v_add_co_u32 v12, s1, v5, v12
	v_add_co_ci_u32_e64 v13, null, v6, v13, s1
	global_store_short_d16_hi v[12:13], v11, off
.LBB438_15:
	s_or_b32 exec_lo, exec_lo, s2
	v_add_co_u32 v11, s1, v3, 16
	v_add_co_ci_u32_e64 v12, null, 0, v4, s1
	v_cmp_gt_i64_e64 s1, s[20:21], v[11:12]
	s_and_saveexec_b32 s9, s1
	s_cbranch_execz .LBB438_21
; %bb.16:
	v_mul_f32_e32 v12, s4, v9
	v_and_b32_e32 v11, 0x7f800000, v12
	v_cmp_ne_u32_e64 s2, 0x7f800000, v11
                                        ; implicit-def: $vgpr11
	s_and_saveexec_b32 s18, s2
	s_xor_b32 s2, exec_lo, s18
; %bb.17:
	v_bfe_u32 v11, v12, 16, 1
	v_add3_u32 v11, v12, v11, 0x7fff
                                        ; implicit-def: $vgpr12
; %bb.18:
	s_andn2_saveexec_b32 s18, s2
; %bb.19:
	v_mov_b32_e32 v11, 0
	v_or_b32_e32 v13, 0x10000, v12
	v_cmp_eq_u32_sdwa s2, v12, v11 src0_sel:WORD_0 src1_sel:DWORD
	v_cndmask_b32_e64 v11, v13, v12, s2
; %bb.20:
	s_or_b32 exec_lo, exec_lo, s18
	v_lshlrev_b64 v[12:13], 1, v[3:4]
	v_add_co_u32 v12, s2, v5, v12
	v_add_co_ci_u32_e64 v13, null, v6, v13, s2
	global_store_short_d16_hi v[12:13], v11, off offset:32
.LBB438_21:
	s_or_b32 exec_lo, exec_lo, s9
	v_add_co_u32 v11, s2, v1, 16
	v_add_co_ci_u32_e64 v12, null, 0, v2, s2
	v_cmp_gt_i64_e64 s2, s[22:23], v[11:12]
	s_and_b32 exec_lo, exec_lo, s2
	s_cbranch_execz .LBB438_26
; %bb.22:
	s_lshl_b64 s[18:19], s[24:25], 5
	v_lshlrev_b64 v[3:4], 1, v[3:4]
	v_add_co_u32 v5, s2, v5, s18
	v_add_co_ci_u32_e64 v6, null, s19, v6, s2
	v_add_co_u32 v3, s2, v5, v3
	v_add_co_ci_u32_e64 v4, null, v6, v4, s2
	s_and_saveexec_b32 s2, vcc_lo
	s_cbranch_execz .LBB438_24
; %bb.23:
	v_mul_f32_e32 v5, s4, v8
	v_mov_b32_e32 v11, 0
	v_bfe_u32 v6, v5, 16, 1
	v_or_b32_e32 v12, 0x10000, v5
	v_and_b32_e32 v13, 0x7f800000, v5
	v_cmp_eq_u32_sdwa vcc_lo, v5, v11 src0_sel:WORD_0 src1_sel:DWORD
	v_add3_u32 v6, v5, v6, 0x7fff
	v_cndmask_b32_e32 v5, v12, v5, vcc_lo
	v_cmp_eq_u32_e32 vcc_lo, 0x7f800000, v13
	v_cndmask_b32_e32 v5, v6, v5, vcc_lo
	global_store_short_d16_hi v[3:4], v5, off
.LBB438_24:
	s_or_b32 exec_lo, exec_lo, s2
	s_and_b32 exec_lo, exec_lo, s1
	s_cbranch_execz .LBB438_26
; %bb.25:
	v_mul_f32_e32 v5, s4, v7
	v_mov_b32_e32 v11, 0
	v_bfe_u32 v6, v5, 16, 1
	v_or_b32_e32 v12, 0x10000, v5
	v_and_b32_e32 v13, 0x7f800000, v5
	v_cmp_eq_u32_sdwa vcc_lo, v5, v11 src0_sel:WORD_0 src1_sel:DWORD
	v_add3_u32 v6, v5, v6, 0x7fff
	v_cndmask_b32_e32 v5, v12, v5, vcc_lo
	v_cmp_eq_u32_e32 vcc_lo, 0x7f800000, v13
	v_cndmask_b32_e32 v5, v6, v5, vcc_lo
	global_store_short_d16_hi v[3:4], v5, off offset:32
.LBB438_26:
	s_or_b32 exec_lo, exec_lo, s7
	s_cbranch_execz .LBB438_29
.LBB438_27:
	s_endpgm
.LBB438_28:
.LBB438_29:
	s_and_saveexec_b32 s1, s0
	s_cbranch_execz .LBB438_27
; %bb.30:
	v_mul_lo_u32 v5, v2, s14
	v_mul_lo_u32 v6, v1, s15
	v_mad_u64_u32 v[3:4], null, v1, s14, 0
	v_mul_lo_u32 v13, v2, s24
	v_mul_lo_u32 v14, v1, s25
	v_mad_u64_u32 v[11:12], null, v1, s24, 0
	s_mul_i32 s0, s17, s8
	s_mul_hi_u32 s1, s16, s8
	v_add3_u32 v4, v4, v6, v5
	s_add_i32 s1, s1, s0
	s_mul_i32 s0, s16, s8
	v_add_co_u32 v5, s2, s10, v0
	v_add3_u32 v12, v12, v14, v13
	v_lshlrev_b64 v[3:4], 1, v[3:4]
	s_lshl_b64 s[0:1], s[0:1], 1
	v_add_co_ci_u32_e64 v6, null, s11, 0, s2
	v_lshlrev_b64 v[12:13], 1, v[11:12]
	s_add_u32 s0, s12, s0
	s_addc_u32 s1, s13, s1
	v_add_co_u32 v0, s0, s0, v3
	v_add_co_ci_u32_e64 v11, null, s1, v4, s0
	v_add_co_u32 v12, s0, s3, v12
	v_cmp_gt_i64_e32 vcc_lo, s[20:21], v[5:6]
	v_lshlrev_b64 v[3:4], 1, v[5:6]
	v_add_co_ci_u32_e64 v13, null, s5, v13, s0
	s_and_saveexec_b32 s1, vcc_lo
	s_cbranch_execz .LBB438_40
; %bb.31:
	v_add_co_u32 v14, s0, v0, v3
	v_add_co_ci_u32_e64 v15, null, v11, v4, s0
	global_load_ushort v14, v[14:15], off
	s_waitcnt vmcnt(0)
	v_lshlrev_b32_e32 v14, 16, v14
	v_mul_f32_e32 v14, s6, v14
	v_and_b32_e32 v15, 0x7f800000, v14
	v_cmp_ne_u32_e64 s0, 0x7f800000, v15
                                        ; implicit-def: $vgpr15
	s_and_saveexec_b32 s2, s0
	s_xor_b32 s0, exec_lo, s2
; %bb.32:
	v_bfe_u32 v15, v14, 16, 1
	v_add3_u32 v15, v14, v15, 0x7fff
                                        ; implicit-def: $vgpr14
; %bb.33:
	s_andn2_saveexec_b32 s2, s0
; %bb.34:
	v_mov_b32_e32 v15, 0
	v_or_b32_e32 v16, 0x10000, v14
	v_cmp_eq_u32_sdwa s0, v14, v15 src0_sel:WORD_0 src1_sel:DWORD
	v_cndmask_b32_e64 v15, v16, v14, s0
; %bb.35:
	s_or_b32 exec_lo, exec_lo, s2
	v_and_b32_e32 v14, 0xffff0000, v15
	v_fmac_f32_e32 v14, s4, v10
	v_and_b32_e32 v10, 0x7f800000, v14
	v_cmp_ne_u32_e64 s0, 0x7f800000, v10
                                        ; implicit-def: $vgpr10
	s_and_saveexec_b32 s2, s0
	s_xor_b32 s0, exec_lo, s2
; %bb.36:
	v_bfe_u32 v10, v14, 16, 1
	v_add3_u32 v10, v14, v10, 0x7fff
                                        ; implicit-def: $vgpr14
; %bb.37:
	s_andn2_saveexec_b32 s2, s0
; %bb.38:
	v_mov_b32_e32 v10, 0
	v_or_b32_e32 v15, 0x10000, v14
	v_cmp_eq_u32_sdwa s0, v14, v10 src0_sel:WORD_0 src1_sel:DWORD
	v_cndmask_b32_e64 v10, v15, v14, s0
; %bb.39:
	s_or_b32 exec_lo, exec_lo, s2
	v_add_co_u32 v14, s0, v12, v3
	v_add_co_ci_u32_e64 v15, null, v13, v4, s0
	global_store_short_d16_hi v[14:15], v10, off
.LBB438_40:
	s_or_b32 exec_lo, exec_lo, s1
	v_add_co_u32 v5, s0, v5, 16
	v_add_co_ci_u32_e64 v6, null, 0, v6, s0
	v_cmp_gt_i64_e64 s0, s[20:21], v[5:6]
	s_and_saveexec_b32 s2, s0
	s_cbranch_execz .LBB438_50
; %bb.41:
	v_add_co_u32 v5, s1, v0, v3
	v_add_co_ci_u32_e64 v6, null, v11, v4, s1
	global_load_ushort v5, v[5:6], off offset:32
	s_waitcnt vmcnt(0)
	v_lshlrev_b32_e32 v5, 16, v5
	v_mul_f32_e32 v5, s6, v5
	v_and_b32_e32 v6, 0x7f800000, v5
	v_cmp_ne_u32_e64 s1, 0x7f800000, v6
                                        ; implicit-def: $vgpr6
	s_and_saveexec_b32 s3, s1
	s_xor_b32 s1, exec_lo, s3
; %bb.42:
	v_bfe_u32 v6, v5, 16, 1
	v_add3_u32 v6, v5, v6, 0x7fff
                                        ; implicit-def: $vgpr5
; %bb.43:
	s_andn2_saveexec_b32 s3, s1
; %bb.44:
	v_mov_b32_e32 v6, 0
	v_or_b32_e32 v10, 0x10000, v5
	v_cmp_eq_u32_sdwa s1, v5, v6 src0_sel:WORD_0 src1_sel:DWORD
	v_cndmask_b32_e64 v6, v10, v5, s1
; %bb.45:
	s_or_b32 exec_lo, exec_lo, s3
	v_and_b32_e32 v5, 0xffff0000, v6
	v_fmac_f32_e32 v5, s4, v9
	v_and_b32_e32 v6, 0x7f800000, v5
	v_cmp_ne_u32_e64 s1, 0x7f800000, v6
                                        ; implicit-def: $vgpr6
	s_and_saveexec_b32 s3, s1
	s_xor_b32 s1, exec_lo, s3
; %bb.46:
	v_bfe_u32 v6, v5, 16, 1
	v_add3_u32 v6, v5, v6, 0x7fff
                                        ; implicit-def: $vgpr5
; %bb.47:
	s_andn2_saveexec_b32 s3, s1
; %bb.48:
	v_mov_b32_e32 v6, 0
	v_or_b32_e32 v9, 0x10000, v5
	v_cmp_eq_u32_sdwa s1, v5, v6 src0_sel:WORD_0 src1_sel:DWORD
	v_cndmask_b32_e64 v6, v9, v5, s1
; %bb.49:
	s_or_b32 exec_lo, exec_lo, s3
	v_add_co_u32 v9, s1, v12, v3
	v_add_co_ci_u32_e64 v10, null, v13, v4, s1
	global_store_short_d16_hi v[9:10], v6, off offset:32
.LBB438_50:
	s_or_b32 exec_lo, exec_lo, s2
	v_add_co_u32 v1, s1, v1, 16
	v_add_co_ci_u32_e64 v2, null, 0, v2, s1
	v_cmp_gt_i64_e64 s1, s[22:23], v[1:2]
	s_and_b32 exec_lo, exec_lo, s1
	s_cbranch_execz .LBB438_27
; %bb.51:
	s_lshl_b64 s[2:3], s[14:15], 5
	v_add_co_u32 v0, s1, v0, s2
	v_add_co_ci_u32_e64 v1, null, s3, v11, s1
	s_lshl_b64 s[2:3], s[24:25], 5
	v_add_co_u32 v2, s1, v12, s2
	v_add_co_ci_u32_e64 v9, null, s3, v13, s1
	v_add_co_u32 v5, s1, v0, v3
	v_add_co_ci_u32_e64 v6, null, v1, v4, s1
	;; [unrolled: 2-line block ×3, first 2 shown]
	s_and_saveexec_b32 s1, vcc_lo
	s_cbranch_execz .LBB438_61
; %bb.52:
	global_load_ushort v2, v[5:6], off
	s_waitcnt vmcnt(0)
	v_lshlrev_b32_e32 v2, 16, v2
	v_mul_f32_e32 v2, s6, v2
	v_and_b32_e32 v3, 0x7f800000, v2
	v_cmp_ne_u32_e32 vcc_lo, 0x7f800000, v3
                                        ; implicit-def: $vgpr3
	s_and_saveexec_b32 s2, vcc_lo
	s_xor_b32 s2, exec_lo, s2
; %bb.53:
	v_bfe_u32 v3, v2, 16, 1
	v_add3_u32 v3, v2, v3, 0x7fff
                                        ; implicit-def: $vgpr2
; %bb.54:
	s_andn2_saveexec_b32 s2, s2
; %bb.55:
	v_mov_b32_e32 v3, 0
	v_or_b32_e32 v4, 0x10000, v2
	v_cmp_eq_u32_sdwa vcc_lo, v2, v3 src0_sel:WORD_0 src1_sel:DWORD
	v_cndmask_b32_e32 v3, v4, v2, vcc_lo
; %bb.56:
	s_or_b32 exec_lo, exec_lo, s2
	v_and_b32_e32 v2, 0xffff0000, v3
	v_fmac_f32_e32 v2, s4, v8
	v_and_b32_e32 v3, 0x7f800000, v2
	v_cmp_ne_u32_e32 vcc_lo, 0x7f800000, v3
                                        ; implicit-def: $vgpr3
	s_and_saveexec_b32 s2, vcc_lo
	s_xor_b32 s2, exec_lo, s2
; %bb.57:
	v_bfe_u32 v3, v2, 16, 1
	v_add3_u32 v3, v2, v3, 0x7fff
                                        ; implicit-def: $vgpr2
; %bb.58:
	s_andn2_saveexec_b32 s2, s2
; %bb.59:
	v_mov_b32_e32 v3, 0
	v_or_b32_e32 v4, 0x10000, v2
	v_cmp_eq_u32_sdwa vcc_lo, v2, v3 src0_sel:WORD_0 src1_sel:DWORD
	v_cndmask_b32_e32 v3, v4, v2, vcc_lo
; %bb.60:
	s_or_b32 exec_lo, exec_lo, s2
	global_store_short_d16_hi v[0:1], v3, off
.LBB438_61:
	s_or_b32 exec_lo, exec_lo, s1
	s_and_b32 exec_lo, exec_lo, s0
	s_cbranch_execz .LBB438_27
; %bb.62:
	global_load_ushort v2, v[5:6], off offset:32
	s_waitcnt vmcnt(0)
	v_lshlrev_b32_e32 v2, 16, v2
	v_mul_f32_e32 v2, s6, v2
	v_and_b32_e32 v3, 0x7f800000, v2
	v_cmp_ne_u32_e32 vcc_lo, 0x7f800000, v3
                                        ; implicit-def: $vgpr3
	s_and_saveexec_b32 s0, vcc_lo
	s_xor_b32 s0, exec_lo, s0
; %bb.63:
	v_bfe_u32 v3, v2, 16, 1
	v_add3_u32 v3, v2, v3, 0x7fff
                                        ; implicit-def: $vgpr2
; %bb.64:
	s_andn2_saveexec_b32 s0, s0
; %bb.65:
	v_mov_b32_e32 v3, 0
	v_or_b32_e32 v4, 0x10000, v2
	v_cmp_eq_u32_sdwa vcc_lo, v2, v3 src0_sel:WORD_0 src1_sel:DWORD
	v_cndmask_b32_e32 v3, v4, v2, vcc_lo
; %bb.66:
	s_or_b32 exec_lo, exec_lo, s0
	v_and_b32_e32 v2, 0xffff0000, v3
	v_fmac_f32_e32 v2, s4, v7
	v_and_b32_e32 v3, 0x7f800000, v2
	v_cmp_ne_u32_e32 vcc_lo, 0x7f800000, v3
                                        ; implicit-def: $vgpr3
	s_and_saveexec_b32 s0, vcc_lo
	s_xor_b32 s0, exec_lo, s0
; %bb.67:
	v_bfe_u32 v3, v2, 16, 1
	v_add3_u32 v3, v2, v3, 0x7fff
                                        ; implicit-def: $vgpr2
; %bb.68:
	s_andn2_saveexec_b32 s0, s0
; %bb.69:
	v_mov_b32_e32 v3, 0
	v_or_b32_e32 v4, 0x10000, v2
	v_cmp_eq_u32_sdwa vcc_lo, v2, v3 src0_sel:WORD_0 src1_sel:DWORD
	v_cndmask_b32_e32 v3, v4, v2, vcc_lo
; %bb.70:
	s_or_b32 exec_lo, exec_lo, s0
	global_store_short_d16_hi v[0:1], v3, off offset:32
	s_endpgm
	.section	.rodata,"a",@progbits
	.p2align	6, 0x0
	.amdhsa_kernel _ZN12_GLOBAL__N_135rocblas_gemm_batched_general_kernelIfLi16ELi16ELi32ELi32ELi8ELi32ELi8ELi8ELi32ELc78ELc84EK16rocblas_bfloat16S2_S1_EEvlllT_PT11_llS5_llS3_PT12_llPT13_lli
		.amdhsa_group_segment_fixed_size 2048
		.amdhsa_private_segment_fixed_size 0
		.amdhsa_kernarg_size 140
		.amdhsa_user_sgpr_count 6
		.amdhsa_user_sgpr_private_segment_buffer 1
		.amdhsa_user_sgpr_dispatch_ptr 0
		.amdhsa_user_sgpr_queue_ptr 0
		.amdhsa_user_sgpr_kernarg_segment_ptr 1
		.amdhsa_user_sgpr_dispatch_id 0
		.amdhsa_user_sgpr_flat_scratch_init 0
		.amdhsa_user_sgpr_private_segment_size 0
		.amdhsa_wavefront_size32 1
		.amdhsa_uses_dynamic_stack 0
		.amdhsa_system_sgpr_private_segment_wavefront_offset 0
		.amdhsa_system_sgpr_workgroup_id_x 1
		.amdhsa_system_sgpr_workgroup_id_y 1
		.amdhsa_system_sgpr_workgroup_id_z 1
		.amdhsa_system_sgpr_workgroup_info 0
		.amdhsa_system_vgpr_workitem_id 1
		.amdhsa_next_free_vgpr 44
		.amdhsa_next_free_sgpr 34
		.amdhsa_reserve_vcc 1
		.amdhsa_reserve_flat_scratch 0
		.amdhsa_float_round_mode_32 0
		.amdhsa_float_round_mode_16_64 0
		.amdhsa_float_denorm_mode_32 3
		.amdhsa_float_denorm_mode_16_64 3
		.amdhsa_dx10_clamp 1
		.amdhsa_ieee_mode 1
		.amdhsa_fp16_overflow 0
		.amdhsa_workgroup_processor_mode 1
		.amdhsa_memory_ordered 1
		.amdhsa_forward_progress 1
		.amdhsa_shared_vgpr_count 0
		.amdhsa_exception_fp_ieee_invalid_op 0
		.amdhsa_exception_fp_denorm_src 0
		.amdhsa_exception_fp_ieee_div_zero 0
		.amdhsa_exception_fp_ieee_overflow 0
		.amdhsa_exception_fp_ieee_underflow 0
		.amdhsa_exception_fp_ieee_inexact 0
		.amdhsa_exception_int_div_zero 0
	.end_amdhsa_kernel
	.section	.text._ZN12_GLOBAL__N_135rocblas_gemm_batched_general_kernelIfLi16ELi16ELi32ELi32ELi8ELi32ELi8ELi8ELi32ELc78ELc84EK16rocblas_bfloat16S2_S1_EEvlllT_PT11_llS5_llS3_PT12_llPT13_lli,"axG",@progbits,_ZN12_GLOBAL__N_135rocblas_gemm_batched_general_kernelIfLi16ELi16ELi32ELi32ELi8ELi32ELi8ELi8ELi32ELc78ELc84EK16rocblas_bfloat16S2_S1_EEvlllT_PT11_llS5_llS3_PT12_llPT13_lli,comdat
.Lfunc_end438:
	.size	_ZN12_GLOBAL__N_135rocblas_gemm_batched_general_kernelIfLi16ELi16ELi32ELi32ELi8ELi32ELi8ELi8ELi32ELc78ELc84EK16rocblas_bfloat16S2_S1_EEvlllT_PT11_llS5_llS3_PT12_llPT13_lli, .Lfunc_end438-_ZN12_GLOBAL__N_135rocblas_gemm_batched_general_kernelIfLi16ELi16ELi32ELi32ELi8ELi32ELi8ELi8ELi32ELc78ELc84EK16rocblas_bfloat16S2_S1_EEvlllT_PT11_llS5_llS3_PT12_llPT13_lli
                                        ; -- End function
	.set _ZN12_GLOBAL__N_135rocblas_gemm_batched_general_kernelIfLi16ELi16ELi32ELi32ELi8ELi32ELi8ELi8ELi32ELc78ELc84EK16rocblas_bfloat16S2_S1_EEvlllT_PT11_llS5_llS3_PT12_llPT13_lli.num_vgpr, 44
	.set _ZN12_GLOBAL__N_135rocblas_gemm_batched_general_kernelIfLi16ELi16ELi32ELi32ELi8ELi32ELi8ELi8ELi32ELc78ELc84EK16rocblas_bfloat16S2_S1_EEvlllT_PT11_llS5_llS3_PT12_llPT13_lli.num_agpr, 0
	.set _ZN12_GLOBAL__N_135rocblas_gemm_batched_general_kernelIfLi16ELi16ELi32ELi32ELi8ELi32ELi8ELi8ELi32ELc78ELc84EK16rocblas_bfloat16S2_S1_EEvlllT_PT11_llS5_llS3_PT12_llPT13_lli.numbered_sgpr, 34
	.set _ZN12_GLOBAL__N_135rocblas_gemm_batched_general_kernelIfLi16ELi16ELi32ELi32ELi8ELi32ELi8ELi8ELi32ELc78ELc84EK16rocblas_bfloat16S2_S1_EEvlllT_PT11_llS5_llS3_PT12_llPT13_lli.num_named_barrier, 0
	.set _ZN12_GLOBAL__N_135rocblas_gemm_batched_general_kernelIfLi16ELi16ELi32ELi32ELi8ELi32ELi8ELi8ELi32ELc78ELc84EK16rocblas_bfloat16S2_S1_EEvlllT_PT11_llS5_llS3_PT12_llPT13_lli.private_seg_size, 0
	.set _ZN12_GLOBAL__N_135rocblas_gemm_batched_general_kernelIfLi16ELi16ELi32ELi32ELi8ELi32ELi8ELi8ELi32ELc78ELc84EK16rocblas_bfloat16S2_S1_EEvlllT_PT11_llS5_llS3_PT12_llPT13_lli.uses_vcc, 1
	.set _ZN12_GLOBAL__N_135rocblas_gemm_batched_general_kernelIfLi16ELi16ELi32ELi32ELi8ELi32ELi8ELi8ELi32ELc78ELc84EK16rocblas_bfloat16S2_S1_EEvlllT_PT11_llS5_llS3_PT12_llPT13_lli.uses_flat_scratch, 0
	.set _ZN12_GLOBAL__N_135rocblas_gemm_batched_general_kernelIfLi16ELi16ELi32ELi32ELi8ELi32ELi8ELi8ELi32ELc78ELc84EK16rocblas_bfloat16S2_S1_EEvlllT_PT11_llS5_llS3_PT12_llPT13_lli.has_dyn_sized_stack, 0
	.set _ZN12_GLOBAL__N_135rocblas_gemm_batched_general_kernelIfLi16ELi16ELi32ELi32ELi8ELi32ELi8ELi8ELi32ELc78ELc84EK16rocblas_bfloat16S2_S1_EEvlllT_PT11_llS5_llS3_PT12_llPT13_lli.has_recursion, 0
	.set _ZN12_GLOBAL__N_135rocblas_gemm_batched_general_kernelIfLi16ELi16ELi32ELi32ELi8ELi32ELi8ELi8ELi32ELc78ELc84EK16rocblas_bfloat16S2_S1_EEvlllT_PT11_llS5_llS3_PT12_llPT13_lli.has_indirect_call, 0
	.section	.AMDGPU.csdata,"",@progbits
; Kernel info:
; codeLenInByte = 2896
; TotalNumSgprs: 36
; NumVgprs: 44
; ScratchSize: 0
; MemoryBound: 0
; FloatMode: 240
; IeeeMode: 1
; LDSByteSize: 2048 bytes/workgroup (compile time only)
; SGPRBlocks: 0
; VGPRBlocks: 5
; NumSGPRsForWavesPerEU: 36
; NumVGPRsForWavesPerEU: 44
; Occupancy: 16
; WaveLimiterHint : 0
; COMPUTE_PGM_RSRC2:SCRATCH_EN: 0
; COMPUTE_PGM_RSRC2:USER_SGPR: 6
; COMPUTE_PGM_RSRC2:TRAP_HANDLER: 0
; COMPUTE_PGM_RSRC2:TGID_X_EN: 1
; COMPUTE_PGM_RSRC2:TGID_Y_EN: 1
; COMPUTE_PGM_RSRC2:TGID_Z_EN: 1
; COMPUTE_PGM_RSRC2:TIDIG_COMP_CNT: 1
	.section	.text._ZN12_GLOBAL__N_135rocblas_gemm_batched_general_kernelIfLi16ELi16ELi32ELi32ELi8ELi32ELi8ELi8ELi32ELc84ELc84EK16rocblas_bfloat16S2_S1_EEvlllT_PT11_llS5_llS3_PT12_llPT13_lli,"axG",@progbits,_ZN12_GLOBAL__N_135rocblas_gemm_batched_general_kernelIfLi16ELi16ELi32ELi32ELi8ELi32ELi8ELi8ELi32ELc84ELc84EK16rocblas_bfloat16S2_S1_EEvlllT_PT11_llS5_llS3_PT12_llPT13_lli,comdat
	.globl	_ZN12_GLOBAL__N_135rocblas_gemm_batched_general_kernelIfLi16ELi16ELi32ELi32ELi8ELi32ELi8ELi8ELi32ELc84ELc84EK16rocblas_bfloat16S2_S1_EEvlllT_PT11_llS5_llS3_PT12_llPT13_lli ; -- Begin function _ZN12_GLOBAL__N_135rocblas_gemm_batched_general_kernelIfLi16ELi16ELi32ELi32ELi8ELi32ELi8ELi8ELi32ELc84ELc84EK16rocblas_bfloat16S2_S1_EEvlllT_PT11_llS5_llS3_PT12_llPT13_lli
	.p2align	8
	.type	_ZN12_GLOBAL__N_135rocblas_gemm_batched_general_kernelIfLi16ELi16ELi32ELi32ELi8ELi32ELi8ELi8ELi32ELc84ELc84EK16rocblas_bfloat16S2_S1_EEvlllT_PT11_llS5_llS3_PT12_llPT13_lli,@function
_ZN12_GLOBAL__N_135rocblas_gemm_batched_general_kernelIfLi16ELi16ELi32ELi32ELi8ELi32ELi8ELi8ELi32ELc84ELc84EK16rocblas_bfloat16S2_S1_EEvlllT_PT11_llS5_llS3_PT12_llPT13_lli: ; @_ZN12_GLOBAL__N_135rocblas_gemm_batched_general_kernelIfLi16ELi16ELi32ELi32ELi8ELi32ELi8ELi8ELi32ELc84ELc84EK16rocblas_bfloat16S2_S1_EEvlllT_PT11_llS5_llS3_PT12_llPT13_lli
; %bb.0:
	s_clause 0x1
	s_load_dwordx2 s[10:11], s[4:5], 0x10
	s_load_dwordx4 s[20:23], s[4:5], 0x0
	s_mov_b32 s0, s7
	v_mov_b32_e32 v10, 0
	v_mov_b32_e32 v9, 0
	;; [unrolled: 1-line block ×4, first 2 shown]
	s_ashr_i32 s7, s6, 31
	s_ashr_i32 s1, s0, 31
	s_lshl_b64 s[6:7], s[6:7], 5
	s_waitcnt lgkmcnt(0)
	v_cmp_lt_i64_e64 s2, s[10:11], 1
	s_and_b32 vcc_lo, exec_lo, s2
	s_lshl_b64 s[2:3], s[0:1], 5
	s_cbranch_vccnz .LBB439_7
; %bb.1:
	s_clause 0x1
	s_load_dwordx4 s[24:27], s[4:5], 0x40
	s_load_dwordx8 s[12:19], s[4:5], 0x20
	v_lshl_add_u32 v2, v1, 4, v0
	v_and_b32_e32 v6, 7, v0
	v_mov_b32_e32 v3, s7
	s_lshl_b64 s[28:29], s[0:1], 6
	v_mov_b32_e32 v7, 0
	v_and_b32_e32 v14, 31, v2
	v_lshrrev_b32_e32 v10, 3, v2
	v_lshrrev_b32_e32 v13, 5, v2
	v_lshlrev_b32_e32 v15, 2, v6
	v_lshlrev_b32_e32 v11, 2, v0
	v_or_b32_e32 v2, s6, v14
	v_add_co_u32 v8, s0, v10, s2
	v_add_co_ci_u32_e64 v9, null, 0, s3, s0
	v_add_co_u32 v17, s0, s6, v14
	v_add_co_ci_u32_e64 v18, null, s7, 0, s0
	s_waitcnt lgkmcnt(0)
	v_mad_u64_u32 v[4:5], null, s24, v6, 0
	v_cmp_gt_i64_e64 s0, s[20:21], v[2:3]
	v_cmp_gt_i64_e64 s1, s[22:23], v[8:9]
	v_mul_lo_u32 v8, s15, v17
	v_mul_lo_u32 v9, s14, v18
	s_mul_i32 s9, s27, s8
	s_mul_hi_u32 s27, s26, s8
	v_mad_u64_u32 v[2:3], null, s25, v6, v[5:6]
	s_mul_i32 s26, s26, s8
	s_add_i32 s27, s27, s9
	s_mul_i32 s9, s17, s8
	s_mul_hi_u32 s17, s16, s8
	v_lshlrev_b32_e32 v16, 2, v14
	v_lshl_or_b32 v15, v10, 5, v15
	v_mov_b32_e32 v5, v2
	v_mad_u64_u32 v[2:3], null, s14, v17, 0
	s_lshl_b64 s[14:15], s[26:27], 1
	v_lshl_add_u32 v12, v1, 5, 0x400
	v_lshlrev_b64 v[4:5], 1, v[4:5]
	s_add_u32 s14, s28, s14
	s_addc_u32 s15, s29, s15
	v_lshl_or_b32 v14, v13, 7, v16
	v_add3_u32 v3, v3, v9, v8
	v_lshlrev_b32_e32 v8, 1, v10
	v_add_co_u32 v4, vcc_lo, s14, v4
	v_add_co_ci_u32_e64 v5, null, s15, v5, vcc_lo
	v_lshlrev_b64 v[2:3], 1, v[2:3]
	s_add_i32 s15, s17, s9
	s_mul_i32 s14, s16, s8
	v_lshlrev_b32_e32 v9, 1, v13
	s_lshl_b64 s[14:15], s[14:15], 1
	v_add_nc_u32_e32 v15, 0x400, v15
	v_add_co_u32 v2, vcc_lo, v2, s14
	v_add_co_ci_u32_e64 v3, null, s15, v3, vcc_lo
	v_add_co_u32 v4, vcc_lo, v4, v8
	v_add_co_ci_u32_e64 v5, null, 0, v5, vcc_lo
	;; [unrolled: 2-line block ×5, first 2 shown]
	v_mov_b32_e32 v8, 0
	v_mov_b32_e32 v9, 0
	;; [unrolled: 1-line block ×3, first 2 shown]
	s_lshl_b64 s[12:13], s[24:25], 4
	s_mov_b64 s[14:15], 0
	s_branch .LBB439_3
.LBB439_2:                              ;   in Loop: Header=BB439_3 Depth=1
	s_or_b32 exec_lo, exec_lo, s9
	ds_write_b32 v15, v17
	s_waitcnt lgkmcnt(0)
	s_barrier
	buffer_gl0_inv
	ds_read_b128 v[16:19], v12
	ds_read2_b32 v[32:33], v11 offset1:16
	ds_read_b128 v[20:23], v12 offset:512
	ds_read2_b32 v[34:35], v11 offset0:32 offset1:48
	ds_read2_b32 v[36:37], v11 offset0:64 offset1:80
	;; [unrolled: 1-line block ×3, first 2 shown]
	ds_read_b128 v[24:27], v12 offset:16
	ds_read2_b32 v[40:41], v11 offset0:128 offset1:144
	ds_read_b128 v[28:31], v12 offset:528
	ds_read2_b32 v[42:43], v11 offset0:160 offset1:176
	s_add_u32 s14, s14, 8
	s_addc_u32 s15, s15, 0
	v_add_co_u32 v2, vcc_lo, v2, s12
	v_cmp_lt_i64_e64 s9, s[14:15], s[10:11]
	v_add_co_ci_u32_e64 v3, null, s13, v3, vcc_lo
	v_add_co_u32 v4, vcc_lo, v4, 16
	v_add_co_ci_u32_e64 v5, null, 0, v5, vcc_lo
	s_waitcnt lgkmcnt(8)
	v_fmac_f32_e32 v10, v32, v16
	v_fmac_f32_e32 v9, v33, v16
	s_waitcnt lgkmcnt(7)
	v_fmac_f32_e32 v8, v32, v20
	v_fmac_f32_e32 v7, v33, v20
	ds_read2_b32 v[32:33], v11 offset0:192 offset1:208
	s_waitcnt lgkmcnt(7)
	v_fmac_f32_e32 v10, v34, v17
	v_fmac_f32_e32 v9, v35, v17
	;; [unrolled: 1-line block ×4, first 2 shown]
	ds_read2_b32 v[16:17], v11 offset0:224 offset1:240
	s_waitcnt lgkmcnt(7)
	v_fmac_f32_e32 v10, v36, v18
	v_fmac_f32_e32 v9, v37, v18
	v_fmac_f32_e32 v8, v36, v22
	v_fmac_f32_e32 v7, v37, v22
	s_and_b32 vcc_lo, exec_lo, s9
	s_waitcnt lgkmcnt(6)
	v_fmac_f32_e32 v10, v38, v19
	v_fmac_f32_e32 v9, v39, v19
	;; [unrolled: 1-line block ×4, first 2 shown]
	s_waitcnt lgkmcnt(0)
	v_fmac_f32_e32 v10, v40, v24
	v_fmac_f32_e32 v9, v41, v24
	;; [unrolled: 1-line block ×4, first 2 shown]
	s_barrier
	v_fmac_f32_e32 v10, v42, v25
	v_fmac_f32_e32 v9, v43, v25
	;; [unrolled: 1-line block ×4, first 2 shown]
	buffer_gl0_inv
	v_fmac_f32_e32 v10, v32, v26
	v_fmac_f32_e32 v9, v33, v26
	;; [unrolled: 1-line block ×8, first 2 shown]
	s_cbranch_vccz .LBB439_7
.LBB439_3:                              ; =>This Inner Loop Header: Depth=1
	v_add_co_u32 v16, s9, v13, s14
	v_add_co_ci_u32_e64 v17, null, 0, s15, s9
	v_cmp_gt_i64_e32 vcc_lo, s[10:11], v[16:17]
	v_mov_b32_e32 v16, 0
	s_and_b32 s16, s0, vcc_lo
	s_and_saveexec_b32 s9, s16
	s_cbranch_execz .LBB439_5
; %bb.4:                                ;   in Loop: Header=BB439_3 Depth=1
	global_load_ushort v16, v[4:5], off
	s_waitcnt vmcnt(0)
	v_lshlrev_b32_e32 v16, 16, v16
.LBB439_5:                              ;   in Loop: Header=BB439_3 Depth=1
	s_or_b32 exec_lo, exec_lo, s9
	v_add_co_u32 v17, s9, v6, s14
	v_add_co_ci_u32_e64 v18, null, 0, s15, s9
	ds_write_b32 v14, v16
	v_cmp_gt_i64_e32 vcc_lo, s[10:11], v[17:18]
	v_mov_b32_e32 v17, 0
	s_and_b32 s16, vcc_lo, s1
	s_and_saveexec_b32 s9, s16
	s_cbranch_execz .LBB439_2
; %bb.6:                                ;   in Loop: Header=BB439_3 Depth=1
	global_load_ushort v16, v[2:3], off
	s_waitcnt vmcnt(0)
	v_lshlrev_b32_e32 v17, 16, v16
	s_branch .LBB439_2
.LBB439_7:
	s_clause 0x3
	s_load_dwordx4 s[24:27], s[4:5], 0x78
	s_load_dword s9, s[4:5], 0x50
	s_load_dwordx8 s[12:19], s[4:5], 0x58
	s_load_dword s4, s[4:5], 0x18
	v_add_co_u32 v1, s0, s2, v1
	v_add_co_ci_u32_e64 v2, null, s3, 0, s0
	s_waitcnt lgkmcnt(0)
	s_mul_i32 s1, s27, s8
	s_mul_hi_u32 s2, s26, s8
	s_mul_i32 s0, s26, s8
	s_add_i32 s1, s2, s1
	v_cmp_neq_f32_e64 s2, s9, 0
	s_lshl_b64 s[10:11], s[0:1], 1
	v_cmp_gt_i64_e64 s0, s[22:23], v[1:2]
	s_add_u32 s3, s18, s10
	s_addc_u32 s5, s19, s11
	s_and_b32 vcc_lo, exec_lo, s2
	s_cbranch_vccnz .LBB439_28
; %bb.8:
	s_and_saveexec_b32 s10, s0
	s_cbranch_execz .LBB439_26
; %bb.9:
	v_mul_lo_u32 v3, v2, s24
	v_mul_lo_u32 v4, v1, s25
	v_mad_u64_u32 v[5:6], null, v1, s24, 0
	v_add3_u32 v6, v6, v4, v3
	v_add_co_u32 v3, s1, s6, v0
	v_add_co_ci_u32_e64 v4, null, s7, 0, s1
	v_lshlrev_b64 v[5:6], 1, v[5:6]
	v_cmp_gt_i64_e32 vcc_lo, s[20:21], v[3:4]
	v_add_co_u32 v5, s1, s3, v5
	v_add_co_ci_u32_e64 v6, null, s5, v6, s1
	s_and_saveexec_b32 s2, vcc_lo
	s_cbranch_execz .LBB439_15
; %bb.10:
	v_mul_f32_e32 v12, s4, v10
	v_and_b32_e32 v11, 0x7f800000, v12
	v_cmp_ne_u32_e64 s1, 0x7f800000, v11
                                        ; implicit-def: $vgpr11
	s_and_saveexec_b32 s11, s1
	s_xor_b32 s1, exec_lo, s11
; %bb.11:
	v_bfe_u32 v11, v12, 16, 1
	v_add3_u32 v11, v12, v11, 0x7fff
                                        ; implicit-def: $vgpr12
; %bb.12:
	s_andn2_saveexec_b32 s11, s1
; %bb.13:
	v_mov_b32_e32 v11, 0
	v_or_b32_e32 v13, 0x10000, v12
	v_cmp_eq_u32_sdwa s1, v12, v11 src0_sel:WORD_0 src1_sel:DWORD
	v_cndmask_b32_e64 v11, v13, v12, s1
; %bb.14:
	s_or_b32 exec_lo, exec_lo, s11
	v_lshlrev_b64 v[12:13], 1, v[3:4]
	v_add_co_u32 v12, s1, v5, v12
	v_add_co_ci_u32_e64 v13, null, v6, v13, s1
	global_store_short_d16_hi v[12:13], v11, off
.LBB439_15:
	s_or_b32 exec_lo, exec_lo, s2
	v_add_co_u32 v11, s1, v3, 16
	v_add_co_ci_u32_e64 v12, null, 0, v4, s1
	v_cmp_gt_i64_e64 s1, s[20:21], v[11:12]
	s_and_saveexec_b32 s11, s1
	s_cbranch_execz .LBB439_21
; %bb.16:
	v_mul_f32_e32 v12, s4, v9
	v_and_b32_e32 v11, 0x7f800000, v12
	v_cmp_ne_u32_e64 s2, 0x7f800000, v11
                                        ; implicit-def: $vgpr11
	s_and_saveexec_b32 s18, s2
	s_xor_b32 s2, exec_lo, s18
; %bb.17:
	v_bfe_u32 v11, v12, 16, 1
	v_add3_u32 v11, v12, v11, 0x7fff
                                        ; implicit-def: $vgpr12
; %bb.18:
	s_andn2_saveexec_b32 s18, s2
; %bb.19:
	v_mov_b32_e32 v11, 0
	v_or_b32_e32 v13, 0x10000, v12
	v_cmp_eq_u32_sdwa s2, v12, v11 src0_sel:WORD_0 src1_sel:DWORD
	v_cndmask_b32_e64 v11, v13, v12, s2
; %bb.20:
	s_or_b32 exec_lo, exec_lo, s18
	v_lshlrev_b64 v[12:13], 1, v[3:4]
	v_add_co_u32 v12, s2, v5, v12
	v_add_co_ci_u32_e64 v13, null, v6, v13, s2
	global_store_short_d16_hi v[12:13], v11, off offset:32
.LBB439_21:
	s_or_b32 exec_lo, exec_lo, s11
	v_add_co_u32 v11, s2, v1, 16
	v_add_co_ci_u32_e64 v12, null, 0, v2, s2
	v_cmp_gt_i64_e64 s2, s[22:23], v[11:12]
	s_and_b32 exec_lo, exec_lo, s2
	s_cbranch_execz .LBB439_26
; %bb.22:
	s_lshl_b64 s[18:19], s[24:25], 5
	v_lshlrev_b64 v[3:4], 1, v[3:4]
	v_add_co_u32 v5, s2, v5, s18
	v_add_co_ci_u32_e64 v6, null, s19, v6, s2
	v_add_co_u32 v3, s2, v5, v3
	v_add_co_ci_u32_e64 v4, null, v6, v4, s2
	s_and_saveexec_b32 s2, vcc_lo
	s_cbranch_execz .LBB439_24
; %bb.23:
	v_mul_f32_e32 v5, s4, v8
	v_mov_b32_e32 v11, 0
	v_bfe_u32 v6, v5, 16, 1
	v_or_b32_e32 v12, 0x10000, v5
	v_and_b32_e32 v13, 0x7f800000, v5
	v_cmp_eq_u32_sdwa vcc_lo, v5, v11 src0_sel:WORD_0 src1_sel:DWORD
	v_add3_u32 v6, v5, v6, 0x7fff
	v_cndmask_b32_e32 v5, v12, v5, vcc_lo
	v_cmp_eq_u32_e32 vcc_lo, 0x7f800000, v13
	v_cndmask_b32_e32 v5, v6, v5, vcc_lo
	global_store_short_d16_hi v[3:4], v5, off
.LBB439_24:
	s_or_b32 exec_lo, exec_lo, s2
	s_and_b32 exec_lo, exec_lo, s1
	s_cbranch_execz .LBB439_26
; %bb.25:
	v_mul_f32_e32 v5, s4, v7
	v_mov_b32_e32 v11, 0
	v_bfe_u32 v6, v5, 16, 1
	v_or_b32_e32 v12, 0x10000, v5
	v_and_b32_e32 v13, 0x7f800000, v5
	v_cmp_eq_u32_sdwa vcc_lo, v5, v11 src0_sel:WORD_0 src1_sel:DWORD
	v_add3_u32 v6, v5, v6, 0x7fff
	v_cndmask_b32_e32 v5, v12, v5, vcc_lo
	v_cmp_eq_u32_e32 vcc_lo, 0x7f800000, v13
	v_cndmask_b32_e32 v5, v6, v5, vcc_lo
	global_store_short_d16_hi v[3:4], v5, off offset:32
.LBB439_26:
	s_or_b32 exec_lo, exec_lo, s10
	s_cbranch_execz .LBB439_29
.LBB439_27:
	s_endpgm
.LBB439_28:
.LBB439_29:
	s_and_saveexec_b32 s1, s0
	s_cbranch_execz .LBB439_27
; %bb.30:
	v_mul_lo_u32 v5, v2, s14
	v_mul_lo_u32 v6, v1, s15
	v_mad_u64_u32 v[3:4], null, v1, s14, 0
	v_mul_lo_u32 v13, v2, s24
	v_mul_lo_u32 v14, v1, s25
	v_mad_u64_u32 v[11:12], null, v1, s24, 0
	s_mul_i32 s0, s17, s8
	s_mul_hi_u32 s1, s16, s8
	v_add3_u32 v4, v4, v6, v5
	s_add_i32 s1, s1, s0
	s_mul_i32 s0, s16, s8
	v_add_co_u32 v5, s2, s6, v0
	v_add3_u32 v12, v12, v14, v13
	v_lshlrev_b64 v[3:4], 1, v[3:4]
	s_lshl_b64 s[0:1], s[0:1], 1
	v_add_co_ci_u32_e64 v6, null, s7, 0, s2
	v_lshlrev_b64 v[12:13], 1, v[11:12]
	s_add_u32 s0, s12, s0
	s_addc_u32 s1, s13, s1
	v_add_co_u32 v0, s0, s0, v3
	v_add_co_ci_u32_e64 v11, null, s1, v4, s0
	v_add_co_u32 v12, s0, s3, v12
	v_cmp_gt_i64_e32 vcc_lo, s[20:21], v[5:6]
	v_lshlrev_b64 v[3:4], 1, v[5:6]
	v_add_co_ci_u32_e64 v13, null, s5, v13, s0
	s_and_saveexec_b32 s1, vcc_lo
	s_cbranch_execz .LBB439_40
; %bb.31:
	v_add_co_u32 v14, s0, v0, v3
	v_add_co_ci_u32_e64 v15, null, v11, v4, s0
	global_load_ushort v14, v[14:15], off
	s_waitcnt vmcnt(0)
	v_lshlrev_b32_e32 v14, 16, v14
	v_mul_f32_e32 v14, s9, v14
	v_and_b32_e32 v15, 0x7f800000, v14
	v_cmp_ne_u32_e64 s0, 0x7f800000, v15
                                        ; implicit-def: $vgpr15
	s_and_saveexec_b32 s2, s0
	s_xor_b32 s0, exec_lo, s2
; %bb.32:
	v_bfe_u32 v15, v14, 16, 1
	v_add3_u32 v15, v14, v15, 0x7fff
                                        ; implicit-def: $vgpr14
; %bb.33:
	s_andn2_saveexec_b32 s2, s0
; %bb.34:
	v_mov_b32_e32 v15, 0
	v_or_b32_e32 v16, 0x10000, v14
	v_cmp_eq_u32_sdwa s0, v14, v15 src0_sel:WORD_0 src1_sel:DWORD
	v_cndmask_b32_e64 v15, v16, v14, s0
; %bb.35:
	s_or_b32 exec_lo, exec_lo, s2
	v_and_b32_e32 v14, 0xffff0000, v15
	v_fmac_f32_e32 v14, s4, v10
	v_and_b32_e32 v10, 0x7f800000, v14
	v_cmp_ne_u32_e64 s0, 0x7f800000, v10
                                        ; implicit-def: $vgpr10
	s_and_saveexec_b32 s2, s0
	s_xor_b32 s0, exec_lo, s2
; %bb.36:
	v_bfe_u32 v10, v14, 16, 1
	v_add3_u32 v10, v14, v10, 0x7fff
                                        ; implicit-def: $vgpr14
; %bb.37:
	s_andn2_saveexec_b32 s2, s0
; %bb.38:
	v_mov_b32_e32 v10, 0
	v_or_b32_e32 v15, 0x10000, v14
	v_cmp_eq_u32_sdwa s0, v14, v10 src0_sel:WORD_0 src1_sel:DWORD
	v_cndmask_b32_e64 v10, v15, v14, s0
; %bb.39:
	s_or_b32 exec_lo, exec_lo, s2
	v_add_co_u32 v14, s0, v12, v3
	v_add_co_ci_u32_e64 v15, null, v13, v4, s0
	global_store_short_d16_hi v[14:15], v10, off
.LBB439_40:
	s_or_b32 exec_lo, exec_lo, s1
	v_add_co_u32 v5, s0, v5, 16
	v_add_co_ci_u32_e64 v6, null, 0, v6, s0
	v_cmp_gt_i64_e64 s0, s[20:21], v[5:6]
	s_and_saveexec_b32 s2, s0
	s_cbranch_execz .LBB439_50
; %bb.41:
	v_add_co_u32 v5, s1, v0, v3
	v_add_co_ci_u32_e64 v6, null, v11, v4, s1
	global_load_ushort v5, v[5:6], off offset:32
	s_waitcnt vmcnt(0)
	v_lshlrev_b32_e32 v5, 16, v5
	v_mul_f32_e32 v5, s9, v5
	v_and_b32_e32 v6, 0x7f800000, v5
	v_cmp_ne_u32_e64 s1, 0x7f800000, v6
                                        ; implicit-def: $vgpr6
	s_and_saveexec_b32 s3, s1
	s_xor_b32 s1, exec_lo, s3
; %bb.42:
	v_bfe_u32 v6, v5, 16, 1
	v_add3_u32 v6, v5, v6, 0x7fff
                                        ; implicit-def: $vgpr5
; %bb.43:
	s_andn2_saveexec_b32 s3, s1
; %bb.44:
	v_mov_b32_e32 v6, 0
	v_or_b32_e32 v10, 0x10000, v5
	v_cmp_eq_u32_sdwa s1, v5, v6 src0_sel:WORD_0 src1_sel:DWORD
	v_cndmask_b32_e64 v6, v10, v5, s1
; %bb.45:
	s_or_b32 exec_lo, exec_lo, s3
	v_and_b32_e32 v5, 0xffff0000, v6
	v_fmac_f32_e32 v5, s4, v9
	v_and_b32_e32 v6, 0x7f800000, v5
	v_cmp_ne_u32_e64 s1, 0x7f800000, v6
                                        ; implicit-def: $vgpr6
	s_and_saveexec_b32 s3, s1
	s_xor_b32 s1, exec_lo, s3
; %bb.46:
	v_bfe_u32 v6, v5, 16, 1
	v_add3_u32 v6, v5, v6, 0x7fff
                                        ; implicit-def: $vgpr5
; %bb.47:
	s_andn2_saveexec_b32 s3, s1
; %bb.48:
	v_mov_b32_e32 v6, 0
	v_or_b32_e32 v9, 0x10000, v5
	v_cmp_eq_u32_sdwa s1, v5, v6 src0_sel:WORD_0 src1_sel:DWORD
	v_cndmask_b32_e64 v6, v9, v5, s1
; %bb.49:
	s_or_b32 exec_lo, exec_lo, s3
	v_add_co_u32 v9, s1, v12, v3
	v_add_co_ci_u32_e64 v10, null, v13, v4, s1
	global_store_short_d16_hi v[9:10], v6, off offset:32
.LBB439_50:
	s_or_b32 exec_lo, exec_lo, s2
	v_add_co_u32 v1, s1, v1, 16
	v_add_co_ci_u32_e64 v2, null, 0, v2, s1
	v_cmp_gt_i64_e64 s1, s[22:23], v[1:2]
	s_and_b32 exec_lo, exec_lo, s1
	s_cbranch_execz .LBB439_27
; %bb.51:
	s_lshl_b64 s[2:3], s[14:15], 5
	v_add_co_u32 v0, s1, v0, s2
	v_add_co_ci_u32_e64 v1, null, s3, v11, s1
	s_lshl_b64 s[2:3], s[24:25], 5
	v_add_co_u32 v2, s1, v12, s2
	v_add_co_ci_u32_e64 v9, null, s3, v13, s1
	v_add_co_u32 v5, s1, v0, v3
	v_add_co_ci_u32_e64 v6, null, v1, v4, s1
	;; [unrolled: 2-line block ×3, first 2 shown]
	s_and_saveexec_b32 s1, vcc_lo
	s_cbranch_execz .LBB439_61
; %bb.52:
	global_load_ushort v2, v[5:6], off
	s_waitcnt vmcnt(0)
	v_lshlrev_b32_e32 v2, 16, v2
	v_mul_f32_e32 v2, s9, v2
	v_and_b32_e32 v3, 0x7f800000, v2
	v_cmp_ne_u32_e32 vcc_lo, 0x7f800000, v3
                                        ; implicit-def: $vgpr3
	s_and_saveexec_b32 s2, vcc_lo
	s_xor_b32 s2, exec_lo, s2
; %bb.53:
	v_bfe_u32 v3, v2, 16, 1
	v_add3_u32 v3, v2, v3, 0x7fff
                                        ; implicit-def: $vgpr2
; %bb.54:
	s_andn2_saveexec_b32 s2, s2
; %bb.55:
	v_mov_b32_e32 v3, 0
	v_or_b32_e32 v4, 0x10000, v2
	v_cmp_eq_u32_sdwa vcc_lo, v2, v3 src0_sel:WORD_0 src1_sel:DWORD
	v_cndmask_b32_e32 v3, v4, v2, vcc_lo
; %bb.56:
	s_or_b32 exec_lo, exec_lo, s2
	v_and_b32_e32 v2, 0xffff0000, v3
	v_fmac_f32_e32 v2, s4, v8
	v_and_b32_e32 v3, 0x7f800000, v2
	v_cmp_ne_u32_e32 vcc_lo, 0x7f800000, v3
                                        ; implicit-def: $vgpr3
	s_and_saveexec_b32 s2, vcc_lo
	s_xor_b32 s2, exec_lo, s2
; %bb.57:
	v_bfe_u32 v3, v2, 16, 1
	v_add3_u32 v3, v2, v3, 0x7fff
                                        ; implicit-def: $vgpr2
; %bb.58:
	s_andn2_saveexec_b32 s2, s2
; %bb.59:
	v_mov_b32_e32 v3, 0
	v_or_b32_e32 v4, 0x10000, v2
	v_cmp_eq_u32_sdwa vcc_lo, v2, v3 src0_sel:WORD_0 src1_sel:DWORD
	v_cndmask_b32_e32 v3, v4, v2, vcc_lo
; %bb.60:
	s_or_b32 exec_lo, exec_lo, s2
	global_store_short_d16_hi v[0:1], v3, off
.LBB439_61:
	s_or_b32 exec_lo, exec_lo, s1
	s_and_b32 exec_lo, exec_lo, s0
	s_cbranch_execz .LBB439_27
; %bb.62:
	global_load_ushort v2, v[5:6], off offset:32
	s_waitcnt vmcnt(0)
	v_lshlrev_b32_e32 v2, 16, v2
	v_mul_f32_e32 v2, s9, v2
	v_and_b32_e32 v3, 0x7f800000, v2
	v_cmp_ne_u32_e32 vcc_lo, 0x7f800000, v3
                                        ; implicit-def: $vgpr3
	s_and_saveexec_b32 s0, vcc_lo
	s_xor_b32 s0, exec_lo, s0
; %bb.63:
	v_bfe_u32 v3, v2, 16, 1
	v_add3_u32 v3, v2, v3, 0x7fff
                                        ; implicit-def: $vgpr2
; %bb.64:
	s_andn2_saveexec_b32 s0, s0
; %bb.65:
	v_mov_b32_e32 v3, 0
	v_or_b32_e32 v4, 0x10000, v2
	v_cmp_eq_u32_sdwa vcc_lo, v2, v3 src0_sel:WORD_0 src1_sel:DWORD
	v_cndmask_b32_e32 v3, v4, v2, vcc_lo
; %bb.66:
	s_or_b32 exec_lo, exec_lo, s0
	v_and_b32_e32 v2, 0xffff0000, v3
	v_fmac_f32_e32 v2, s4, v7
	v_and_b32_e32 v3, 0x7f800000, v2
	v_cmp_ne_u32_e32 vcc_lo, 0x7f800000, v3
                                        ; implicit-def: $vgpr3
	s_and_saveexec_b32 s0, vcc_lo
	s_xor_b32 s0, exec_lo, s0
; %bb.67:
	v_bfe_u32 v3, v2, 16, 1
	v_add3_u32 v3, v2, v3, 0x7fff
                                        ; implicit-def: $vgpr2
; %bb.68:
	s_andn2_saveexec_b32 s0, s0
; %bb.69:
	v_mov_b32_e32 v3, 0
	v_or_b32_e32 v4, 0x10000, v2
	v_cmp_eq_u32_sdwa vcc_lo, v2, v3 src0_sel:WORD_0 src1_sel:DWORD
	v_cndmask_b32_e32 v3, v4, v2, vcc_lo
; %bb.70:
	s_or_b32 exec_lo, exec_lo, s0
	global_store_short_d16_hi v[0:1], v3, off offset:32
	s_endpgm
	.section	.rodata,"a",@progbits
	.p2align	6, 0x0
	.amdhsa_kernel _ZN12_GLOBAL__N_135rocblas_gemm_batched_general_kernelIfLi16ELi16ELi32ELi32ELi8ELi32ELi8ELi8ELi32ELc84ELc84EK16rocblas_bfloat16S2_S1_EEvlllT_PT11_llS5_llS3_PT12_llPT13_lli
		.amdhsa_group_segment_fixed_size 2048
		.amdhsa_private_segment_fixed_size 0
		.amdhsa_kernarg_size 140
		.amdhsa_user_sgpr_count 6
		.amdhsa_user_sgpr_private_segment_buffer 1
		.amdhsa_user_sgpr_dispatch_ptr 0
		.amdhsa_user_sgpr_queue_ptr 0
		.amdhsa_user_sgpr_kernarg_segment_ptr 1
		.amdhsa_user_sgpr_dispatch_id 0
		.amdhsa_user_sgpr_flat_scratch_init 0
		.amdhsa_user_sgpr_private_segment_size 0
		.amdhsa_wavefront_size32 1
		.amdhsa_uses_dynamic_stack 0
		.amdhsa_system_sgpr_private_segment_wavefront_offset 0
		.amdhsa_system_sgpr_workgroup_id_x 1
		.amdhsa_system_sgpr_workgroup_id_y 1
		.amdhsa_system_sgpr_workgroup_id_z 1
		.amdhsa_system_sgpr_workgroup_info 0
		.amdhsa_system_vgpr_workitem_id 1
		.amdhsa_next_free_vgpr 44
		.amdhsa_next_free_sgpr 30
		.amdhsa_reserve_vcc 1
		.amdhsa_reserve_flat_scratch 0
		.amdhsa_float_round_mode_32 0
		.amdhsa_float_round_mode_16_64 0
		.amdhsa_float_denorm_mode_32 3
		.amdhsa_float_denorm_mode_16_64 3
		.amdhsa_dx10_clamp 1
		.amdhsa_ieee_mode 1
		.amdhsa_fp16_overflow 0
		.amdhsa_workgroup_processor_mode 1
		.amdhsa_memory_ordered 1
		.amdhsa_forward_progress 1
		.amdhsa_shared_vgpr_count 0
		.amdhsa_exception_fp_ieee_invalid_op 0
		.amdhsa_exception_fp_denorm_src 0
		.amdhsa_exception_fp_ieee_div_zero 0
		.amdhsa_exception_fp_ieee_overflow 0
		.amdhsa_exception_fp_ieee_underflow 0
		.amdhsa_exception_fp_ieee_inexact 0
		.amdhsa_exception_int_div_zero 0
	.end_amdhsa_kernel
	.section	.text._ZN12_GLOBAL__N_135rocblas_gemm_batched_general_kernelIfLi16ELi16ELi32ELi32ELi8ELi32ELi8ELi8ELi32ELc84ELc84EK16rocblas_bfloat16S2_S1_EEvlllT_PT11_llS5_llS3_PT12_llPT13_lli,"axG",@progbits,_ZN12_GLOBAL__N_135rocblas_gemm_batched_general_kernelIfLi16ELi16ELi32ELi32ELi8ELi32ELi8ELi8ELi32ELc84ELc84EK16rocblas_bfloat16S2_S1_EEvlllT_PT11_llS5_llS3_PT12_llPT13_lli,comdat
.Lfunc_end439:
	.size	_ZN12_GLOBAL__N_135rocblas_gemm_batched_general_kernelIfLi16ELi16ELi32ELi32ELi8ELi32ELi8ELi8ELi32ELc84ELc84EK16rocblas_bfloat16S2_S1_EEvlllT_PT11_llS5_llS3_PT12_llPT13_lli, .Lfunc_end439-_ZN12_GLOBAL__N_135rocblas_gemm_batched_general_kernelIfLi16ELi16ELi32ELi32ELi8ELi32ELi8ELi8ELi32ELc84ELc84EK16rocblas_bfloat16S2_S1_EEvlllT_PT11_llS5_llS3_PT12_llPT13_lli
                                        ; -- End function
	.set _ZN12_GLOBAL__N_135rocblas_gemm_batched_general_kernelIfLi16ELi16ELi32ELi32ELi8ELi32ELi8ELi8ELi32ELc84ELc84EK16rocblas_bfloat16S2_S1_EEvlllT_PT11_llS5_llS3_PT12_llPT13_lli.num_vgpr, 44
	.set _ZN12_GLOBAL__N_135rocblas_gemm_batched_general_kernelIfLi16ELi16ELi32ELi32ELi8ELi32ELi8ELi8ELi32ELc84ELc84EK16rocblas_bfloat16S2_S1_EEvlllT_PT11_llS5_llS3_PT12_llPT13_lli.num_agpr, 0
	.set _ZN12_GLOBAL__N_135rocblas_gemm_batched_general_kernelIfLi16ELi16ELi32ELi32ELi8ELi32ELi8ELi8ELi32ELc84ELc84EK16rocblas_bfloat16S2_S1_EEvlllT_PT11_llS5_llS3_PT12_llPT13_lli.numbered_sgpr, 30
	.set _ZN12_GLOBAL__N_135rocblas_gemm_batched_general_kernelIfLi16ELi16ELi32ELi32ELi8ELi32ELi8ELi8ELi32ELc84ELc84EK16rocblas_bfloat16S2_S1_EEvlllT_PT11_llS5_llS3_PT12_llPT13_lli.num_named_barrier, 0
	.set _ZN12_GLOBAL__N_135rocblas_gemm_batched_general_kernelIfLi16ELi16ELi32ELi32ELi8ELi32ELi8ELi8ELi32ELc84ELc84EK16rocblas_bfloat16S2_S1_EEvlllT_PT11_llS5_llS3_PT12_llPT13_lli.private_seg_size, 0
	.set _ZN12_GLOBAL__N_135rocblas_gemm_batched_general_kernelIfLi16ELi16ELi32ELi32ELi8ELi32ELi8ELi8ELi32ELc84ELc84EK16rocblas_bfloat16S2_S1_EEvlllT_PT11_llS5_llS3_PT12_llPT13_lli.uses_vcc, 1
	.set _ZN12_GLOBAL__N_135rocblas_gemm_batched_general_kernelIfLi16ELi16ELi32ELi32ELi8ELi32ELi8ELi8ELi32ELc84ELc84EK16rocblas_bfloat16S2_S1_EEvlllT_PT11_llS5_llS3_PT12_llPT13_lli.uses_flat_scratch, 0
	.set _ZN12_GLOBAL__N_135rocblas_gemm_batched_general_kernelIfLi16ELi16ELi32ELi32ELi8ELi32ELi8ELi8ELi32ELc84ELc84EK16rocblas_bfloat16S2_S1_EEvlllT_PT11_llS5_llS3_PT12_llPT13_lli.has_dyn_sized_stack, 0
	.set _ZN12_GLOBAL__N_135rocblas_gemm_batched_general_kernelIfLi16ELi16ELi32ELi32ELi8ELi32ELi8ELi8ELi32ELc84ELc84EK16rocblas_bfloat16S2_S1_EEvlllT_PT11_llS5_llS3_PT12_llPT13_lli.has_recursion, 0
	.set _ZN12_GLOBAL__N_135rocblas_gemm_batched_general_kernelIfLi16ELi16ELi32ELi32ELi8ELi32ELi8ELi8ELi32ELc84ELc84EK16rocblas_bfloat16S2_S1_EEvlllT_PT11_llS5_llS3_PT12_llPT13_lli.has_indirect_call, 0
	.section	.AMDGPU.csdata,"",@progbits
; Kernel info:
; codeLenInByte = 2900
; TotalNumSgprs: 32
; NumVgprs: 44
; ScratchSize: 0
; MemoryBound: 0
; FloatMode: 240
; IeeeMode: 1
; LDSByteSize: 2048 bytes/workgroup (compile time only)
; SGPRBlocks: 0
; VGPRBlocks: 5
; NumSGPRsForWavesPerEU: 32
; NumVGPRsForWavesPerEU: 44
; Occupancy: 16
; WaveLimiterHint : 0
; COMPUTE_PGM_RSRC2:SCRATCH_EN: 0
; COMPUTE_PGM_RSRC2:USER_SGPR: 6
; COMPUTE_PGM_RSRC2:TRAP_HANDLER: 0
; COMPUTE_PGM_RSRC2:TGID_X_EN: 1
; COMPUTE_PGM_RSRC2:TGID_Y_EN: 1
; COMPUTE_PGM_RSRC2:TGID_Z_EN: 1
; COMPUTE_PGM_RSRC2:TIDIG_COMP_CNT: 1
	.section	.text._ZN12_GLOBAL__N_135rocblas_gemm_batched_general_kernelIfLi16ELi16ELi32ELi32ELi8ELi32ELi8ELi8ELi32ELc67ELc67EK16rocblas_bfloat16S2_S1_EEvlllT_PT11_llS5_llS3_PT12_llPT13_lli,"axG",@progbits,_ZN12_GLOBAL__N_135rocblas_gemm_batched_general_kernelIfLi16ELi16ELi32ELi32ELi8ELi32ELi8ELi8ELi32ELc67ELc67EK16rocblas_bfloat16S2_S1_EEvlllT_PT11_llS5_llS3_PT12_llPT13_lli,comdat
	.globl	_ZN12_GLOBAL__N_135rocblas_gemm_batched_general_kernelIfLi16ELi16ELi32ELi32ELi8ELi32ELi8ELi8ELi32ELc67ELc67EK16rocblas_bfloat16S2_S1_EEvlllT_PT11_llS5_llS3_PT12_llPT13_lli ; -- Begin function _ZN12_GLOBAL__N_135rocblas_gemm_batched_general_kernelIfLi16ELi16ELi32ELi32ELi8ELi32ELi8ELi8ELi32ELc67ELc67EK16rocblas_bfloat16S2_S1_EEvlllT_PT11_llS5_llS3_PT12_llPT13_lli
	.p2align	8
	.type	_ZN12_GLOBAL__N_135rocblas_gemm_batched_general_kernelIfLi16ELi16ELi32ELi32ELi8ELi32ELi8ELi8ELi32ELc67ELc67EK16rocblas_bfloat16S2_S1_EEvlllT_PT11_llS5_llS3_PT12_llPT13_lli,@function
_ZN12_GLOBAL__N_135rocblas_gemm_batched_general_kernelIfLi16ELi16ELi32ELi32ELi8ELi32ELi8ELi8ELi32ELc67ELc67EK16rocblas_bfloat16S2_S1_EEvlllT_PT11_llS5_llS3_PT12_llPT13_lli: ; @_ZN12_GLOBAL__N_135rocblas_gemm_batched_general_kernelIfLi16ELi16ELi32ELi32ELi8ELi32ELi8ELi8ELi32ELc67ELc67EK16rocblas_bfloat16S2_S1_EEvlllT_PT11_llS5_llS3_PT12_llPT13_lli
; %bb.0:
	s_clause 0x1
	s_load_dwordx2 s[10:11], s[4:5], 0x10
	s_load_dwordx4 s[20:23], s[4:5], 0x0
	s_mov_b32 s0, s7
	v_mov_b32_e32 v10, 0
	v_mov_b32_e32 v9, 0
	;; [unrolled: 1-line block ×4, first 2 shown]
	s_ashr_i32 s7, s6, 31
	s_ashr_i32 s1, s0, 31
	s_lshl_b64 s[6:7], s[6:7], 5
	s_waitcnt lgkmcnt(0)
	v_cmp_lt_i64_e64 s2, s[10:11], 1
	s_and_b32 vcc_lo, exec_lo, s2
	s_lshl_b64 s[2:3], s[0:1], 5
	s_cbranch_vccnz .LBB440_7
; %bb.1:
	s_clause 0x1
	s_load_dwordx4 s[24:27], s[4:5], 0x40
	s_load_dwordx8 s[12:19], s[4:5], 0x20
	v_lshl_add_u32 v2, v1, 4, v0
	v_and_b32_e32 v6, 7, v0
	v_mov_b32_e32 v3, s7
	s_lshl_b64 s[28:29], s[0:1], 6
	v_mov_b32_e32 v7, 0
	v_and_b32_e32 v14, 31, v2
	v_lshrrev_b32_e32 v10, 3, v2
	v_lshrrev_b32_e32 v13, 5, v2
	v_lshlrev_b32_e32 v15, 2, v6
	v_lshlrev_b32_e32 v11, 2, v0
	v_or_b32_e32 v2, s6, v14
	v_add_co_u32 v8, s0, v10, s2
	v_add_co_ci_u32_e64 v9, null, 0, s3, s0
	v_add_co_u32 v17, s0, s6, v14
	v_add_co_ci_u32_e64 v18, null, s7, 0, s0
	s_waitcnt lgkmcnt(0)
	v_mad_u64_u32 v[4:5], null, s24, v6, 0
	v_cmp_gt_i64_e64 s0, s[20:21], v[2:3]
	v_cmp_gt_i64_e64 s1, s[22:23], v[8:9]
	v_mul_lo_u32 v8, s15, v17
	v_mul_lo_u32 v9, s14, v18
	s_mul_i32 s9, s27, s8
	s_mul_hi_u32 s27, s26, s8
	v_mad_u64_u32 v[2:3], null, s25, v6, v[5:6]
	s_mul_i32 s26, s26, s8
	s_add_i32 s27, s27, s9
	s_mul_i32 s9, s17, s8
	s_mul_hi_u32 s17, s16, s8
	v_lshlrev_b32_e32 v16, 2, v14
	v_lshl_or_b32 v15, v10, 5, v15
	v_mov_b32_e32 v5, v2
	v_mad_u64_u32 v[2:3], null, s14, v17, 0
	s_lshl_b64 s[14:15], s[26:27], 1
	v_lshl_add_u32 v12, v1, 5, 0x400
	v_lshlrev_b64 v[4:5], 1, v[4:5]
	s_add_u32 s14, s28, s14
	s_addc_u32 s15, s29, s15
	v_lshl_or_b32 v14, v13, 7, v16
	v_add3_u32 v3, v3, v9, v8
	v_lshlrev_b32_e32 v8, 1, v10
	v_add_co_u32 v4, vcc_lo, s14, v4
	v_add_co_ci_u32_e64 v5, null, s15, v5, vcc_lo
	v_lshlrev_b64 v[2:3], 1, v[2:3]
	s_add_i32 s15, s17, s9
	s_mul_i32 s14, s16, s8
	v_lshlrev_b32_e32 v9, 1, v13
	s_lshl_b64 s[14:15], s[14:15], 1
	v_add_nc_u32_e32 v15, 0x400, v15
	v_add_co_u32 v2, vcc_lo, v2, s14
	v_add_co_ci_u32_e64 v3, null, s15, v3, vcc_lo
	v_add_co_u32 v4, vcc_lo, v4, v8
	v_add_co_ci_u32_e64 v5, null, 0, v5, vcc_lo
	v_add_co_u32 v8, vcc_lo, v2, v9
	v_add_co_ci_u32_e64 v9, null, 0, v3, vcc_lo
	v_add_co_u32 v2, vcc_lo, s18, v4
	v_add_co_ci_u32_e64 v3, null, s19, v5, vcc_lo
	v_add_co_u32 v4, vcc_lo, s12, v8
	v_add_co_ci_u32_e64 v5, null, s13, v9, vcc_lo
	v_mov_b32_e32 v8, 0
	v_mov_b32_e32 v9, 0
	;; [unrolled: 1-line block ×3, first 2 shown]
	s_lshl_b64 s[12:13], s[24:25], 4
	s_mov_b64 s[14:15], 0
	s_branch .LBB440_3
.LBB440_2:                              ;   in Loop: Header=BB440_3 Depth=1
	s_or_b32 exec_lo, exec_lo, s9
	ds_write_b32 v15, v17
	s_waitcnt lgkmcnt(0)
	s_barrier
	buffer_gl0_inv
	ds_read_b128 v[16:19], v12
	ds_read2_b32 v[32:33], v11 offset1:16
	ds_read_b128 v[20:23], v12 offset:512
	ds_read2_b32 v[34:35], v11 offset0:32 offset1:48
	ds_read2_b32 v[36:37], v11 offset0:64 offset1:80
	;; [unrolled: 1-line block ×3, first 2 shown]
	ds_read_b128 v[24:27], v12 offset:16
	ds_read2_b32 v[40:41], v11 offset0:128 offset1:144
	ds_read_b128 v[28:31], v12 offset:528
	ds_read2_b32 v[42:43], v11 offset0:160 offset1:176
	s_add_u32 s14, s14, 8
	s_addc_u32 s15, s15, 0
	v_add_co_u32 v2, vcc_lo, v2, s12
	v_cmp_lt_i64_e64 s9, s[14:15], s[10:11]
	v_add_co_ci_u32_e64 v3, null, s13, v3, vcc_lo
	v_add_co_u32 v4, vcc_lo, v4, 16
	v_add_co_ci_u32_e64 v5, null, 0, v5, vcc_lo
	s_waitcnt lgkmcnt(8)
	v_fmac_f32_e32 v10, v32, v16
	v_fmac_f32_e32 v9, v33, v16
	s_waitcnt lgkmcnt(7)
	v_fmac_f32_e32 v8, v32, v20
	v_fmac_f32_e32 v7, v33, v20
	ds_read2_b32 v[32:33], v11 offset0:192 offset1:208
	s_waitcnt lgkmcnt(7)
	v_fmac_f32_e32 v10, v34, v17
	v_fmac_f32_e32 v9, v35, v17
	;; [unrolled: 1-line block ×4, first 2 shown]
	ds_read2_b32 v[16:17], v11 offset0:224 offset1:240
	s_waitcnt lgkmcnt(7)
	v_fmac_f32_e32 v10, v36, v18
	v_fmac_f32_e32 v9, v37, v18
	;; [unrolled: 1-line block ×4, first 2 shown]
	s_and_b32 vcc_lo, exec_lo, s9
	s_waitcnt lgkmcnt(6)
	v_fmac_f32_e32 v10, v38, v19
	v_fmac_f32_e32 v9, v39, v19
	;; [unrolled: 1-line block ×4, first 2 shown]
	s_waitcnt lgkmcnt(0)
	v_fmac_f32_e32 v10, v40, v24
	v_fmac_f32_e32 v9, v41, v24
	;; [unrolled: 1-line block ×4, first 2 shown]
	s_barrier
	v_fmac_f32_e32 v10, v42, v25
	v_fmac_f32_e32 v9, v43, v25
	;; [unrolled: 1-line block ×4, first 2 shown]
	buffer_gl0_inv
	v_fmac_f32_e32 v10, v32, v26
	v_fmac_f32_e32 v9, v33, v26
	;; [unrolled: 1-line block ×8, first 2 shown]
	s_cbranch_vccz .LBB440_7
.LBB440_3:                              ; =>This Inner Loop Header: Depth=1
	v_add_co_u32 v16, s9, v13, s14
	v_add_co_ci_u32_e64 v17, null, 0, s15, s9
	v_cmp_gt_i64_e32 vcc_lo, s[10:11], v[16:17]
	v_mov_b32_e32 v16, 0
	s_and_b32 s16, s0, vcc_lo
	s_and_saveexec_b32 s9, s16
	s_cbranch_execz .LBB440_5
; %bb.4:                                ;   in Loop: Header=BB440_3 Depth=1
	global_load_ushort v16, v[4:5], off
	s_waitcnt vmcnt(0)
	v_lshlrev_b32_e32 v16, 16, v16
.LBB440_5:                              ;   in Loop: Header=BB440_3 Depth=1
	s_or_b32 exec_lo, exec_lo, s9
	v_add_co_u32 v17, s9, v6, s14
	v_add_co_ci_u32_e64 v18, null, 0, s15, s9
	ds_write_b32 v14, v16
	v_cmp_gt_i64_e32 vcc_lo, s[10:11], v[17:18]
	v_mov_b32_e32 v17, 0
	s_and_b32 s16, vcc_lo, s1
	s_and_saveexec_b32 s9, s16
	s_cbranch_execz .LBB440_2
; %bb.6:                                ;   in Loop: Header=BB440_3 Depth=1
	global_load_ushort v16, v[2:3], off
	s_waitcnt vmcnt(0)
	v_lshlrev_b32_e32 v17, 16, v16
	s_branch .LBB440_2
.LBB440_7:
	s_clause 0x3
	s_load_dwordx4 s[24:27], s[4:5], 0x78
	s_load_dword s9, s[4:5], 0x50
	s_load_dwordx8 s[12:19], s[4:5], 0x58
	s_load_dword s4, s[4:5], 0x18
	v_add_co_u32 v1, s0, s2, v1
	v_add_co_ci_u32_e64 v2, null, s3, 0, s0
	s_waitcnt lgkmcnt(0)
	s_mul_i32 s1, s27, s8
	s_mul_hi_u32 s2, s26, s8
	s_mul_i32 s0, s26, s8
	s_add_i32 s1, s2, s1
	v_cmp_neq_f32_e64 s2, s9, 0
	s_lshl_b64 s[10:11], s[0:1], 1
	v_cmp_gt_i64_e64 s0, s[22:23], v[1:2]
	s_add_u32 s3, s18, s10
	s_addc_u32 s5, s19, s11
	s_and_b32 vcc_lo, exec_lo, s2
	s_cbranch_vccnz .LBB440_28
; %bb.8:
	s_and_saveexec_b32 s10, s0
	s_cbranch_execz .LBB440_26
; %bb.9:
	v_mul_lo_u32 v3, v2, s24
	v_mul_lo_u32 v4, v1, s25
	v_mad_u64_u32 v[5:6], null, v1, s24, 0
	v_add3_u32 v6, v6, v4, v3
	v_add_co_u32 v3, s1, s6, v0
	v_add_co_ci_u32_e64 v4, null, s7, 0, s1
	v_lshlrev_b64 v[5:6], 1, v[5:6]
	v_cmp_gt_i64_e32 vcc_lo, s[20:21], v[3:4]
	v_add_co_u32 v5, s1, s3, v5
	v_add_co_ci_u32_e64 v6, null, s5, v6, s1
	s_and_saveexec_b32 s2, vcc_lo
	s_cbranch_execz .LBB440_15
; %bb.10:
	v_mul_f32_e32 v12, s4, v10
	v_and_b32_e32 v11, 0x7f800000, v12
	v_cmp_ne_u32_e64 s1, 0x7f800000, v11
                                        ; implicit-def: $vgpr11
	s_and_saveexec_b32 s11, s1
	s_xor_b32 s1, exec_lo, s11
; %bb.11:
	v_bfe_u32 v11, v12, 16, 1
	v_add3_u32 v11, v12, v11, 0x7fff
                                        ; implicit-def: $vgpr12
; %bb.12:
	s_andn2_saveexec_b32 s11, s1
; %bb.13:
	v_mov_b32_e32 v11, 0
	v_or_b32_e32 v13, 0x10000, v12
	v_cmp_eq_u32_sdwa s1, v12, v11 src0_sel:WORD_0 src1_sel:DWORD
	v_cndmask_b32_e64 v11, v13, v12, s1
; %bb.14:
	s_or_b32 exec_lo, exec_lo, s11
	v_lshlrev_b64 v[12:13], 1, v[3:4]
	v_add_co_u32 v12, s1, v5, v12
	v_add_co_ci_u32_e64 v13, null, v6, v13, s1
	global_store_short_d16_hi v[12:13], v11, off
.LBB440_15:
	s_or_b32 exec_lo, exec_lo, s2
	v_add_co_u32 v11, s1, v3, 16
	v_add_co_ci_u32_e64 v12, null, 0, v4, s1
	v_cmp_gt_i64_e64 s1, s[20:21], v[11:12]
	s_and_saveexec_b32 s11, s1
	s_cbranch_execz .LBB440_21
; %bb.16:
	v_mul_f32_e32 v12, s4, v9
	v_and_b32_e32 v11, 0x7f800000, v12
	v_cmp_ne_u32_e64 s2, 0x7f800000, v11
                                        ; implicit-def: $vgpr11
	s_and_saveexec_b32 s18, s2
	s_xor_b32 s2, exec_lo, s18
; %bb.17:
	v_bfe_u32 v11, v12, 16, 1
	v_add3_u32 v11, v12, v11, 0x7fff
                                        ; implicit-def: $vgpr12
; %bb.18:
	s_andn2_saveexec_b32 s18, s2
; %bb.19:
	v_mov_b32_e32 v11, 0
	v_or_b32_e32 v13, 0x10000, v12
	v_cmp_eq_u32_sdwa s2, v12, v11 src0_sel:WORD_0 src1_sel:DWORD
	v_cndmask_b32_e64 v11, v13, v12, s2
; %bb.20:
	s_or_b32 exec_lo, exec_lo, s18
	v_lshlrev_b64 v[12:13], 1, v[3:4]
	v_add_co_u32 v12, s2, v5, v12
	v_add_co_ci_u32_e64 v13, null, v6, v13, s2
	global_store_short_d16_hi v[12:13], v11, off offset:32
.LBB440_21:
	s_or_b32 exec_lo, exec_lo, s11
	v_add_co_u32 v11, s2, v1, 16
	v_add_co_ci_u32_e64 v12, null, 0, v2, s2
	v_cmp_gt_i64_e64 s2, s[22:23], v[11:12]
	s_and_b32 exec_lo, exec_lo, s2
	s_cbranch_execz .LBB440_26
; %bb.22:
	s_lshl_b64 s[18:19], s[24:25], 5
	v_lshlrev_b64 v[3:4], 1, v[3:4]
	v_add_co_u32 v5, s2, v5, s18
	v_add_co_ci_u32_e64 v6, null, s19, v6, s2
	v_add_co_u32 v3, s2, v5, v3
	v_add_co_ci_u32_e64 v4, null, v6, v4, s2
	s_and_saveexec_b32 s2, vcc_lo
	s_cbranch_execz .LBB440_24
; %bb.23:
	v_mul_f32_e32 v5, s4, v8
	v_mov_b32_e32 v11, 0
	v_bfe_u32 v6, v5, 16, 1
	v_or_b32_e32 v12, 0x10000, v5
	v_and_b32_e32 v13, 0x7f800000, v5
	v_cmp_eq_u32_sdwa vcc_lo, v5, v11 src0_sel:WORD_0 src1_sel:DWORD
	v_add3_u32 v6, v5, v6, 0x7fff
	v_cndmask_b32_e32 v5, v12, v5, vcc_lo
	v_cmp_eq_u32_e32 vcc_lo, 0x7f800000, v13
	v_cndmask_b32_e32 v5, v6, v5, vcc_lo
	global_store_short_d16_hi v[3:4], v5, off
.LBB440_24:
	s_or_b32 exec_lo, exec_lo, s2
	s_and_b32 exec_lo, exec_lo, s1
	s_cbranch_execz .LBB440_26
; %bb.25:
	v_mul_f32_e32 v5, s4, v7
	v_mov_b32_e32 v11, 0
	v_bfe_u32 v6, v5, 16, 1
	v_or_b32_e32 v12, 0x10000, v5
	v_and_b32_e32 v13, 0x7f800000, v5
	v_cmp_eq_u32_sdwa vcc_lo, v5, v11 src0_sel:WORD_0 src1_sel:DWORD
	v_add3_u32 v6, v5, v6, 0x7fff
	v_cndmask_b32_e32 v5, v12, v5, vcc_lo
	v_cmp_eq_u32_e32 vcc_lo, 0x7f800000, v13
	v_cndmask_b32_e32 v5, v6, v5, vcc_lo
	global_store_short_d16_hi v[3:4], v5, off offset:32
.LBB440_26:
	s_or_b32 exec_lo, exec_lo, s10
	s_cbranch_execz .LBB440_29
.LBB440_27:
	s_endpgm
.LBB440_28:
.LBB440_29:
	s_and_saveexec_b32 s1, s0
	s_cbranch_execz .LBB440_27
; %bb.30:
	v_mul_lo_u32 v5, v2, s14
	v_mul_lo_u32 v6, v1, s15
	v_mad_u64_u32 v[3:4], null, v1, s14, 0
	v_mul_lo_u32 v13, v2, s24
	v_mul_lo_u32 v14, v1, s25
	v_mad_u64_u32 v[11:12], null, v1, s24, 0
	s_mul_i32 s0, s17, s8
	s_mul_hi_u32 s1, s16, s8
	v_add3_u32 v4, v4, v6, v5
	s_add_i32 s1, s1, s0
	s_mul_i32 s0, s16, s8
	v_add_co_u32 v5, s2, s6, v0
	v_add3_u32 v12, v12, v14, v13
	v_lshlrev_b64 v[3:4], 1, v[3:4]
	s_lshl_b64 s[0:1], s[0:1], 1
	v_add_co_ci_u32_e64 v6, null, s7, 0, s2
	v_lshlrev_b64 v[12:13], 1, v[11:12]
	s_add_u32 s0, s12, s0
	s_addc_u32 s1, s13, s1
	v_add_co_u32 v0, s0, s0, v3
	v_add_co_ci_u32_e64 v11, null, s1, v4, s0
	v_add_co_u32 v12, s0, s3, v12
	v_cmp_gt_i64_e32 vcc_lo, s[20:21], v[5:6]
	v_lshlrev_b64 v[3:4], 1, v[5:6]
	v_add_co_ci_u32_e64 v13, null, s5, v13, s0
	s_and_saveexec_b32 s1, vcc_lo
	s_cbranch_execz .LBB440_40
; %bb.31:
	v_add_co_u32 v14, s0, v0, v3
	v_add_co_ci_u32_e64 v15, null, v11, v4, s0
	global_load_ushort v14, v[14:15], off
	s_waitcnt vmcnt(0)
	v_lshlrev_b32_e32 v14, 16, v14
	v_mul_f32_e32 v14, s9, v14
	v_and_b32_e32 v15, 0x7f800000, v14
	v_cmp_ne_u32_e64 s0, 0x7f800000, v15
                                        ; implicit-def: $vgpr15
	s_and_saveexec_b32 s2, s0
	s_xor_b32 s0, exec_lo, s2
; %bb.32:
	v_bfe_u32 v15, v14, 16, 1
	v_add3_u32 v15, v14, v15, 0x7fff
                                        ; implicit-def: $vgpr14
; %bb.33:
	s_andn2_saveexec_b32 s2, s0
; %bb.34:
	v_mov_b32_e32 v15, 0
	v_or_b32_e32 v16, 0x10000, v14
	v_cmp_eq_u32_sdwa s0, v14, v15 src0_sel:WORD_0 src1_sel:DWORD
	v_cndmask_b32_e64 v15, v16, v14, s0
; %bb.35:
	s_or_b32 exec_lo, exec_lo, s2
	v_and_b32_e32 v14, 0xffff0000, v15
	v_fmac_f32_e32 v14, s4, v10
	v_and_b32_e32 v10, 0x7f800000, v14
	v_cmp_ne_u32_e64 s0, 0x7f800000, v10
                                        ; implicit-def: $vgpr10
	s_and_saveexec_b32 s2, s0
	s_xor_b32 s0, exec_lo, s2
; %bb.36:
	v_bfe_u32 v10, v14, 16, 1
	v_add3_u32 v10, v14, v10, 0x7fff
                                        ; implicit-def: $vgpr14
; %bb.37:
	s_andn2_saveexec_b32 s2, s0
; %bb.38:
	v_mov_b32_e32 v10, 0
	v_or_b32_e32 v15, 0x10000, v14
	v_cmp_eq_u32_sdwa s0, v14, v10 src0_sel:WORD_0 src1_sel:DWORD
	v_cndmask_b32_e64 v10, v15, v14, s0
; %bb.39:
	s_or_b32 exec_lo, exec_lo, s2
	v_add_co_u32 v14, s0, v12, v3
	v_add_co_ci_u32_e64 v15, null, v13, v4, s0
	global_store_short_d16_hi v[14:15], v10, off
.LBB440_40:
	s_or_b32 exec_lo, exec_lo, s1
	v_add_co_u32 v5, s0, v5, 16
	v_add_co_ci_u32_e64 v6, null, 0, v6, s0
	v_cmp_gt_i64_e64 s0, s[20:21], v[5:6]
	s_and_saveexec_b32 s2, s0
	s_cbranch_execz .LBB440_50
; %bb.41:
	v_add_co_u32 v5, s1, v0, v3
	v_add_co_ci_u32_e64 v6, null, v11, v4, s1
	global_load_ushort v5, v[5:6], off offset:32
	s_waitcnt vmcnt(0)
	v_lshlrev_b32_e32 v5, 16, v5
	v_mul_f32_e32 v5, s9, v5
	v_and_b32_e32 v6, 0x7f800000, v5
	v_cmp_ne_u32_e64 s1, 0x7f800000, v6
                                        ; implicit-def: $vgpr6
	s_and_saveexec_b32 s3, s1
	s_xor_b32 s1, exec_lo, s3
; %bb.42:
	v_bfe_u32 v6, v5, 16, 1
	v_add3_u32 v6, v5, v6, 0x7fff
                                        ; implicit-def: $vgpr5
; %bb.43:
	s_andn2_saveexec_b32 s3, s1
; %bb.44:
	v_mov_b32_e32 v6, 0
	v_or_b32_e32 v10, 0x10000, v5
	v_cmp_eq_u32_sdwa s1, v5, v6 src0_sel:WORD_0 src1_sel:DWORD
	v_cndmask_b32_e64 v6, v10, v5, s1
; %bb.45:
	s_or_b32 exec_lo, exec_lo, s3
	v_and_b32_e32 v5, 0xffff0000, v6
	v_fmac_f32_e32 v5, s4, v9
	v_and_b32_e32 v6, 0x7f800000, v5
	v_cmp_ne_u32_e64 s1, 0x7f800000, v6
                                        ; implicit-def: $vgpr6
	s_and_saveexec_b32 s3, s1
	s_xor_b32 s1, exec_lo, s3
; %bb.46:
	v_bfe_u32 v6, v5, 16, 1
	v_add3_u32 v6, v5, v6, 0x7fff
                                        ; implicit-def: $vgpr5
; %bb.47:
	s_andn2_saveexec_b32 s3, s1
; %bb.48:
	v_mov_b32_e32 v6, 0
	v_or_b32_e32 v9, 0x10000, v5
	v_cmp_eq_u32_sdwa s1, v5, v6 src0_sel:WORD_0 src1_sel:DWORD
	v_cndmask_b32_e64 v6, v9, v5, s1
; %bb.49:
	s_or_b32 exec_lo, exec_lo, s3
	v_add_co_u32 v9, s1, v12, v3
	v_add_co_ci_u32_e64 v10, null, v13, v4, s1
	global_store_short_d16_hi v[9:10], v6, off offset:32
.LBB440_50:
	s_or_b32 exec_lo, exec_lo, s2
	v_add_co_u32 v1, s1, v1, 16
	v_add_co_ci_u32_e64 v2, null, 0, v2, s1
	v_cmp_gt_i64_e64 s1, s[22:23], v[1:2]
	s_and_b32 exec_lo, exec_lo, s1
	s_cbranch_execz .LBB440_27
; %bb.51:
	s_lshl_b64 s[2:3], s[14:15], 5
	v_add_co_u32 v0, s1, v0, s2
	v_add_co_ci_u32_e64 v1, null, s3, v11, s1
	s_lshl_b64 s[2:3], s[24:25], 5
	v_add_co_u32 v2, s1, v12, s2
	v_add_co_ci_u32_e64 v9, null, s3, v13, s1
	v_add_co_u32 v5, s1, v0, v3
	v_add_co_ci_u32_e64 v6, null, v1, v4, s1
	;; [unrolled: 2-line block ×3, first 2 shown]
	s_and_saveexec_b32 s1, vcc_lo
	s_cbranch_execz .LBB440_61
; %bb.52:
	global_load_ushort v2, v[5:6], off
	s_waitcnt vmcnt(0)
	v_lshlrev_b32_e32 v2, 16, v2
	v_mul_f32_e32 v2, s9, v2
	v_and_b32_e32 v3, 0x7f800000, v2
	v_cmp_ne_u32_e32 vcc_lo, 0x7f800000, v3
                                        ; implicit-def: $vgpr3
	s_and_saveexec_b32 s2, vcc_lo
	s_xor_b32 s2, exec_lo, s2
; %bb.53:
	v_bfe_u32 v3, v2, 16, 1
	v_add3_u32 v3, v2, v3, 0x7fff
                                        ; implicit-def: $vgpr2
; %bb.54:
	s_andn2_saveexec_b32 s2, s2
; %bb.55:
	v_mov_b32_e32 v3, 0
	v_or_b32_e32 v4, 0x10000, v2
	v_cmp_eq_u32_sdwa vcc_lo, v2, v3 src0_sel:WORD_0 src1_sel:DWORD
	v_cndmask_b32_e32 v3, v4, v2, vcc_lo
; %bb.56:
	s_or_b32 exec_lo, exec_lo, s2
	v_and_b32_e32 v2, 0xffff0000, v3
	v_fmac_f32_e32 v2, s4, v8
	v_and_b32_e32 v3, 0x7f800000, v2
	v_cmp_ne_u32_e32 vcc_lo, 0x7f800000, v3
                                        ; implicit-def: $vgpr3
	s_and_saveexec_b32 s2, vcc_lo
	s_xor_b32 s2, exec_lo, s2
; %bb.57:
	v_bfe_u32 v3, v2, 16, 1
	v_add3_u32 v3, v2, v3, 0x7fff
                                        ; implicit-def: $vgpr2
; %bb.58:
	s_andn2_saveexec_b32 s2, s2
; %bb.59:
	v_mov_b32_e32 v3, 0
	v_or_b32_e32 v4, 0x10000, v2
	v_cmp_eq_u32_sdwa vcc_lo, v2, v3 src0_sel:WORD_0 src1_sel:DWORD
	v_cndmask_b32_e32 v3, v4, v2, vcc_lo
; %bb.60:
	s_or_b32 exec_lo, exec_lo, s2
	global_store_short_d16_hi v[0:1], v3, off
.LBB440_61:
	s_or_b32 exec_lo, exec_lo, s1
	s_and_b32 exec_lo, exec_lo, s0
	s_cbranch_execz .LBB440_27
; %bb.62:
	global_load_ushort v2, v[5:6], off offset:32
	s_waitcnt vmcnt(0)
	v_lshlrev_b32_e32 v2, 16, v2
	v_mul_f32_e32 v2, s9, v2
	v_and_b32_e32 v3, 0x7f800000, v2
	v_cmp_ne_u32_e32 vcc_lo, 0x7f800000, v3
                                        ; implicit-def: $vgpr3
	s_and_saveexec_b32 s0, vcc_lo
	s_xor_b32 s0, exec_lo, s0
; %bb.63:
	v_bfe_u32 v3, v2, 16, 1
	v_add3_u32 v3, v2, v3, 0x7fff
                                        ; implicit-def: $vgpr2
; %bb.64:
	s_andn2_saveexec_b32 s0, s0
; %bb.65:
	v_mov_b32_e32 v3, 0
	v_or_b32_e32 v4, 0x10000, v2
	v_cmp_eq_u32_sdwa vcc_lo, v2, v3 src0_sel:WORD_0 src1_sel:DWORD
	v_cndmask_b32_e32 v3, v4, v2, vcc_lo
; %bb.66:
	s_or_b32 exec_lo, exec_lo, s0
	v_and_b32_e32 v2, 0xffff0000, v3
	v_fmac_f32_e32 v2, s4, v7
	v_and_b32_e32 v3, 0x7f800000, v2
	v_cmp_ne_u32_e32 vcc_lo, 0x7f800000, v3
                                        ; implicit-def: $vgpr3
	s_and_saveexec_b32 s0, vcc_lo
	s_xor_b32 s0, exec_lo, s0
; %bb.67:
	v_bfe_u32 v3, v2, 16, 1
	v_add3_u32 v3, v2, v3, 0x7fff
                                        ; implicit-def: $vgpr2
; %bb.68:
	s_andn2_saveexec_b32 s0, s0
; %bb.69:
	v_mov_b32_e32 v3, 0
	v_or_b32_e32 v4, 0x10000, v2
	v_cmp_eq_u32_sdwa vcc_lo, v2, v3 src0_sel:WORD_0 src1_sel:DWORD
	v_cndmask_b32_e32 v3, v4, v2, vcc_lo
; %bb.70:
	s_or_b32 exec_lo, exec_lo, s0
	global_store_short_d16_hi v[0:1], v3, off offset:32
	s_endpgm
	.section	.rodata,"a",@progbits
	.p2align	6, 0x0
	.amdhsa_kernel _ZN12_GLOBAL__N_135rocblas_gemm_batched_general_kernelIfLi16ELi16ELi32ELi32ELi8ELi32ELi8ELi8ELi32ELc67ELc67EK16rocblas_bfloat16S2_S1_EEvlllT_PT11_llS5_llS3_PT12_llPT13_lli
		.amdhsa_group_segment_fixed_size 2048
		.amdhsa_private_segment_fixed_size 0
		.amdhsa_kernarg_size 140
		.amdhsa_user_sgpr_count 6
		.amdhsa_user_sgpr_private_segment_buffer 1
		.amdhsa_user_sgpr_dispatch_ptr 0
		.amdhsa_user_sgpr_queue_ptr 0
		.amdhsa_user_sgpr_kernarg_segment_ptr 1
		.amdhsa_user_sgpr_dispatch_id 0
		.amdhsa_user_sgpr_flat_scratch_init 0
		.amdhsa_user_sgpr_private_segment_size 0
		.amdhsa_wavefront_size32 1
		.amdhsa_uses_dynamic_stack 0
		.amdhsa_system_sgpr_private_segment_wavefront_offset 0
		.amdhsa_system_sgpr_workgroup_id_x 1
		.amdhsa_system_sgpr_workgroup_id_y 1
		.amdhsa_system_sgpr_workgroup_id_z 1
		.amdhsa_system_sgpr_workgroup_info 0
		.amdhsa_system_vgpr_workitem_id 1
		.amdhsa_next_free_vgpr 44
		.amdhsa_next_free_sgpr 30
		.amdhsa_reserve_vcc 1
		.amdhsa_reserve_flat_scratch 0
		.amdhsa_float_round_mode_32 0
		.amdhsa_float_round_mode_16_64 0
		.amdhsa_float_denorm_mode_32 3
		.amdhsa_float_denorm_mode_16_64 3
		.amdhsa_dx10_clamp 1
		.amdhsa_ieee_mode 1
		.amdhsa_fp16_overflow 0
		.amdhsa_workgroup_processor_mode 1
		.amdhsa_memory_ordered 1
		.amdhsa_forward_progress 1
		.amdhsa_shared_vgpr_count 0
		.amdhsa_exception_fp_ieee_invalid_op 0
		.amdhsa_exception_fp_denorm_src 0
		.amdhsa_exception_fp_ieee_div_zero 0
		.amdhsa_exception_fp_ieee_overflow 0
		.amdhsa_exception_fp_ieee_underflow 0
		.amdhsa_exception_fp_ieee_inexact 0
		.amdhsa_exception_int_div_zero 0
	.end_amdhsa_kernel
	.section	.text._ZN12_GLOBAL__N_135rocblas_gemm_batched_general_kernelIfLi16ELi16ELi32ELi32ELi8ELi32ELi8ELi8ELi32ELc67ELc67EK16rocblas_bfloat16S2_S1_EEvlllT_PT11_llS5_llS3_PT12_llPT13_lli,"axG",@progbits,_ZN12_GLOBAL__N_135rocblas_gemm_batched_general_kernelIfLi16ELi16ELi32ELi32ELi8ELi32ELi8ELi8ELi32ELc67ELc67EK16rocblas_bfloat16S2_S1_EEvlllT_PT11_llS5_llS3_PT12_llPT13_lli,comdat
.Lfunc_end440:
	.size	_ZN12_GLOBAL__N_135rocblas_gemm_batched_general_kernelIfLi16ELi16ELi32ELi32ELi8ELi32ELi8ELi8ELi32ELc67ELc67EK16rocblas_bfloat16S2_S1_EEvlllT_PT11_llS5_llS3_PT12_llPT13_lli, .Lfunc_end440-_ZN12_GLOBAL__N_135rocblas_gemm_batched_general_kernelIfLi16ELi16ELi32ELi32ELi8ELi32ELi8ELi8ELi32ELc67ELc67EK16rocblas_bfloat16S2_S1_EEvlllT_PT11_llS5_llS3_PT12_llPT13_lli
                                        ; -- End function
	.set _ZN12_GLOBAL__N_135rocblas_gemm_batched_general_kernelIfLi16ELi16ELi32ELi32ELi8ELi32ELi8ELi8ELi32ELc67ELc67EK16rocblas_bfloat16S2_S1_EEvlllT_PT11_llS5_llS3_PT12_llPT13_lli.num_vgpr, 44
	.set _ZN12_GLOBAL__N_135rocblas_gemm_batched_general_kernelIfLi16ELi16ELi32ELi32ELi8ELi32ELi8ELi8ELi32ELc67ELc67EK16rocblas_bfloat16S2_S1_EEvlllT_PT11_llS5_llS3_PT12_llPT13_lli.num_agpr, 0
	.set _ZN12_GLOBAL__N_135rocblas_gemm_batched_general_kernelIfLi16ELi16ELi32ELi32ELi8ELi32ELi8ELi8ELi32ELc67ELc67EK16rocblas_bfloat16S2_S1_EEvlllT_PT11_llS5_llS3_PT12_llPT13_lli.numbered_sgpr, 30
	.set _ZN12_GLOBAL__N_135rocblas_gemm_batched_general_kernelIfLi16ELi16ELi32ELi32ELi8ELi32ELi8ELi8ELi32ELc67ELc67EK16rocblas_bfloat16S2_S1_EEvlllT_PT11_llS5_llS3_PT12_llPT13_lli.num_named_barrier, 0
	.set _ZN12_GLOBAL__N_135rocblas_gemm_batched_general_kernelIfLi16ELi16ELi32ELi32ELi8ELi32ELi8ELi8ELi32ELc67ELc67EK16rocblas_bfloat16S2_S1_EEvlllT_PT11_llS5_llS3_PT12_llPT13_lli.private_seg_size, 0
	.set _ZN12_GLOBAL__N_135rocblas_gemm_batched_general_kernelIfLi16ELi16ELi32ELi32ELi8ELi32ELi8ELi8ELi32ELc67ELc67EK16rocblas_bfloat16S2_S1_EEvlllT_PT11_llS5_llS3_PT12_llPT13_lli.uses_vcc, 1
	.set _ZN12_GLOBAL__N_135rocblas_gemm_batched_general_kernelIfLi16ELi16ELi32ELi32ELi8ELi32ELi8ELi8ELi32ELc67ELc67EK16rocblas_bfloat16S2_S1_EEvlllT_PT11_llS5_llS3_PT12_llPT13_lli.uses_flat_scratch, 0
	.set _ZN12_GLOBAL__N_135rocblas_gemm_batched_general_kernelIfLi16ELi16ELi32ELi32ELi8ELi32ELi8ELi8ELi32ELc67ELc67EK16rocblas_bfloat16S2_S1_EEvlllT_PT11_llS5_llS3_PT12_llPT13_lli.has_dyn_sized_stack, 0
	.set _ZN12_GLOBAL__N_135rocblas_gemm_batched_general_kernelIfLi16ELi16ELi32ELi32ELi8ELi32ELi8ELi8ELi32ELc67ELc67EK16rocblas_bfloat16S2_S1_EEvlllT_PT11_llS5_llS3_PT12_llPT13_lli.has_recursion, 0
	.set _ZN12_GLOBAL__N_135rocblas_gemm_batched_general_kernelIfLi16ELi16ELi32ELi32ELi8ELi32ELi8ELi8ELi32ELc67ELc67EK16rocblas_bfloat16S2_S1_EEvlllT_PT11_llS5_llS3_PT12_llPT13_lli.has_indirect_call, 0
	.section	.AMDGPU.csdata,"",@progbits
; Kernel info:
; codeLenInByte = 2900
; TotalNumSgprs: 32
; NumVgprs: 44
; ScratchSize: 0
; MemoryBound: 0
; FloatMode: 240
; IeeeMode: 1
; LDSByteSize: 2048 bytes/workgroup (compile time only)
; SGPRBlocks: 0
; VGPRBlocks: 5
; NumSGPRsForWavesPerEU: 32
; NumVGPRsForWavesPerEU: 44
; Occupancy: 16
; WaveLimiterHint : 0
; COMPUTE_PGM_RSRC2:SCRATCH_EN: 0
; COMPUTE_PGM_RSRC2:USER_SGPR: 6
; COMPUTE_PGM_RSRC2:TRAP_HANDLER: 0
; COMPUTE_PGM_RSRC2:TGID_X_EN: 1
; COMPUTE_PGM_RSRC2:TGID_Y_EN: 1
; COMPUTE_PGM_RSRC2:TGID_Z_EN: 1
; COMPUTE_PGM_RSRC2:TIDIG_COMP_CNT: 1
	.section	.text._ZN12_GLOBAL__N_135rocblas_gemm_batched_general_kernelIfLi16ELi16ELi32ELi32ELi8ELi32ELi8ELi8ELi32ELc67ELc78EK16rocblas_bfloat16S2_S1_EEvlllT_PT11_llS5_llS3_PT12_llPT13_lli,"axG",@progbits,_ZN12_GLOBAL__N_135rocblas_gemm_batched_general_kernelIfLi16ELi16ELi32ELi32ELi8ELi32ELi8ELi8ELi32ELc67ELc78EK16rocblas_bfloat16S2_S1_EEvlllT_PT11_llS5_llS3_PT12_llPT13_lli,comdat
	.globl	_ZN12_GLOBAL__N_135rocblas_gemm_batched_general_kernelIfLi16ELi16ELi32ELi32ELi8ELi32ELi8ELi8ELi32ELc67ELc78EK16rocblas_bfloat16S2_S1_EEvlllT_PT11_llS5_llS3_PT12_llPT13_lli ; -- Begin function _ZN12_GLOBAL__N_135rocblas_gemm_batched_general_kernelIfLi16ELi16ELi32ELi32ELi8ELi32ELi8ELi8ELi32ELc67ELc78EK16rocblas_bfloat16S2_S1_EEvlllT_PT11_llS5_llS3_PT12_llPT13_lli
	.p2align	8
	.type	_ZN12_GLOBAL__N_135rocblas_gemm_batched_general_kernelIfLi16ELi16ELi32ELi32ELi8ELi32ELi8ELi8ELi32ELc67ELc78EK16rocblas_bfloat16S2_S1_EEvlllT_PT11_llS5_llS3_PT12_llPT13_lli,@function
_ZN12_GLOBAL__N_135rocblas_gemm_batched_general_kernelIfLi16ELi16ELi32ELi32ELi8ELi32ELi8ELi8ELi32ELc67ELc78EK16rocblas_bfloat16S2_S1_EEvlllT_PT11_llS5_llS3_PT12_llPT13_lli: ; @_ZN12_GLOBAL__N_135rocblas_gemm_batched_general_kernelIfLi16ELi16ELi32ELi32ELi8ELi32ELi8ELi8ELi32ELc67ELc78EK16rocblas_bfloat16S2_S1_EEvlllT_PT11_llS5_llS3_PT12_llPT13_lli
; %bb.0:
	s_clause 0x1
	s_load_dwordx2 s[10:11], s[4:5], 0x10
	s_load_dwordx4 s[20:23], s[4:5], 0x0
	s_mov_b32 s0, s7
	v_mov_b32_e32 v10, 0
	v_mov_b32_e32 v9, 0
	;; [unrolled: 1-line block ×4, first 2 shown]
	s_ashr_i32 s7, s6, 31
	s_ashr_i32 s1, s0, 31
	s_lshl_b64 s[6:7], s[6:7], 5
	s_waitcnt lgkmcnt(0)
	v_cmp_lt_i64_e64 s2, s[10:11], 1
	s_and_b32 vcc_lo, exec_lo, s2
	s_lshl_b64 s[2:3], s[0:1], 5
	s_cbranch_vccnz .LBB441_7
; %bb.1:
	s_clause 0x1
	s_load_dwordx4 s[24:27], s[4:5], 0x40
	s_load_dwordx8 s[12:19], s[4:5], 0x20
	v_lshl_add_u32 v2, v1, 4, v0
	v_and_b32_e32 v6, 7, v0
	v_mov_b32_e32 v3, s7
	v_mov_b32_e32 v7, 0
	v_lshlrev_b32_e32 v14, 2, v0
	v_lshrrev_b32_e32 v9, 3, v2
	v_and_b32_e32 v8, 31, v2
	v_lshrrev_b32_e32 v11, 5, v2
	v_lshlrev_b32_e32 v13, 2, v6
	v_lshl_add_u32 v15, v1, 5, 0x400
	v_add_co_u32 v4, s0, v9, s2
	v_or_b32_e32 v2, s6, v8
	v_lshlrev_b32_e32 v10, 2, v8
	v_add_co_ci_u32_e64 v5, null, 0, s3, s0
	v_add_co_u32 v8, s9, s6, v8
	v_cmp_gt_i64_e64 s0, s[20:21], v[2:3]
	v_lshl_or_b32 v12, v11, 7, v10
	v_cmp_gt_i64_e64 s1, s[22:23], v[4:5]
	s_waitcnt lgkmcnt(0)
	v_mul_lo_u32 v10, s25, v4
	v_mul_lo_u32 v5, s24, v5
	v_mad_u64_u32 v[2:3], null, s24, v4, 0
	v_lshl_or_b32 v4, v9, 5, v13
	v_add_co_ci_u32_e64 v9, null, s7, 0, s9
	s_mul_i32 s9, s27, s8
	v_add_nc_u32_e32 v13, 0x400, v4
	v_add3_u32 v3, v3, v5, v10
	v_mul_lo_u32 v10, s15, v8
	v_mul_lo_u32 v9, s14, v9
	v_mad_u64_u32 v[4:5], null, s14, v8, 0
	s_mul_hi_u32 s14, s26, s8
	v_lshlrev_b64 v[2:3], 1, v[2:3]
	s_add_i32 s15, s14, s9
	s_mul_i32 s14, s26, s8
	s_mul_i32 s9, s17, s8
	s_lshl_b64 s[14:15], s[14:15], 1
	v_add3_u32 v5, v5, v9, v10
	v_add_co_u32 v8, vcc_lo, v2, s14
	v_add_co_ci_u32_e64 v9, null, s15, v3, vcc_lo
	s_mul_hi_u32 s14, s16, s8
	v_lshlrev_b64 v[2:3], 1, v[4:5]
	s_add_i32 s15, s14, s9
	s_mul_i32 s14, s16, s8
	v_lshlrev_b32_e32 v4, 1, v6
	s_lshl_b64 s[14:15], s[14:15], 1
	v_lshlrev_b32_e32 v5, 1, v11
	v_add_co_u32 v2, vcc_lo, v2, s14
	v_add_co_ci_u32_e64 v3, null, s15, v3, vcc_lo
	v_add_co_u32 v4, vcc_lo, v8, v4
	v_add_co_ci_u32_e64 v8, null, 0, v9, vcc_lo
	;; [unrolled: 2-line block ×5, first 2 shown]
	v_mov_b32_e32 v8, 0
	v_mov_b32_e32 v9, 0
	;; [unrolled: 1-line block ×3, first 2 shown]
	s_mov_b64 s[12:13], 0
	s_branch .LBB441_3
.LBB441_2:                              ;   in Loop: Header=BB441_3 Depth=1
	s_or_b32 exec_lo, exec_lo, s9
	ds_write_b32 v13, v17
	s_waitcnt lgkmcnt(0)
	s_barrier
	buffer_gl0_inv
	ds_read_b128 v[16:19], v15
	ds_read2_b32 v[32:33], v14 offset1:16
	ds_read_b128 v[20:23], v15 offset:512
	ds_read2_b32 v[34:35], v14 offset0:32 offset1:48
	ds_read2_b32 v[36:37], v14 offset0:64 offset1:80
	;; [unrolled: 1-line block ×3, first 2 shown]
	ds_read_b128 v[24:27], v15 offset:16
	ds_read2_b32 v[40:41], v14 offset0:128 offset1:144
	ds_read_b128 v[28:31], v15 offset:528
	ds_read2_b32 v[42:43], v14 offset0:160 offset1:176
	s_add_u32 s12, s12, 8
	s_addc_u32 s13, s13, 0
	v_add_co_u32 v2, vcc_lo, v2, 16
	v_cmp_lt_i64_e64 s9, s[12:13], s[10:11]
	v_add_co_ci_u32_e64 v3, null, 0, v3, vcc_lo
	v_add_co_u32 v4, vcc_lo, v4, 16
	v_add_co_ci_u32_e64 v5, null, 0, v5, vcc_lo
	s_waitcnt lgkmcnt(8)
	v_fmac_f32_e32 v10, v32, v16
	v_fmac_f32_e32 v9, v33, v16
	s_waitcnt lgkmcnt(7)
	v_fmac_f32_e32 v8, v32, v20
	v_fmac_f32_e32 v7, v33, v20
	ds_read2_b32 v[32:33], v14 offset0:192 offset1:208
	s_waitcnt lgkmcnt(7)
	v_fmac_f32_e32 v10, v34, v17
	v_fmac_f32_e32 v9, v35, v17
	;; [unrolled: 1-line block ×4, first 2 shown]
	ds_read2_b32 v[16:17], v14 offset0:224 offset1:240
	s_waitcnt lgkmcnt(7)
	v_fmac_f32_e32 v10, v36, v18
	v_fmac_f32_e32 v9, v37, v18
	;; [unrolled: 1-line block ×4, first 2 shown]
	s_and_b32 vcc_lo, exec_lo, s9
	s_waitcnt lgkmcnt(6)
	v_fmac_f32_e32 v10, v38, v19
	v_fmac_f32_e32 v9, v39, v19
	;; [unrolled: 1-line block ×4, first 2 shown]
	s_waitcnt lgkmcnt(0)
	v_fmac_f32_e32 v10, v40, v24
	v_fmac_f32_e32 v9, v41, v24
	v_fmac_f32_e32 v8, v40, v28
	v_fmac_f32_e32 v7, v41, v28
	s_barrier
	v_fmac_f32_e32 v10, v42, v25
	v_fmac_f32_e32 v9, v43, v25
	;; [unrolled: 1-line block ×4, first 2 shown]
	buffer_gl0_inv
	v_fmac_f32_e32 v10, v32, v26
	v_fmac_f32_e32 v9, v33, v26
	;; [unrolled: 1-line block ×8, first 2 shown]
	s_cbranch_vccz .LBB441_7
.LBB441_3:                              ; =>This Inner Loop Header: Depth=1
	v_add_co_u32 v16, s9, v11, s12
	v_add_co_ci_u32_e64 v17, null, 0, s13, s9
	v_cmp_gt_i64_e32 vcc_lo, s[10:11], v[16:17]
	v_mov_b32_e32 v16, 0
	s_and_b32 s14, s0, vcc_lo
	s_and_saveexec_b32 s9, s14
	s_cbranch_execz .LBB441_5
; %bb.4:                                ;   in Loop: Header=BB441_3 Depth=1
	global_load_ushort v16, v[4:5], off
	s_waitcnt vmcnt(0)
	v_lshlrev_b32_e32 v16, 16, v16
.LBB441_5:                              ;   in Loop: Header=BB441_3 Depth=1
	s_or_b32 exec_lo, exec_lo, s9
	v_add_co_u32 v17, s9, v6, s12
	v_add_co_ci_u32_e64 v18, null, 0, s13, s9
	ds_write_b32 v12, v16
	v_cmp_gt_i64_e32 vcc_lo, s[10:11], v[17:18]
	v_mov_b32_e32 v17, 0
	s_and_b32 s14, vcc_lo, s1
	s_and_saveexec_b32 s9, s14
	s_cbranch_execz .LBB441_2
; %bb.6:                                ;   in Loop: Header=BB441_3 Depth=1
	global_load_ushort v16, v[2:3], off
	s_waitcnt vmcnt(0)
	v_lshlrev_b32_e32 v17, 16, v16
	s_branch .LBB441_2
.LBB441_7:
	s_clause 0x3
	s_load_dwordx4 s[24:27], s[4:5], 0x78
	s_load_dword s9, s[4:5], 0x50
	s_load_dwordx8 s[12:19], s[4:5], 0x58
	s_load_dword s4, s[4:5], 0x18
	v_add_co_u32 v1, s0, s2, v1
	v_add_co_ci_u32_e64 v2, null, s3, 0, s0
	s_waitcnt lgkmcnt(0)
	s_mul_i32 s1, s27, s8
	s_mul_hi_u32 s2, s26, s8
	s_mul_i32 s0, s26, s8
	s_add_i32 s1, s2, s1
	v_cmp_neq_f32_e64 s2, s9, 0
	s_lshl_b64 s[10:11], s[0:1], 1
	v_cmp_gt_i64_e64 s0, s[22:23], v[1:2]
	s_add_u32 s3, s18, s10
	s_addc_u32 s5, s19, s11
	s_and_b32 vcc_lo, exec_lo, s2
	s_cbranch_vccnz .LBB441_28
; %bb.8:
	s_and_saveexec_b32 s10, s0
	s_cbranch_execz .LBB441_26
; %bb.9:
	v_mul_lo_u32 v3, v2, s24
	v_mul_lo_u32 v4, v1, s25
	v_mad_u64_u32 v[5:6], null, v1, s24, 0
	v_add3_u32 v6, v6, v4, v3
	v_add_co_u32 v3, s1, s6, v0
	v_add_co_ci_u32_e64 v4, null, s7, 0, s1
	v_lshlrev_b64 v[5:6], 1, v[5:6]
	v_cmp_gt_i64_e32 vcc_lo, s[20:21], v[3:4]
	v_add_co_u32 v5, s1, s3, v5
	v_add_co_ci_u32_e64 v6, null, s5, v6, s1
	s_and_saveexec_b32 s2, vcc_lo
	s_cbranch_execz .LBB441_15
; %bb.10:
	v_mul_f32_e32 v12, s4, v10
	v_and_b32_e32 v11, 0x7f800000, v12
	v_cmp_ne_u32_e64 s1, 0x7f800000, v11
                                        ; implicit-def: $vgpr11
	s_and_saveexec_b32 s11, s1
	s_xor_b32 s1, exec_lo, s11
; %bb.11:
	v_bfe_u32 v11, v12, 16, 1
	v_add3_u32 v11, v12, v11, 0x7fff
                                        ; implicit-def: $vgpr12
; %bb.12:
	s_andn2_saveexec_b32 s11, s1
; %bb.13:
	v_mov_b32_e32 v11, 0
	v_or_b32_e32 v13, 0x10000, v12
	v_cmp_eq_u32_sdwa s1, v12, v11 src0_sel:WORD_0 src1_sel:DWORD
	v_cndmask_b32_e64 v11, v13, v12, s1
; %bb.14:
	s_or_b32 exec_lo, exec_lo, s11
	v_lshlrev_b64 v[12:13], 1, v[3:4]
	v_add_co_u32 v12, s1, v5, v12
	v_add_co_ci_u32_e64 v13, null, v6, v13, s1
	global_store_short_d16_hi v[12:13], v11, off
.LBB441_15:
	s_or_b32 exec_lo, exec_lo, s2
	v_add_co_u32 v11, s1, v3, 16
	v_add_co_ci_u32_e64 v12, null, 0, v4, s1
	v_cmp_gt_i64_e64 s1, s[20:21], v[11:12]
	s_and_saveexec_b32 s11, s1
	s_cbranch_execz .LBB441_21
; %bb.16:
	v_mul_f32_e32 v12, s4, v9
	v_and_b32_e32 v11, 0x7f800000, v12
	v_cmp_ne_u32_e64 s2, 0x7f800000, v11
                                        ; implicit-def: $vgpr11
	s_and_saveexec_b32 s18, s2
	s_xor_b32 s2, exec_lo, s18
; %bb.17:
	v_bfe_u32 v11, v12, 16, 1
	v_add3_u32 v11, v12, v11, 0x7fff
                                        ; implicit-def: $vgpr12
; %bb.18:
	s_andn2_saveexec_b32 s18, s2
; %bb.19:
	v_mov_b32_e32 v11, 0
	v_or_b32_e32 v13, 0x10000, v12
	v_cmp_eq_u32_sdwa s2, v12, v11 src0_sel:WORD_0 src1_sel:DWORD
	v_cndmask_b32_e64 v11, v13, v12, s2
; %bb.20:
	s_or_b32 exec_lo, exec_lo, s18
	v_lshlrev_b64 v[12:13], 1, v[3:4]
	v_add_co_u32 v12, s2, v5, v12
	v_add_co_ci_u32_e64 v13, null, v6, v13, s2
	global_store_short_d16_hi v[12:13], v11, off offset:32
.LBB441_21:
	s_or_b32 exec_lo, exec_lo, s11
	v_add_co_u32 v11, s2, v1, 16
	v_add_co_ci_u32_e64 v12, null, 0, v2, s2
	v_cmp_gt_i64_e64 s2, s[22:23], v[11:12]
	s_and_b32 exec_lo, exec_lo, s2
	s_cbranch_execz .LBB441_26
; %bb.22:
	s_lshl_b64 s[18:19], s[24:25], 5
	v_lshlrev_b64 v[3:4], 1, v[3:4]
	v_add_co_u32 v5, s2, v5, s18
	v_add_co_ci_u32_e64 v6, null, s19, v6, s2
	v_add_co_u32 v3, s2, v5, v3
	v_add_co_ci_u32_e64 v4, null, v6, v4, s2
	s_and_saveexec_b32 s2, vcc_lo
	s_cbranch_execz .LBB441_24
; %bb.23:
	v_mul_f32_e32 v5, s4, v8
	v_mov_b32_e32 v11, 0
	v_bfe_u32 v6, v5, 16, 1
	v_or_b32_e32 v12, 0x10000, v5
	v_and_b32_e32 v13, 0x7f800000, v5
	v_cmp_eq_u32_sdwa vcc_lo, v5, v11 src0_sel:WORD_0 src1_sel:DWORD
	v_add3_u32 v6, v5, v6, 0x7fff
	v_cndmask_b32_e32 v5, v12, v5, vcc_lo
	v_cmp_eq_u32_e32 vcc_lo, 0x7f800000, v13
	v_cndmask_b32_e32 v5, v6, v5, vcc_lo
	global_store_short_d16_hi v[3:4], v5, off
.LBB441_24:
	s_or_b32 exec_lo, exec_lo, s2
	s_and_b32 exec_lo, exec_lo, s1
	s_cbranch_execz .LBB441_26
; %bb.25:
	v_mul_f32_e32 v5, s4, v7
	v_mov_b32_e32 v11, 0
	v_bfe_u32 v6, v5, 16, 1
	v_or_b32_e32 v12, 0x10000, v5
	v_and_b32_e32 v13, 0x7f800000, v5
	v_cmp_eq_u32_sdwa vcc_lo, v5, v11 src0_sel:WORD_0 src1_sel:DWORD
	v_add3_u32 v6, v5, v6, 0x7fff
	v_cndmask_b32_e32 v5, v12, v5, vcc_lo
	v_cmp_eq_u32_e32 vcc_lo, 0x7f800000, v13
	v_cndmask_b32_e32 v5, v6, v5, vcc_lo
	global_store_short_d16_hi v[3:4], v5, off offset:32
.LBB441_26:
	s_or_b32 exec_lo, exec_lo, s10
	s_cbranch_execz .LBB441_29
.LBB441_27:
	s_endpgm
.LBB441_28:
.LBB441_29:
	s_and_saveexec_b32 s1, s0
	s_cbranch_execz .LBB441_27
; %bb.30:
	v_mul_lo_u32 v5, v2, s14
	v_mul_lo_u32 v6, v1, s15
	v_mad_u64_u32 v[3:4], null, v1, s14, 0
	v_mul_lo_u32 v13, v2, s24
	v_mul_lo_u32 v14, v1, s25
	v_mad_u64_u32 v[11:12], null, v1, s24, 0
	s_mul_i32 s0, s17, s8
	s_mul_hi_u32 s1, s16, s8
	v_add3_u32 v4, v4, v6, v5
	s_add_i32 s1, s1, s0
	s_mul_i32 s0, s16, s8
	v_add_co_u32 v5, s2, s6, v0
	v_add3_u32 v12, v12, v14, v13
	v_lshlrev_b64 v[3:4], 1, v[3:4]
	s_lshl_b64 s[0:1], s[0:1], 1
	v_add_co_ci_u32_e64 v6, null, s7, 0, s2
	v_lshlrev_b64 v[12:13], 1, v[11:12]
	s_add_u32 s0, s12, s0
	s_addc_u32 s1, s13, s1
	v_add_co_u32 v0, s0, s0, v3
	v_add_co_ci_u32_e64 v11, null, s1, v4, s0
	v_add_co_u32 v12, s0, s3, v12
	v_cmp_gt_i64_e32 vcc_lo, s[20:21], v[5:6]
	v_lshlrev_b64 v[3:4], 1, v[5:6]
	v_add_co_ci_u32_e64 v13, null, s5, v13, s0
	s_and_saveexec_b32 s1, vcc_lo
	s_cbranch_execz .LBB441_40
; %bb.31:
	v_add_co_u32 v14, s0, v0, v3
	v_add_co_ci_u32_e64 v15, null, v11, v4, s0
	global_load_ushort v14, v[14:15], off
	s_waitcnt vmcnt(0)
	v_lshlrev_b32_e32 v14, 16, v14
	v_mul_f32_e32 v14, s9, v14
	v_and_b32_e32 v15, 0x7f800000, v14
	v_cmp_ne_u32_e64 s0, 0x7f800000, v15
                                        ; implicit-def: $vgpr15
	s_and_saveexec_b32 s2, s0
	s_xor_b32 s0, exec_lo, s2
; %bb.32:
	v_bfe_u32 v15, v14, 16, 1
	v_add3_u32 v15, v14, v15, 0x7fff
                                        ; implicit-def: $vgpr14
; %bb.33:
	s_andn2_saveexec_b32 s2, s0
; %bb.34:
	v_mov_b32_e32 v15, 0
	v_or_b32_e32 v16, 0x10000, v14
	v_cmp_eq_u32_sdwa s0, v14, v15 src0_sel:WORD_0 src1_sel:DWORD
	v_cndmask_b32_e64 v15, v16, v14, s0
; %bb.35:
	s_or_b32 exec_lo, exec_lo, s2
	v_and_b32_e32 v14, 0xffff0000, v15
	v_fmac_f32_e32 v14, s4, v10
	v_and_b32_e32 v10, 0x7f800000, v14
	v_cmp_ne_u32_e64 s0, 0x7f800000, v10
                                        ; implicit-def: $vgpr10
	s_and_saveexec_b32 s2, s0
	s_xor_b32 s0, exec_lo, s2
; %bb.36:
	v_bfe_u32 v10, v14, 16, 1
	v_add3_u32 v10, v14, v10, 0x7fff
                                        ; implicit-def: $vgpr14
; %bb.37:
	s_andn2_saveexec_b32 s2, s0
; %bb.38:
	v_mov_b32_e32 v10, 0
	v_or_b32_e32 v15, 0x10000, v14
	v_cmp_eq_u32_sdwa s0, v14, v10 src0_sel:WORD_0 src1_sel:DWORD
	v_cndmask_b32_e64 v10, v15, v14, s0
; %bb.39:
	s_or_b32 exec_lo, exec_lo, s2
	v_add_co_u32 v14, s0, v12, v3
	v_add_co_ci_u32_e64 v15, null, v13, v4, s0
	global_store_short_d16_hi v[14:15], v10, off
.LBB441_40:
	s_or_b32 exec_lo, exec_lo, s1
	v_add_co_u32 v5, s0, v5, 16
	v_add_co_ci_u32_e64 v6, null, 0, v6, s0
	v_cmp_gt_i64_e64 s0, s[20:21], v[5:6]
	s_and_saveexec_b32 s2, s0
	s_cbranch_execz .LBB441_50
; %bb.41:
	v_add_co_u32 v5, s1, v0, v3
	v_add_co_ci_u32_e64 v6, null, v11, v4, s1
	global_load_ushort v5, v[5:6], off offset:32
	s_waitcnt vmcnt(0)
	v_lshlrev_b32_e32 v5, 16, v5
	v_mul_f32_e32 v5, s9, v5
	v_and_b32_e32 v6, 0x7f800000, v5
	v_cmp_ne_u32_e64 s1, 0x7f800000, v6
                                        ; implicit-def: $vgpr6
	s_and_saveexec_b32 s3, s1
	s_xor_b32 s1, exec_lo, s3
; %bb.42:
	v_bfe_u32 v6, v5, 16, 1
	v_add3_u32 v6, v5, v6, 0x7fff
                                        ; implicit-def: $vgpr5
; %bb.43:
	s_andn2_saveexec_b32 s3, s1
; %bb.44:
	v_mov_b32_e32 v6, 0
	v_or_b32_e32 v10, 0x10000, v5
	v_cmp_eq_u32_sdwa s1, v5, v6 src0_sel:WORD_0 src1_sel:DWORD
	v_cndmask_b32_e64 v6, v10, v5, s1
; %bb.45:
	s_or_b32 exec_lo, exec_lo, s3
	v_and_b32_e32 v5, 0xffff0000, v6
	v_fmac_f32_e32 v5, s4, v9
	v_and_b32_e32 v6, 0x7f800000, v5
	v_cmp_ne_u32_e64 s1, 0x7f800000, v6
                                        ; implicit-def: $vgpr6
	s_and_saveexec_b32 s3, s1
	s_xor_b32 s1, exec_lo, s3
; %bb.46:
	v_bfe_u32 v6, v5, 16, 1
	v_add3_u32 v6, v5, v6, 0x7fff
                                        ; implicit-def: $vgpr5
; %bb.47:
	s_andn2_saveexec_b32 s3, s1
; %bb.48:
	v_mov_b32_e32 v6, 0
	v_or_b32_e32 v9, 0x10000, v5
	v_cmp_eq_u32_sdwa s1, v5, v6 src0_sel:WORD_0 src1_sel:DWORD
	v_cndmask_b32_e64 v6, v9, v5, s1
; %bb.49:
	s_or_b32 exec_lo, exec_lo, s3
	v_add_co_u32 v9, s1, v12, v3
	v_add_co_ci_u32_e64 v10, null, v13, v4, s1
	global_store_short_d16_hi v[9:10], v6, off offset:32
.LBB441_50:
	s_or_b32 exec_lo, exec_lo, s2
	v_add_co_u32 v1, s1, v1, 16
	v_add_co_ci_u32_e64 v2, null, 0, v2, s1
	v_cmp_gt_i64_e64 s1, s[22:23], v[1:2]
	s_and_b32 exec_lo, exec_lo, s1
	s_cbranch_execz .LBB441_27
; %bb.51:
	s_lshl_b64 s[2:3], s[14:15], 5
	v_add_co_u32 v0, s1, v0, s2
	v_add_co_ci_u32_e64 v1, null, s3, v11, s1
	s_lshl_b64 s[2:3], s[24:25], 5
	v_add_co_u32 v2, s1, v12, s2
	v_add_co_ci_u32_e64 v9, null, s3, v13, s1
	v_add_co_u32 v5, s1, v0, v3
	v_add_co_ci_u32_e64 v6, null, v1, v4, s1
	;; [unrolled: 2-line block ×3, first 2 shown]
	s_and_saveexec_b32 s1, vcc_lo
	s_cbranch_execz .LBB441_61
; %bb.52:
	global_load_ushort v2, v[5:6], off
	s_waitcnt vmcnt(0)
	v_lshlrev_b32_e32 v2, 16, v2
	v_mul_f32_e32 v2, s9, v2
	v_and_b32_e32 v3, 0x7f800000, v2
	v_cmp_ne_u32_e32 vcc_lo, 0x7f800000, v3
                                        ; implicit-def: $vgpr3
	s_and_saveexec_b32 s2, vcc_lo
	s_xor_b32 s2, exec_lo, s2
; %bb.53:
	v_bfe_u32 v3, v2, 16, 1
	v_add3_u32 v3, v2, v3, 0x7fff
                                        ; implicit-def: $vgpr2
; %bb.54:
	s_andn2_saveexec_b32 s2, s2
; %bb.55:
	v_mov_b32_e32 v3, 0
	v_or_b32_e32 v4, 0x10000, v2
	v_cmp_eq_u32_sdwa vcc_lo, v2, v3 src0_sel:WORD_0 src1_sel:DWORD
	v_cndmask_b32_e32 v3, v4, v2, vcc_lo
; %bb.56:
	s_or_b32 exec_lo, exec_lo, s2
	v_and_b32_e32 v2, 0xffff0000, v3
	v_fmac_f32_e32 v2, s4, v8
	v_and_b32_e32 v3, 0x7f800000, v2
	v_cmp_ne_u32_e32 vcc_lo, 0x7f800000, v3
                                        ; implicit-def: $vgpr3
	s_and_saveexec_b32 s2, vcc_lo
	s_xor_b32 s2, exec_lo, s2
; %bb.57:
	v_bfe_u32 v3, v2, 16, 1
	v_add3_u32 v3, v2, v3, 0x7fff
                                        ; implicit-def: $vgpr2
; %bb.58:
	s_andn2_saveexec_b32 s2, s2
; %bb.59:
	v_mov_b32_e32 v3, 0
	v_or_b32_e32 v4, 0x10000, v2
	v_cmp_eq_u32_sdwa vcc_lo, v2, v3 src0_sel:WORD_0 src1_sel:DWORD
	v_cndmask_b32_e32 v3, v4, v2, vcc_lo
; %bb.60:
	s_or_b32 exec_lo, exec_lo, s2
	global_store_short_d16_hi v[0:1], v3, off
.LBB441_61:
	s_or_b32 exec_lo, exec_lo, s1
	s_and_b32 exec_lo, exec_lo, s0
	s_cbranch_execz .LBB441_27
; %bb.62:
	global_load_ushort v2, v[5:6], off offset:32
	s_waitcnt vmcnt(0)
	v_lshlrev_b32_e32 v2, 16, v2
	v_mul_f32_e32 v2, s9, v2
	v_and_b32_e32 v3, 0x7f800000, v2
	v_cmp_ne_u32_e32 vcc_lo, 0x7f800000, v3
                                        ; implicit-def: $vgpr3
	s_and_saveexec_b32 s0, vcc_lo
	s_xor_b32 s0, exec_lo, s0
; %bb.63:
	v_bfe_u32 v3, v2, 16, 1
	v_add3_u32 v3, v2, v3, 0x7fff
                                        ; implicit-def: $vgpr2
; %bb.64:
	s_andn2_saveexec_b32 s0, s0
; %bb.65:
	v_mov_b32_e32 v3, 0
	v_or_b32_e32 v4, 0x10000, v2
	v_cmp_eq_u32_sdwa vcc_lo, v2, v3 src0_sel:WORD_0 src1_sel:DWORD
	v_cndmask_b32_e32 v3, v4, v2, vcc_lo
; %bb.66:
	s_or_b32 exec_lo, exec_lo, s0
	v_and_b32_e32 v2, 0xffff0000, v3
	v_fmac_f32_e32 v2, s4, v7
	v_and_b32_e32 v3, 0x7f800000, v2
	v_cmp_ne_u32_e32 vcc_lo, 0x7f800000, v3
                                        ; implicit-def: $vgpr3
	s_and_saveexec_b32 s0, vcc_lo
	s_xor_b32 s0, exec_lo, s0
; %bb.67:
	v_bfe_u32 v3, v2, 16, 1
	v_add3_u32 v3, v2, v3, 0x7fff
                                        ; implicit-def: $vgpr2
; %bb.68:
	s_andn2_saveexec_b32 s0, s0
; %bb.69:
	v_mov_b32_e32 v3, 0
	v_or_b32_e32 v4, 0x10000, v2
	v_cmp_eq_u32_sdwa vcc_lo, v2, v3 src0_sel:WORD_0 src1_sel:DWORD
	v_cndmask_b32_e32 v3, v4, v2, vcc_lo
; %bb.70:
	s_or_b32 exec_lo, exec_lo, s0
	global_store_short_d16_hi v[0:1], v3, off offset:32
	s_endpgm
	.section	.rodata,"a",@progbits
	.p2align	6, 0x0
	.amdhsa_kernel _ZN12_GLOBAL__N_135rocblas_gemm_batched_general_kernelIfLi16ELi16ELi32ELi32ELi8ELi32ELi8ELi8ELi32ELc67ELc78EK16rocblas_bfloat16S2_S1_EEvlllT_PT11_llS5_llS3_PT12_llPT13_lli
		.amdhsa_group_segment_fixed_size 2048
		.amdhsa_private_segment_fixed_size 0
		.amdhsa_kernarg_size 140
		.amdhsa_user_sgpr_count 6
		.amdhsa_user_sgpr_private_segment_buffer 1
		.amdhsa_user_sgpr_dispatch_ptr 0
		.amdhsa_user_sgpr_queue_ptr 0
		.amdhsa_user_sgpr_kernarg_segment_ptr 1
		.amdhsa_user_sgpr_dispatch_id 0
		.amdhsa_user_sgpr_flat_scratch_init 0
		.amdhsa_user_sgpr_private_segment_size 0
		.amdhsa_wavefront_size32 1
		.amdhsa_uses_dynamic_stack 0
		.amdhsa_system_sgpr_private_segment_wavefront_offset 0
		.amdhsa_system_sgpr_workgroup_id_x 1
		.amdhsa_system_sgpr_workgroup_id_y 1
		.amdhsa_system_sgpr_workgroup_id_z 1
		.amdhsa_system_sgpr_workgroup_info 0
		.amdhsa_system_vgpr_workitem_id 1
		.amdhsa_next_free_vgpr 44
		.amdhsa_next_free_sgpr 28
		.amdhsa_reserve_vcc 1
		.amdhsa_reserve_flat_scratch 0
		.amdhsa_float_round_mode_32 0
		.amdhsa_float_round_mode_16_64 0
		.amdhsa_float_denorm_mode_32 3
		.amdhsa_float_denorm_mode_16_64 3
		.amdhsa_dx10_clamp 1
		.amdhsa_ieee_mode 1
		.amdhsa_fp16_overflow 0
		.amdhsa_workgroup_processor_mode 1
		.amdhsa_memory_ordered 1
		.amdhsa_forward_progress 1
		.amdhsa_shared_vgpr_count 0
		.amdhsa_exception_fp_ieee_invalid_op 0
		.amdhsa_exception_fp_denorm_src 0
		.amdhsa_exception_fp_ieee_div_zero 0
		.amdhsa_exception_fp_ieee_overflow 0
		.amdhsa_exception_fp_ieee_underflow 0
		.amdhsa_exception_fp_ieee_inexact 0
		.amdhsa_exception_int_div_zero 0
	.end_amdhsa_kernel
	.section	.text._ZN12_GLOBAL__N_135rocblas_gemm_batched_general_kernelIfLi16ELi16ELi32ELi32ELi8ELi32ELi8ELi8ELi32ELc67ELc78EK16rocblas_bfloat16S2_S1_EEvlllT_PT11_llS5_llS3_PT12_llPT13_lli,"axG",@progbits,_ZN12_GLOBAL__N_135rocblas_gemm_batched_general_kernelIfLi16ELi16ELi32ELi32ELi8ELi32ELi8ELi8ELi32ELc67ELc78EK16rocblas_bfloat16S2_S1_EEvlllT_PT11_llS5_llS3_PT12_llPT13_lli,comdat
.Lfunc_end441:
	.size	_ZN12_GLOBAL__N_135rocblas_gemm_batched_general_kernelIfLi16ELi16ELi32ELi32ELi8ELi32ELi8ELi8ELi32ELc67ELc78EK16rocblas_bfloat16S2_S1_EEvlllT_PT11_llS5_llS3_PT12_llPT13_lli, .Lfunc_end441-_ZN12_GLOBAL__N_135rocblas_gemm_batched_general_kernelIfLi16ELi16ELi32ELi32ELi8ELi32ELi8ELi8ELi32ELc67ELc78EK16rocblas_bfloat16S2_S1_EEvlllT_PT11_llS5_llS3_PT12_llPT13_lli
                                        ; -- End function
	.set _ZN12_GLOBAL__N_135rocblas_gemm_batched_general_kernelIfLi16ELi16ELi32ELi32ELi8ELi32ELi8ELi8ELi32ELc67ELc78EK16rocblas_bfloat16S2_S1_EEvlllT_PT11_llS5_llS3_PT12_llPT13_lli.num_vgpr, 44
	.set _ZN12_GLOBAL__N_135rocblas_gemm_batched_general_kernelIfLi16ELi16ELi32ELi32ELi8ELi32ELi8ELi8ELi32ELc67ELc78EK16rocblas_bfloat16S2_S1_EEvlllT_PT11_llS5_llS3_PT12_llPT13_lli.num_agpr, 0
	.set _ZN12_GLOBAL__N_135rocblas_gemm_batched_general_kernelIfLi16ELi16ELi32ELi32ELi8ELi32ELi8ELi8ELi32ELc67ELc78EK16rocblas_bfloat16S2_S1_EEvlllT_PT11_llS5_llS3_PT12_llPT13_lli.numbered_sgpr, 28
	.set _ZN12_GLOBAL__N_135rocblas_gemm_batched_general_kernelIfLi16ELi16ELi32ELi32ELi8ELi32ELi8ELi8ELi32ELc67ELc78EK16rocblas_bfloat16S2_S1_EEvlllT_PT11_llS5_llS3_PT12_llPT13_lli.num_named_barrier, 0
	.set _ZN12_GLOBAL__N_135rocblas_gemm_batched_general_kernelIfLi16ELi16ELi32ELi32ELi8ELi32ELi8ELi8ELi32ELc67ELc78EK16rocblas_bfloat16S2_S1_EEvlllT_PT11_llS5_llS3_PT12_llPT13_lli.private_seg_size, 0
	.set _ZN12_GLOBAL__N_135rocblas_gemm_batched_general_kernelIfLi16ELi16ELi32ELi32ELi8ELi32ELi8ELi8ELi32ELc67ELc78EK16rocblas_bfloat16S2_S1_EEvlllT_PT11_llS5_llS3_PT12_llPT13_lli.uses_vcc, 1
	.set _ZN12_GLOBAL__N_135rocblas_gemm_batched_general_kernelIfLi16ELi16ELi32ELi32ELi8ELi32ELi8ELi8ELi32ELc67ELc78EK16rocblas_bfloat16S2_S1_EEvlllT_PT11_llS5_llS3_PT12_llPT13_lli.uses_flat_scratch, 0
	.set _ZN12_GLOBAL__N_135rocblas_gemm_batched_general_kernelIfLi16ELi16ELi32ELi32ELi8ELi32ELi8ELi8ELi32ELc67ELc78EK16rocblas_bfloat16S2_S1_EEvlllT_PT11_llS5_llS3_PT12_llPT13_lli.has_dyn_sized_stack, 0
	.set _ZN12_GLOBAL__N_135rocblas_gemm_batched_general_kernelIfLi16ELi16ELi32ELi32ELi8ELi32ELi8ELi8ELi32ELc67ELc78EK16rocblas_bfloat16S2_S1_EEvlllT_PT11_llS5_llS3_PT12_llPT13_lli.has_recursion, 0
	.set _ZN12_GLOBAL__N_135rocblas_gemm_batched_general_kernelIfLi16ELi16ELi32ELi32ELi8ELi32ELi8ELi8ELi32ELc67ELc78EK16rocblas_bfloat16S2_S1_EEvlllT_PT11_llS5_llS3_PT12_llPT13_lli.has_indirect_call, 0
	.section	.AMDGPU.csdata,"",@progbits
; Kernel info:
; codeLenInByte = 2896
; TotalNumSgprs: 30
; NumVgprs: 44
; ScratchSize: 0
; MemoryBound: 0
; FloatMode: 240
; IeeeMode: 1
; LDSByteSize: 2048 bytes/workgroup (compile time only)
; SGPRBlocks: 0
; VGPRBlocks: 5
; NumSGPRsForWavesPerEU: 30
; NumVGPRsForWavesPerEU: 44
; Occupancy: 16
; WaveLimiterHint : 0
; COMPUTE_PGM_RSRC2:SCRATCH_EN: 0
; COMPUTE_PGM_RSRC2:USER_SGPR: 6
; COMPUTE_PGM_RSRC2:TRAP_HANDLER: 0
; COMPUTE_PGM_RSRC2:TGID_X_EN: 1
; COMPUTE_PGM_RSRC2:TGID_Y_EN: 1
; COMPUTE_PGM_RSRC2:TGID_Z_EN: 1
; COMPUTE_PGM_RSRC2:TIDIG_COMP_CNT: 1
	.section	.text._ZN12_GLOBAL__N_135rocblas_gemm_batched_general_kernelIfLi16ELi16ELi32ELi32ELi8ELi32ELi8ELi8ELi32ELc67ELc84EK16rocblas_bfloat16S2_S1_EEvlllT_PT11_llS5_llS3_PT12_llPT13_lli,"axG",@progbits,_ZN12_GLOBAL__N_135rocblas_gemm_batched_general_kernelIfLi16ELi16ELi32ELi32ELi8ELi32ELi8ELi8ELi32ELc67ELc84EK16rocblas_bfloat16S2_S1_EEvlllT_PT11_llS5_llS3_PT12_llPT13_lli,comdat
	.globl	_ZN12_GLOBAL__N_135rocblas_gemm_batched_general_kernelIfLi16ELi16ELi32ELi32ELi8ELi32ELi8ELi8ELi32ELc67ELc84EK16rocblas_bfloat16S2_S1_EEvlllT_PT11_llS5_llS3_PT12_llPT13_lli ; -- Begin function _ZN12_GLOBAL__N_135rocblas_gemm_batched_general_kernelIfLi16ELi16ELi32ELi32ELi8ELi32ELi8ELi8ELi32ELc67ELc84EK16rocblas_bfloat16S2_S1_EEvlllT_PT11_llS5_llS3_PT12_llPT13_lli
	.p2align	8
	.type	_ZN12_GLOBAL__N_135rocblas_gemm_batched_general_kernelIfLi16ELi16ELi32ELi32ELi8ELi32ELi8ELi8ELi32ELc67ELc84EK16rocblas_bfloat16S2_S1_EEvlllT_PT11_llS5_llS3_PT12_llPT13_lli,@function
_ZN12_GLOBAL__N_135rocblas_gemm_batched_general_kernelIfLi16ELi16ELi32ELi32ELi8ELi32ELi8ELi8ELi32ELc67ELc84EK16rocblas_bfloat16S2_S1_EEvlllT_PT11_llS5_llS3_PT12_llPT13_lli: ; @_ZN12_GLOBAL__N_135rocblas_gemm_batched_general_kernelIfLi16ELi16ELi32ELi32ELi8ELi32ELi8ELi8ELi32ELc67ELc84EK16rocblas_bfloat16S2_S1_EEvlllT_PT11_llS5_llS3_PT12_llPT13_lli
; %bb.0:
	s_clause 0x1
	s_load_dwordx2 s[10:11], s[4:5], 0x10
	s_load_dwordx4 s[20:23], s[4:5], 0x0
	s_mov_b32 s0, s7
	v_mov_b32_e32 v10, 0
	v_mov_b32_e32 v9, 0
	;; [unrolled: 1-line block ×4, first 2 shown]
	s_ashr_i32 s7, s6, 31
	s_ashr_i32 s1, s0, 31
	s_lshl_b64 s[6:7], s[6:7], 5
	s_waitcnt lgkmcnt(0)
	v_cmp_lt_i64_e64 s2, s[10:11], 1
	s_and_b32 vcc_lo, exec_lo, s2
	s_lshl_b64 s[2:3], s[0:1], 5
	s_cbranch_vccnz .LBB442_7
; %bb.1:
	s_clause 0x1
	s_load_dwordx4 s[24:27], s[4:5], 0x40
	s_load_dwordx8 s[12:19], s[4:5], 0x20
	v_lshl_add_u32 v2, v1, 4, v0
	v_and_b32_e32 v6, 7, v0
	v_mov_b32_e32 v3, s7
	s_lshl_b64 s[28:29], s[0:1], 6
	v_mov_b32_e32 v7, 0
	v_and_b32_e32 v14, 31, v2
	v_lshrrev_b32_e32 v10, 3, v2
	v_lshrrev_b32_e32 v13, 5, v2
	v_lshlrev_b32_e32 v15, 2, v6
	v_lshlrev_b32_e32 v11, 2, v0
	v_or_b32_e32 v2, s6, v14
	v_add_co_u32 v8, s0, v10, s2
	v_add_co_ci_u32_e64 v9, null, 0, s3, s0
	v_add_co_u32 v17, s0, s6, v14
	v_add_co_ci_u32_e64 v18, null, s7, 0, s0
	s_waitcnt lgkmcnt(0)
	v_mad_u64_u32 v[4:5], null, s24, v6, 0
	v_cmp_gt_i64_e64 s0, s[20:21], v[2:3]
	v_cmp_gt_i64_e64 s1, s[22:23], v[8:9]
	v_mul_lo_u32 v8, s15, v17
	v_mul_lo_u32 v9, s14, v18
	s_mul_i32 s9, s27, s8
	s_mul_hi_u32 s27, s26, s8
	v_mad_u64_u32 v[2:3], null, s25, v6, v[5:6]
	s_mul_i32 s26, s26, s8
	s_add_i32 s27, s27, s9
	s_mul_i32 s9, s17, s8
	s_mul_hi_u32 s17, s16, s8
	v_lshlrev_b32_e32 v16, 2, v14
	v_lshl_or_b32 v15, v10, 5, v15
	v_mov_b32_e32 v5, v2
	v_mad_u64_u32 v[2:3], null, s14, v17, 0
	s_lshl_b64 s[14:15], s[26:27], 1
	v_lshl_add_u32 v12, v1, 5, 0x400
	v_lshlrev_b64 v[4:5], 1, v[4:5]
	s_add_u32 s14, s28, s14
	s_addc_u32 s15, s29, s15
	v_lshl_or_b32 v14, v13, 7, v16
	v_add3_u32 v3, v3, v9, v8
	v_lshlrev_b32_e32 v8, 1, v10
	v_add_co_u32 v4, vcc_lo, s14, v4
	v_add_co_ci_u32_e64 v5, null, s15, v5, vcc_lo
	v_lshlrev_b64 v[2:3], 1, v[2:3]
	s_add_i32 s15, s17, s9
	s_mul_i32 s14, s16, s8
	v_lshlrev_b32_e32 v9, 1, v13
	s_lshl_b64 s[14:15], s[14:15], 1
	v_add_nc_u32_e32 v15, 0x400, v15
	v_add_co_u32 v2, vcc_lo, v2, s14
	v_add_co_ci_u32_e64 v3, null, s15, v3, vcc_lo
	v_add_co_u32 v4, vcc_lo, v4, v8
	v_add_co_ci_u32_e64 v5, null, 0, v5, vcc_lo
	;; [unrolled: 2-line block ×5, first 2 shown]
	v_mov_b32_e32 v8, 0
	v_mov_b32_e32 v9, 0
	;; [unrolled: 1-line block ×3, first 2 shown]
	s_lshl_b64 s[12:13], s[24:25], 4
	s_mov_b64 s[14:15], 0
	s_branch .LBB442_3
.LBB442_2:                              ;   in Loop: Header=BB442_3 Depth=1
	s_or_b32 exec_lo, exec_lo, s9
	ds_write_b32 v15, v17
	s_waitcnt lgkmcnt(0)
	s_barrier
	buffer_gl0_inv
	ds_read_b128 v[16:19], v12
	ds_read2_b32 v[32:33], v11 offset1:16
	ds_read_b128 v[20:23], v12 offset:512
	ds_read2_b32 v[34:35], v11 offset0:32 offset1:48
	ds_read2_b32 v[36:37], v11 offset0:64 offset1:80
	ds_read2_b32 v[38:39], v11 offset0:96 offset1:112
	ds_read_b128 v[24:27], v12 offset:16
	ds_read2_b32 v[40:41], v11 offset0:128 offset1:144
	ds_read_b128 v[28:31], v12 offset:528
	ds_read2_b32 v[42:43], v11 offset0:160 offset1:176
	s_add_u32 s14, s14, 8
	s_addc_u32 s15, s15, 0
	v_add_co_u32 v2, vcc_lo, v2, s12
	v_cmp_lt_i64_e64 s9, s[14:15], s[10:11]
	v_add_co_ci_u32_e64 v3, null, s13, v3, vcc_lo
	v_add_co_u32 v4, vcc_lo, v4, 16
	v_add_co_ci_u32_e64 v5, null, 0, v5, vcc_lo
	s_waitcnt lgkmcnt(8)
	v_fmac_f32_e32 v10, v32, v16
	v_fmac_f32_e32 v9, v33, v16
	s_waitcnt lgkmcnt(7)
	v_fmac_f32_e32 v8, v32, v20
	v_fmac_f32_e32 v7, v33, v20
	ds_read2_b32 v[32:33], v11 offset0:192 offset1:208
	s_waitcnt lgkmcnt(7)
	v_fmac_f32_e32 v10, v34, v17
	v_fmac_f32_e32 v9, v35, v17
	;; [unrolled: 1-line block ×4, first 2 shown]
	ds_read2_b32 v[16:17], v11 offset0:224 offset1:240
	s_waitcnt lgkmcnt(7)
	v_fmac_f32_e32 v10, v36, v18
	v_fmac_f32_e32 v9, v37, v18
	;; [unrolled: 1-line block ×4, first 2 shown]
	s_and_b32 vcc_lo, exec_lo, s9
	s_waitcnt lgkmcnt(6)
	v_fmac_f32_e32 v10, v38, v19
	v_fmac_f32_e32 v9, v39, v19
	;; [unrolled: 1-line block ×4, first 2 shown]
	s_waitcnt lgkmcnt(0)
	v_fmac_f32_e32 v10, v40, v24
	v_fmac_f32_e32 v9, v41, v24
	;; [unrolled: 1-line block ×4, first 2 shown]
	s_barrier
	v_fmac_f32_e32 v10, v42, v25
	v_fmac_f32_e32 v9, v43, v25
	;; [unrolled: 1-line block ×4, first 2 shown]
	buffer_gl0_inv
	v_fmac_f32_e32 v10, v32, v26
	v_fmac_f32_e32 v9, v33, v26
	;; [unrolled: 1-line block ×8, first 2 shown]
	s_cbranch_vccz .LBB442_7
.LBB442_3:                              ; =>This Inner Loop Header: Depth=1
	v_add_co_u32 v16, s9, v13, s14
	v_add_co_ci_u32_e64 v17, null, 0, s15, s9
	v_cmp_gt_i64_e32 vcc_lo, s[10:11], v[16:17]
	v_mov_b32_e32 v16, 0
	s_and_b32 s16, s0, vcc_lo
	s_and_saveexec_b32 s9, s16
	s_cbranch_execz .LBB442_5
; %bb.4:                                ;   in Loop: Header=BB442_3 Depth=1
	global_load_ushort v16, v[4:5], off
	s_waitcnt vmcnt(0)
	v_lshlrev_b32_e32 v16, 16, v16
.LBB442_5:                              ;   in Loop: Header=BB442_3 Depth=1
	s_or_b32 exec_lo, exec_lo, s9
	v_add_co_u32 v17, s9, v6, s14
	v_add_co_ci_u32_e64 v18, null, 0, s15, s9
	ds_write_b32 v14, v16
	v_cmp_gt_i64_e32 vcc_lo, s[10:11], v[17:18]
	v_mov_b32_e32 v17, 0
	s_and_b32 s16, vcc_lo, s1
	s_and_saveexec_b32 s9, s16
	s_cbranch_execz .LBB442_2
; %bb.6:                                ;   in Loop: Header=BB442_3 Depth=1
	global_load_ushort v16, v[2:3], off
	s_waitcnt vmcnt(0)
	v_lshlrev_b32_e32 v17, 16, v16
	s_branch .LBB442_2
.LBB442_7:
	s_clause 0x3
	s_load_dwordx4 s[24:27], s[4:5], 0x78
	s_load_dword s9, s[4:5], 0x50
	s_load_dwordx8 s[12:19], s[4:5], 0x58
	s_load_dword s4, s[4:5], 0x18
	v_add_co_u32 v1, s0, s2, v1
	v_add_co_ci_u32_e64 v2, null, s3, 0, s0
	s_waitcnt lgkmcnt(0)
	s_mul_i32 s1, s27, s8
	s_mul_hi_u32 s2, s26, s8
	s_mul_i32 s0, s26, s8
	s_add_i32 s1, s2, s1
	v_cmp_neq_f32_e64 s2, s9, 0
	s_lshl_b64 s[10:11], s[0:1], 1
	v_cmp_gt_i64_e64 s0, s[22:23], v[1:2]
	s_add_u32 s3, s18, s10
	s_addc_u32 s5, s19, s11
	s_and_b32 vcc_lo, exec_lo, s2
	s_cbranch_vccnz .LBB442_28
; %bb.8:
	s_and_saveexec_b32 s10, s0
	s_cbranch_execz .LBB442_26
; %bb.9:
	v_mul_lo_u32 v3, v2, s24
	v_mul_lo_u32 v4, v1, s25
	v_mad_u64_u32 v[5:6], null, v1, s24, 0
	v_add3_u32 v6, v6, v4, v3
	v_add_co_u32 v3, s1, s6, v0
	v_add_co_ci_u32_e64 v4, null, s7, 0, s1
	v_lshlrev_b64 v[5:6], 1, v[5:6]
	v_cmp_gt_i64_e32 vcc_lo, s[20:21], v[3:4]
	v_add_co_u32 v5, s1, s3, v5
	v_add_co_ci_u32_e64 v6, null, s5, v6, s1
	s_and_saveexec_b32 s2, vcc_lo
	s_cbranch_execz .LBB442_15
; %bb.10:
	v_mul_f32_e32 v12, s4, v10
	v_and_b32_e32 v11, 0x7f800000, v12
	v_cmp_ne_u32_e64 s1, 0x7f800000, v11
                                        ; implicit-def: $vgpr11
	s_and_saveexec_b32 s11, s1
	s_xor_b32 s1, exec_lo, s11
; %bb.11:
	v_bfe_u32 v11, v12, 16, 1
	v_add3_u32 v11, v12, v11, 0x7fff
                                        ; implicit-def: $vgpr12
; %bb.12:
	s_andn2_saveexec_b32 s11, s1
; %bb.13:
	v_mov_b32_e32 v11, 0
	v_or_b32_e32 v13, 0x10000, v12
	v_cmp_eq_u32_sdwa s1, v12, v11 src0_sel:WORD_0 src1_sel:DWORD
	v_cndmask_b32_e64 v11, v13, v12, s1
; %bb.14:
	s_or_b32 exec_lo, exec_lo, s11
	v_lshlrev_b64 v[12:13], 1, v[3:4]
	v_add_co_u32 v12, s1, v5, v12
	v_add_co_ci_u32_e64 v13, null, v6, v13, s1
	global_store_short_d16_hi v[12:13], v11, off
.LBB442_15:
	s_or_b32 exec_lo, exec_lo, s2
	v_add_co_u32 v11, s1, v3, 16
	v_add_co_ci_u32_e64 v12, null, 0, v4, s1
	v_cmp_gt_i64_e64 s1, s[20:21], v[11:12]
	s_and_saveexec_b32 s11, s1
	s_cbranch_execz .LBB442_21
; %bb.16:
	v_mul_f32_e32 v12, s4, v9
	v_and_b32_e32 v11, 0x7f800000, v12
	v_cmp_ne_u32_e64 s2, 0x7f800000, v11
                                        ; implicit-def: $vgpr11
	s_and_saveexec_b32 s18, s2
	s_xor_b32 s2, exec_lo, s18
; %bb.17:
	v_bfe_u32 v11, v12, 16, 1
	v_add3_u32 v11, v12, v11, 0x7fff
                                        ; implicit-def: $vgpr12
; %bb.18:
	s_andn2_saveexec_b32 s18, s2
; %bb.19:
	v_mov_b32_e32 v11, 0
	v_or_b32_e32 v13, 0x10000, v12
	v_cmp_eq_u32_sdwa s2, v12, v11 src0_sel:WORD_0 src1_sel:DWORD
	v_cndmask_b32_e64 v11, v13, v12, s2
; %bb.20:
	s_or_b32 exec_lo, exec_lo, s18
	v_lshlrev_b64 v[12:13], 1, v[3:4]
	v_add_co_u32 v12, s2, v5, v12
	v_add_co_ci_u32_e64 v13, null, v6, v13, s2
	global_store_short_d16_hi v[12:13], v11, off offset:32
.LBB442_21:
	s_or_b32 exec_lo, exec_lo, s11
	v_add_co_u32 v11, s2, v1, 16
	v_add_co_ci_u32_e64 v12, null, 0, v2, s2
	v_cmp_gt_i64_e64 s2, s[22:23], v[11:12]
	s_and_b32 exec_lo, exec_lo, s2
	s_cbranch_execz .LBB442_26
; %bb.22:
	s_lshl_b64 s[18:19], s[24:25], 5
	v_lshlrev_b64 v[3:4], 1, v[3:4]
	v_add_co_u32 v5, s2, v5, s18
	v_add_co_ci_u32_e64 v6, null, s19, v6, s2
	v_add_co_u32 v3, s2, v5, v3
	v_add_co_ci_u32_e64 v4, null, v6, v4, s2
	s_and_saveexec_b32 s2, vcc_lo
	s_cbranch_execz .LBB442_24
; %bb.23:
	v_mul_f32_e32 v5, s4, v8
	v_mov_b32_e32 v11, 0
	v_bfe_u32 v6, v5, 16, 1
	v_or_b32_e32 v12, 0x10000, v5
	v_and_b32_e32 v13, 0x7f800000, v5
	v_cmp_eq_u32_sdwa vcc_lo, v5, v11 src0_sel:WORD_0 src1_sel:DWORD
	v_add3_u32 v6, v5, v6, 0x7fff
	v_cndmask_b32_e32 v5, v12, v5, vcc_lo
	v_cmp_eq_u32_e32 vcc_lo, 0x7f800000, v13
	v_cndmask_b32_e32 v5, v6, v5, vcc_lo
	global_store_short_d16_hi v[3:4], v5, off
.LBB442_24:
	s_or_b32 exec_lo, exec_lo, s2
	s_and_b32 exec_lo, exec_lo, s1
	s_cbranch_execz .LBB442_26
; %bb.25:
	v_mul_f32_e32 v5, s4, v7
	v_mov_b32_e32 v11, 0
	v_bfe_u32 v6, v5, 16, 1
	v_or_b32_e32 v12, 0x10000, v5
	v_and_b32_e32 v13, 0x7f800000, v5
	v_cmp_eq_u32_sdwa vcc_lo, v5, v11 src0_sel:WORD_0 src1_sel:DWORD
	v_add3_u32 v6, v5, v6, 0x7fff
	v_cndmask_b32_e32 v5, v12, v5, vcc_lo
	v_cmp_eq_u32_e32 vcc_lo, 0x7f800000, v13
	v_cndmask_b32_e32 v5, v6, v5, vcc_lo
	global_store_short_d16_hi v[3:4], v5, off offset:32
.LBB442_26:
	s_or_b32 exec_lo, exec_lo, s10
	s_cbranch_execz .LBB442_29
.LBB442_27:
	s_endpgm
.LBB442_28:
.LBB442_29:
	s_and_saveexec_b32 s1, s0
	s_cbranch_execz .LBB442_27
; %bb.30:
	v_mul_lo_u32 v5, v2, s14
	v_mul_lo_u32 v6, v1, s15
	v_mad_u64_u32 v[3:4], null, v1, s14, 0
	v_mul_lo_u32 v13, v2, s24
	v_mul_lo_u32 v14, v1, s25
	v_mad_u64_u32 v[11:12], null, v1, s24, 0
	s_mul_i32 s0, s17, s8
	s_mul_hi_u32 s1, s16, s8
	v_add3_u32 v4, v4, v6, v5
	s_add_i32 s1, s1, s0
	s_mul_i32 s0, s16, s8
	v_add_co_u32 v5, s2, s6, v0
	v_add3_u32 v12, v12, v14, v13
	v_lshlrev_b64 v[3:4], 1, v[3:4]
	s_lshl_b64 s[0:1], s[0:1], 1
	v_add_co_ci_u32_e64 v6, null, s7, 0, s2
	v_lshlrev_b64 v[12:13], 1, v[11:12]
	s_add_u32 s0, s12, s0
	s_addc_u32 s1, s13, s1
	v_add_co_u32 v0, s0, s0, v3
	v_add_co_ci_u32_e64 v11, null, s1, v4, s0
	v_add_co_u32 v12, s0, s3, v12
	v_cmp_gt_i64_e32 vcc_lo, s[20:21], v[5:6]
	v_lshlrev_b64 v[3:4], 1, v[5:6]
	v_add_co_ci_u32_e64 v13, null, s5, v13, s0
	s_and_saveexec_b32 s1, vcc_lo
	s_cbranch_execz .LBB442_40
; %bb.31:
	v_add_co_u32 v14, s0, v0, v3
	v_add_co_ci_u32_e64 v15, null, v11, v4, s0
	global_load_ushort v14, v[14:15], off
	s_waitcnt vmcnt(0)
	v_lshlrev_b32_e32 v14, 16, v14
	v_mul_f32_e32 v14, s9, v14
	v_and_b32_e32 v15, 0x7f800000, v14
	v_cmp_ne_u32_e64 s0, 0x7f800000, v15
                                        ; implicit-def: $vgpr15
	s_and_saveexec_b32 s2, s0
	s_xor_b32 s0, exec_lo, s2
; %bb.32:
	v_bfe_u32 v15, v14, 16, 1
	v_add3_u32 v15, v14, v15, 0x7fff
                                        ; implicit-def: $vgpr14
; %bb.33:
	s_andn2_saveexec_b32 s2, s0
; %bb.34:
	v_mov_b32_e32 v15, 0
	v_or_b32_e32 v16, 0x10000, v14
	v_cmp_eq_u32_sdwa s0, v14, v15 src0_sel:WORD_0 src1_sel:DWORD
	v_cndmask_b32_e64 v15, v16, v14, s0
; %bb.35:
	s_or_b32 exec_lo, exec_lo, s2
	v_and_b32_e32 v14, 0xffff0000, v15
	v_fmac_f32_e32 v14, s4, v10
	v_and_b32_e32 v10, 0x7f800000, v14
	v_cmp_ne_u32_e64 s0, 0x7f800000, v10
                                        ; implicit-def: $vgpr10
	s_and_saveexec_b32 s2, s0
	s_xor_b32 s0, exec_lo, s2
; %bb.36:
	v_bfe_u32 v10, v14, 16, 1
	v_add3_u32 v10, v14, v10, 0x7fff
                                        ; implicit-def: $vgpr14
; %bb.37:
	s_andn2_saveexec_b32 s2, s0
; %bb.38:
	v_mov_b32_e32 v10, 0
	v_or_b32_e32 v15, 0x10000, v14
	v_cmp_eq_u32_sdwa s0, v14, v10 src0_sel:WORD_0 src1_sel:DWORD
	v_cndmask_b32_e64 v10, v15, v14, s0
; %bb.39:
	s_or_b32 exec_lo, exec_lo, s2
	v_add_co_u32 v14, s0, v12, v3
	v_add_co_ci_u32_e64 v15, null, v13, v4, s0
	global_store_short_d16_hi v[14:15], v10, off
.LBB442_40:
	s_or_b32 exec_lo, exec_lo, s1
	v_add_co_u32 v5, s0, v5, 16
	v_add_co_ci_u32_e64 v6, null, 0, v6, s0
	v_cmp_gt_i64_e64 s0, s[20:21], v[5:6]
	s_and_saveexec_b32 s2, s0
	s_cbranch_execz .LBB442_50
; %bb.41:
	v_add_co_u32 v5, s1, v0, v3
	v_add_co_ci_u32_e64 v6, null, v11, v4, s1
	global_load_ushort v5, v[5:6], off offset:32
	s_waitcnt vmcnt(0)
	v_lshlrev_b32_e32 v5, 16, v5
	v_mul_f32_e32 v5, s9, v5
	v_and_b32_e32 v6, 0x7f800000, v5
	v_cmp_ne_u32_e64 s1, 0x7f800000, v6
                                        ; implicit-def: $vgpr6
	s_and_saveexec_b32 s3, s1
	s_xor_b32 s1, exec_lo, s3
; %bb.42:
	v_bfe_u32 v6, v5, 16, 1
	v_add3_u32 v6, v5, v6, 0x7fff
                                        ; implicit-def: $vgpr5
; %bb.43:
	s_andn2_saveexec_b32 s3, s1
; %bb.44:
	v_mov_b32_e32 v6, 0
	v_or_b32_e32 v10, 0x10000, v5
	v_cmp_eq_u32_sdwa s1, v5, v6 src0_sel:WORD_0 src1_sel:DWORD
	v_cndmask_b32_e64 v6, v10, v5, s1
; %bb.45:
	s_or_b32 exec_lo, exec_lo, s3
	v_and_b32_e32 v5, 0xffff0000, v6
	v_fmac_f32_e32 v5, s4, v9
	v_and_b32_e32 v6, 0x7f800000, v5
	v_cmp_ne_u32_e64 s1, 0x7f800000, v6
                                        ; implicit-def: $vgpr6
	s_and_saveexec_b32 s3, s1
	s_xor_b32 s1, exec_lo, s3
; %bb.46:
	v_bfe_u32 v6, v5, 16, 1
	v_add3_u32 v6, v5, v6, 0x7fff
                                        ; implicit-def: $vgpr5
; %bb.47:
	s_andn2_saveexec_b32 s3, s1
; %bb.48:
	v_mov_b32_e32 v6, 0
	v_or_b32_e32 v9, 0x10000, v5
	v_cmp_eq_u32_sdwa s1, v5, v6 src0_sel:WORD_0 src1_sel:DWORD
	v_cndmask_b32_e64 v6, v9, v5, s1
; %bb.49:
	s_or_b32 exec_lo, exec_lo, s3
	v_add_co_u32 v9, s1, v12, v3
	v_add_co_ci_u32_e64 v10, null, v13, v4, s1
	global_store_short_d16_hi v[9:10], v6, off offset:32
.LBB442_50:
	s_or_b32 exec_lo, exec_lo, s2
	v_add_co_u32 v1, s1, v1, 16
	v_add_co_ci_u32_e64 v2, null, 0, v2, s1
	v_cmp_gt_i64_e64 s1, s[22:23], v[1:2]
	s_and_b32 exec_lo, exec_lo, s1
	s_cbranch_execz .LBB442_27
; %bb.51:
	s_lshl_b64 s[2:3], s[14:15], 5
	v_add_co_u32 v0, s1, v0, s2
	v_add_co_ci_u32_e64 v1, null, s3, v11, s1
	s_lshl_b64 s[2:3], s[24:25], 5
	v_add_co_u32 v2, s1, v12, s2
	v_add_co_ci_u32_e64 v9, null, s3, v13, s1
	v_add_co_u32 v5, s1, v0, v3
	v_add_co_ci_u32_e64 v6, null, v1, v4, s1
	;; [unrolled: 2-line block ×3, first 2 shown]
	s_and_saveexec_b32 s1, vcc_lo
	s_cbranch_execz .LBB442_61
; %bb.52:
	global_load_ushort v2, v[5:6], off
	s_waitcnt vmcnt(0)
	v_lshlrev_b32_e32 v2, 16, v2
	v_mul_f32_e32 v2, s9, v2
	v_and_b32_e32 v3, 0x7f800000, v2
	v_cmp_ne_u32_e32 vcc_lo, 0x7f800000, v3
                                        ; implicit-def: $vgpr3
	s_and_saveexec_b32 s2, vcc_lo
	s_xor_b32 s2, exec_lo, s2
; %bb.53:
	v_bfe_u32 v3, v2, 16, 1
	v_add3_u32 v3, v2, v3, 0x7fff
                                        ; implicit-def: $vgpr2
; %bb.54:
	s_andn2_saveexec_b32 s2, s2
; %bb.55:
	v_mov_b32_e32 v3, 0
	v_or_b32_e32 v4, 0x10000, v2
	v_cmp_eq_u32_sdwa vcc_lo, v2, v3 src0_sel:WORD_0 src1_sel:DWORD
	v_cndmask_b32_e32 v3, v4, v2, vcc_lo
; %bb.56:
	s_or_b32 exec_lo, exec_lo, s2
	v_and_b32_e32 v2, 0xffff0000, v3
	v_fmac_f32_e32 v2, s4, v8
	v_and_b32_e32 v3, 0x7f800000, v2
	v_cmp_ne_u32_e32 vcc_lo, 0x7f800000, v3
                                        ; implicit-def: $vgpr3
	s_and_saveexec_b32 s2, vcc_lo
	s_xor_b32 s2, exec_lo, s2
; %bb.57:
	v_bfe_u32 v3, v2, 16, 1
	v_add3_u32 v3, v2, v3, 0x7fff
                                        ; implicit-def: $vgpr2
; %bb.58:
	s_andn2_saveexec_b32 s2, s2
; %bb.59:
	v_mov_b32_e32 v3, 0
	v_or_b32_e32 v4, 0x10000, v2
	v_cmp_eq_u32_sdwa vcc_lo, v2, v3 src0_sel:WORD_0 src1_sel:DWORD
	v_cndmask_b32_e32 v3, v4, v2, vcc_lo
; %bb.60:
	s_or_b32 exec_lo, exec_lo, s2
	global_store_short_d16_hi v[0:1], v3, off
.LBB442_61:
	s_or_b32 exec_lo, exec_lo, s1
	s_and_b32 exec_lo, exec_lo, s0
	s_cbranch_execz .LBB442_27
; %bb.62:
	global_load_ushort v2, v[5:6], off offset:32
	s_waitcnt vmcnt(0)
	v_lshlrev_b32_e32 v2, 16, v2
	v_mul_f32_e32 v2, s9, v2
	v_and_b32_e32 v3, 0x7f800000, v2
	v_cmp_ne_u32_e32 vcc_lo, 0x7f800000, v3
                                        ; implicit-def: $vgpr3
	s_and_saveexec_b32 s0, vcc_lo
	s_xor_b32 s0, exec_lo, s0
; %bb.63:
	v_bfe_u32 v3, v2, 16, 1
	v_add3_u32 v3, v2, v3, 0x7fff
                                        ; implicit-def: $vgpr2
; %bb.64:
	s_andn2_saveexec_b32 s0, s0
; %bb.65:
	v_mov_b32_e32 v3, 0
	v_or_b32_e32 v4, 0x10000, v2
	v_cmp_eq_u32_sdwa vcc_lo, v2, v3 src0_sel:WORD_0 src1_sel:DWORD
	v_cndmask_b32_e32 v3, v4, v2, vcc_lo
; %bb.66:
	s_or_b32 exec_lo, exec_lo, s0
	v_and_b32_e32 v2, 0xffff0000, v3
	v_fmac_f32_e32 v2, s4, v7
	v_and_b32_e32 v3, 0x7f800000, v2
	v_cmp_ne_u32_e32 vcc_lo, 0x7f800000, v3
                                        ; implicit-def: $vgpr3
	s_and_saveexec_b32 s0, vcc_lo
	s_xor_b32 s0, exec_lo, s0
; %bb.67:
	v_bfe_u32 v3, v2, 16, 1
	v_add3_u32 v3, v2, v3, 0x7fff
                                        ; implicit-def: $vgpr2
; %bb.68:
	s_andn2_saveexec_b32 s0, s0
; %bb.69:
	v_mov_b32_e32 v3, 0
	v_or_b32_e32 v4, 0x10000, v2
	v_cmp_eq_u32_sdwa vcc_lo, v2, v3 src0_sel:WORD_0 src1_sel:DWORD
	v_cndmask_b32_e32 v3, v4, v2, vcc_lo
; %bb.70:
	s_or_b32 exec_lo, exec_lo, s0
	global_store_short_d16_hi v[0:1], v3, off offset:32
	s_endpgm
	.section	.rodata,"a",@progbits
	.p2align	6, 0x0
	.amdhsa_kernel _ZN12_GLOBAL__N_135rocblas_gemm_batched_general_kernelIfLi16ELi16ELi32ELi32ELi8ELi32ELi8ELi8ELi32ELc67ELc84EK16rocblas_bfloat16S2_S1_EEvlllT_PT11_llS5_llS3_PT12_llPT13_lli
		.amdhsa_group_segment_fixed_size 2048
		.amdhsa_private_segment_fixed_size 0
		.amdhsa_kernarg_size 140
		.amdhsa_user_sgpr_count 6
		.amdhsa_user_sgpr_private_segment_buffer 1
		.amdhsa_user_sgpr_dispatch_ptr 0
		.amdhsa_user_sgpr_queue_ptr 0
		.amdhsa_user_sgpr_kernarg_segment_ptr 1
		.amdhsa_user_sgpr_dispatch_id 0
		.amdhsa_user_sgpr_flat_scratch_init 0
		.amdhsa_user_sgpr_private_segment_size 0
		.amdhsa_wavefront_size32 1
		.amdhsa_uses_dynamic_stack 0
		.amdhsa_system_sgpr_private_segment_wavefront_offset 0
		.amdhsa_system_sgpr_workgroup_id_x 1
		.amdhsa_system_sgpr_workgroup_id_y 1
		.amdhsa_system_sgpr_workgroup_id_z 1
		.amdhsa_system_sgpr_workgroup_info 0
		.amdhsa_system_vgpr_workitem_id 1
		.amdhsa_next_free_vgpr 44
		.amdhsa_next_free_sgpr 30
		.amdhsa_reserve_vcc 1
		.amdhsa_reserve_flat_scratch 0
		.amdhsa_float_round_mode_32 0
		.amdhsa_float_round_mode_16_64 0
		.amdhsa_float_denorm_mode_32 3
		.amdhsa_float_denorm_mode_16_64 3
		.amdhsa_dx10_clamp 1
		.amdhsa_ieee_mode 1
		.amdhsa_fp16_overflow 0
		.amdhsa_workgroup_processor_mode 1
		.amdhsa_memory_ordered 1
		.amdhsa_forward_progress 1
		.amdhsa_shared_vgpr_count 0
		.amdhsa_exception_fp_ieee_invalid_op 0
		.amdhsa_exception_fp_denorm_src 0
		.amdhsa_exception_fp_ieee_div_zero 0
		.amdhsa_exception_fp_ieee_overflow 0
		.amdhsa_exception_fp_ieee_underflow 0
		.amdhsa_exception_fp_ieee_inexact 0
		.amdhsa_exception_int_div_zero 0
	.end_amdhsa_kernel
	.section	.text._ZN12_GLOBAL__N_135rocblas_gemm_batched_general_kernelIfLi16ELi16ELi32ELi32ELi8ELi32ELi8ELi8ELi32ELc67ELc84EK16rocblas_bfloat16S2_S1_EEvlllT_PT11_llS5_llS3_PT12_llPT13_lli,"axG",@progbits,_ZN12_GLOBAL__N_135rocblas_gemm_batched_general_kernelIfLi16ELi16ELi32ELi32ELi8ELi32ELi8ELi8ELi32ELc67ELc84EK16rocblas_bfloat16S2_S1_EEvlllT_PT11_llS5_llS3_PT12_llPT13_lli,comdat
.Lfunc_end442:
	.size	_ZN12_GLOBAL__N_135rocblas_gemm_batched_general_kernelIfLi16ELi16ELi32ELi32ELi8ELi32ELi8ELi8ELi32ELc67ELc84EK16rocblas_bfloat16S2_S1_EEvlllT_PT11_llS5_llS3_PT12_llPT13_lli, .Lfunc_end442-_ZN12_GLOBAL__N_135rocblas_gemm_batched_general_kernelIfLi16ELi16ELi32ELi32ELi8ELi32ELi8ELi8ELi32ELc67ELc84EK16rocblas_bfloat16S2_S1_EEvlllT_PT11_llS5_llS3_PT12_llPT13_lli
                                        ; -- End function
	.set _ZN12_GLOBAL__N_135rocblas_gemm_batched_general_kernelIfLi16ELi16ELi32ELi32ELi8ELi32ELi8ELi8ELi32ELc67ELc84EK16rocblas_bfloat16S2_S1_EEvlllT_PT11_llS5_llS3_PT12_llPT13_lli.num_vgpr, 44
	.set _ZN12_GLOBAL__N_135rocblas_gemm_batched_general_kernelIfLi16ELi16ELi32ELi32ELi8ELi32ELi8ELi8ELi32ELc67ELc84EK16rocblas_bfloat16S2_S1_EEvlllT_PT11_llS5_llS3_PT12_llPT13_lli.num_agpr, 0
	.set _ZN12_GLOBAL__N_135rocblas_gemm_batched_general_kernelIfLi16ELi16ELi32ELi32ELi8ELi32ELi8ELi8ELi32ELc67ELc84EK16rocblas_bfloat16S2_S1_EEvlllT_PT11_llS5_llS3_PT12_llPT13_lli.numbered_sgpr, 30
	.set _ZN12_GLOBAL__N_135rocblas_gemm_batched_general_kernelIfLi16ELi16ELi32ELi32ELi8ELi32ELi8ELi8ELi32ELc67ELc84EK16rocblas_bfloat16S2_S1_EEvlllT_PT11_llS5_llS3_PT12_llPT13_lli.num_named_barrier, 0
	.set _ZN12_GLOBAL__N_135rocblas_gemm_batched_general_kernelIfLi16ELi16ELi32ELi32ELi8ELi32ELi8ELi8ELi32ELc67ELc84EK16rocblas_bfloat16S2_S1_EEvlllT_PT11_llS5_llS3_PT12_llPT13_lli.private_seg_size, 0
	.set _ZN12_GLOBAL__N_135rocblas_gemm_batched_general_kernelIfLi16ELi16ELi32ELi32ELi8ELi32ELi8ELi8ELi32ELc67ELc84EK16rocblas_bfloat16S2_S1_EEvlllT_PT11_llS5_llS3_PT12_llPT13_lli.uses_vcc, 1
	.set _ZN12_GLOBAL__N_135rocblas_gemm_batched_general_kernelIfLi16ELi16ELi32ELi32ELi8ELi32ELi8ELi8ELi32ELc67ELc84EK16rocblas_bfloat16S2_S1_EEvlllT_PT11_llS5_llS3_PT12_llPT13_lli.uses_flat_scratch, 0
	.set _ZN12_GLOBAL__N_135rocblas_gemm_batched_general_kernelIfLi16ELi16ELi32ELi32ELi8ELi32ELi8ELi8ELi32ELc67ELc84EK16rocblas_bfloat16S2_S1_EEvlllT_PT11_llS5_llS3_PT12_llPT13_lli.has_dyn_sized_stack, 0
	.set _ZN12_GLOBAL__N_135rocblas_gemm_batched_general_kernelIfLi16ELi16ELi32ELi32ELi8ELi32ELi8ELi8ELi32ELc67ELc84EK16rocblas_bfloat16S2_S1_EEvlllT_PT11_llS5_llS3_PT12_llPT13_lli.has_recursion, 0
	.set _ZN12_GLOBAL__N_135rocblas_gemm_batched_general_kernelIfLi16ELi16ELi32ELi32ELi8ELi32ELi8ELi8ELi32ELc67ELc84EK16rocblas_bfloat16S2_S1_EEvlllT_PT11_llS5_llS3_PT12_llPT13_lli.has_indirect_call, 0
	.section	.AMDGPU.csdata,"",@progbits
; Kernel info:
; codeLenInByte = 2900
; TotalNumSgprs: 32
; NumVgprs: 44
; ScratchSize: 0
; MemoryBound: 0
; FloatMode: 240
; IeeeMode: 1
; LDSByteSize: 2048 bytes/workgroup (compile time only)
; SGPRBlocks: 0
; VGPRBlocks: 5
; NumSGPRsForWavesPerEU: 32
; NumVGPRsForWavesPerEU: 44
; Occupancy: 16
; WaveLimiterHint : 0
; COMPUTE_PGM_RSRC2:SCRATCH_EN: 0
; COMPUTE_PGM_RSRC2:USER_SGPR: 6
; COMPUTE_PGM_RSRC2:TRAP_HANDLER: 0
; COMPUTE_PGM_RSRC2:TGID_X_EN: 1
; COMPUTE_PGM_RSRC2:TGID_Y_EN: 1
; COMPUTE_PGM_RSRC2:TGID_Z_EN: 1
; COMPUTE_PGM_RSRC2:TIDIG_COMP_CNT: 1
	.section	.text._ZN12_GLOBAL__N_135rocblas_gemm_batched_general_kernelIfLi16ELi16ELi32ELi32ELi8ELi32ELi8ELi8ELi32ELc78ELc67EK16rocblas_bfloat16S2_S1_EEvlllT_PT11_llS5_llS3_PT12_llPT13_lli,"axG",@progbits,_ZN12_GLOBAL__N_135rocblas_gemm_batched_general_kernelIfLi16ELi16ELi32ELi32ELi8ELi32ELi8ELi8ELi32ELc78ELc67EK16rocblas_bfloat16S2_S1_EEvlllT_PT11_llS5_llS3_PT12_llPT13_lli,comdat
	.globl	_ZN12_GLOBAL__N_135rocblas_gemm_batched_general_kernelIfLi16ELi16ELi32ELi32ELi8ELi32ELi8ELi8ELi32ELc78ELc67EK16rocblas_bfloat16S2_S1_EEvlllT_PT11_llS5_llS3_PT12_llPT13_lli ; -- Begin function _ZN12_GLOBAL__N_135rocblas_gemm_batched_general_kernelIfLi16ELi16ELi32ELi32ELi8ELi32ELi8ELi8ELi32ELc78ELc67EK16rocblas_bfloat16S2_S1_EEvlllT_PT11_llS5_llS3_PT12_llPT13_lli
	.p2align	8
	.type	_ZN12_GLOBAL__N_135rocblas_gemm_batched_general_kernelIfLi16ELi16ELi32ELi32ELi8ELi32ELi8ELi8ELi32ELc78ELc67EK16rocblas_bfloat16S2_S1_EEvlllT_PT11_llS5_llS3_PT12_llPT13_lli,@function
_ZN12_GLOBAL__N_135rocblas_gemm_batched_general_kernelIfLi16ELi16ELi32ELi32ELi8ELi32ELi8ELi8ELi32ELc78ELc67EK16rocblas_bfloat16S2_S1_EEvlllT_PT11_llS5_llS3_PT12_llPT13_lli: ; @_ZN12_GLOBAL__N_135rocblas_gemm_batched_general_kernelIfLi16ELi16ELi32ELi32ELi8ELi32ELi8ELi8ELi32ELc78ELc67EK16rocblas_bfloat16S2_S1_EEvlllT_PT11_llS5_llS3_PT12_llPT13_lli
; %bb.0:
	s_clause 0x1
	s_load_dwordx2 s[28:29], s[4:5], 0x10
	s_load_dwordx4 s[20:23], s[4:5], 0x0
	s_mov_b32 s0, s7
	v_mov_b32_e32 v10, 0
	v_mov_b32_e32 v9, 0
	;; [unrolled: 1-line block ×4, first 2 shown]
	s_ashr_i32 s7, s6, 31
	s_ashr_i32 s1, s0, 31
	s_lshl_b64 s[10:11], s[6:7], 5
	s_waitcnt lgkmcnt(0)
	v_cmp_lt_i64_e64 s2, s[28:29], 1
	s_and_b32 vcc_lo, exec_lo, s2
	s_lshl_b64 s[2:3], s[0:1], 5
	s_cbranch_vccnz .LBB443_7
; %bb.1:
	s_clause 0x1
	s_load_dwordx4 s[24:27], s[4:5], 0x40
	s_load_dwordx8 s[12:19], s[4:5], 0x20
	v_lshl_add_u32 v2, v1, 4, v0
	v_and_b32_e32 v6, 7, v0
	v_mov_b32_e32 v3, s11
	s_lshl_b64 s[30:31], s[0:1], 6
	v_mov_b32_e32 v7, 0
	v_and_b32_e32 v10, 31, v2
	v_lshrrev_b32_e32 v14, 3, v2
	v_lshrrev_b32_e32 v13, 5, v2
	v_lshlrev_b32_e32 v15, 2, v6
	v_lshlrev_b32_e32 v11, 2, v0
	v_or_b32_e32 v2, s10, v10
	v_lshlrev_b32_e32 v16, 2, v10
	v_add_co_u32 v8, s0, v14, s2
	v_add_co_ci_u32_e64 v9, null, 0, s3, s0
	v_lshl_or_b32 v15, v14, 5, v15
	v_lshlrev_b32_e32 v18, 1, v14
	s_waitcnt lgkmcnt(0)
	v_mad_u64_u32 v[4:5], null, s24, v6, 0
	v_cmp_gt_i64_e64 s0, s[20:21], v[2:3]
	v_lshl_or_b32 v14, v13, 7, v16
	v_mad_u64_u32 v[16:17], null, s14, v13, 0
	s_mul_i32 s9, s27, s8
	s_mul_hi_u32 s27, s26, s8
	v_mov_b32_e32 v2, v5
	s_mul_i32 s26, s26, s8
	s_add_i32 s27, s27, s9
	s_mul_i32 s17, s17, s8
	s_lshl_b64 s[26:27], s[26:27], 1
	v_mad_u64_u32 v[2:3], null, s25, v6, v[2:3]
	v_mov_b32_e32 v3, v17
	s_mul_hi_u32 s33, s16, s8
	s_add_u32 s9, s30, s26
	s_mul_i32 s16, s16, s8
	s_addc_u32 s26, s31, s27
	s_add_i32 s17, s33, s17
	v_mov_b32_e32 v5, v2
	v_mad_u64_u32 v[2:3], null, s15, v13, v[3:4]
	s_lshl_b64 s[16:17], s[16:17], 1
	v_cmp_gt_i64_e64 s1, s[22:23], v[8:9]
	v_lshlrev_b64 v[3:4], 1, v[4:5]
	v_lshlrev_b32_e32 v8, 1, v10
	v_lshl_add_u32 v12, v1, 5, 0x400
	v_add_nc_u32_e32 v15, 0x400, v15
	v_mov_b32_e32 v17, v2
	v_mov_b32_e32 v10, 0
	v_add_co_u32 v5, vcc_lo, s9, v3
	v_add_co_ci_u32_e64 v4, null, s26, v4, vcc_lo
	v_lshlrev_b64 v[2:3], 1, v[16:17]
	s_lshl_b64 s[26:27], s[6:7], 6
	s_lshl_b64 s[6:7], s[24:25], 4
	s_add_u32 s9, s26, s16
	s_addc_u32 s16, s27, s17
	v_add_co_u32 v2, vcc_lo, s9, v2
	v_add_co_ci_u32_e64 v3, null, s16, v3, vcc_lo
	v_add_co_u32 v5, vcc_lo, v5, v18
	v_add_co_ci_u32_e64 v4, null, 0, v4, vcc_lo
	;; [unrolled: 2-line block ×5, first 2 shown]
	v_mov_b32_e32 v8, 0
	v_mov_b32_e32 v9, 0
	s_lshl_b64 s[12:13], s[14:15], 4
	s_mov_b64 s[14:15], 0
	s_branch .LBB443_3
.LBB443_2:                              ;   in Loop: Header=BB443_3 Depth=1
	s_or_b32 exec_lo, exec_lo, s9
	ds_write_b32 v15, v17
	s_waitcnt lgkmcnt(0)
	s_barrier
	buffer_gl0_inv
	ds_read_b128 v[16:19], v12
	ds_read2_b32 v[32:33], v11 offset1:16
	ds_read_b128 v[20:23], v12 offset:512
	ds_read2_b32 v[34:35], v11 offset0:32 offset1:48
	ds_read2_b32 v[36:37], v11 offset0:64 offset1:80
	;; [unrolled: 1-line block ×3, first 2 shown]
	ds_read_b128 v[24:27], v12 offset:16
	ds_read2_b32 v[40:41], v11 offset0:128 offset1:144
	ds_read_b128 v[28:31], v12 offset:528
	ds_read2_b32 v[42:43], v11 offset0:160 offset1:176
	s_add_u32 s14, s14, 8
	s_addc_u32 s15, s15, 0
	v_add_co_u32 v2, vcc_lo, v2, s6
	v_cmp_lt_i64_e64 s9, s[14:15], s[28:29]
	v_add_co_ci_u32_e64 v3, null, s7, v3, vcc_lo
	v_add_co_u32 v4, vcc_lo, v4, s12
	v_add_co_ci_u32_e64 v5, null, s13, v5, vcc_lo
	s_waitcnt lgkmcnt(8)
	v_fmac_f32_e32 v10, v32, v16
	v_fmac_f32_e32 v9, v33, v16
	s_waitcnt lgkmcnt(7)
	v_fmac_f32_e32 v8, v32, v20
	v_fmac_f32_e32 v7, v33, v20
	ds_read2_b32 v[32:33], v11 offset0:192 offset1:208
	s_waitcnt lgkmcnt(7)
	v_fmac_f32_e32 v10, v34, v17
	v_fmac_f32_e32 v9, v35, v17
	;; [unrolled: 1-line block ×4, first 2 shown]
	ds_read2_b32 v[16:17], v11 offset0:224 offset1:240
	s_waitcnt lgkmcnt(7)
	v_fmac_f32_e32 v10, v36, v18
	v_fmac_f32_e32 v9, v37, v18
	v_fmac_f32_e32 v8, v36, v22
	v_fmac_f32_e32 v7, v37, v22
	s_and_b32 vcc_lo, exec_lo, s9
	s_waitcnt lgkmcnt(6)
	v_fmac_f32_e32 v10, v38, v19
	v_fmac_f32_e32 v9, v39, v19
	;; [unrolled: 1-line block ×4, first 2 shown]
	s_waitcnt lgkmcnt(0)
	v_fmac_f32_e32 v10, v40, v24
	v_fmac_f32_e32 v9, v41, v24
	;; [unrolled: 1-line block ×4, first 2 shown]
	s_barrier
	v_fmac_f32_e32 v10, v42, v25
	v_fmac_f32_e32 v9, v43, v25
	;; [unrolled: 1-line block ×4, first 2 shown]
	buffer_gl0_inv
	v_fmac_f32_e32 v10, v32, v26
	v_fmac_f32_e32 v9, v33, v26
	;; [unrolled: 1-line block ×8, first 2 shown]
	s_cbranch_vccz .LBB443_7
.LBB443_3:                              ; =>This Inner Loop Header: Depth=1
	v_add_co_u32 v16, s9, v13, s14
	v_add_co_ci_u32_e64 v17, null, 0, s15, s9
	v_cmp_gt_i64_e32 vcc_lo, s[28:29], v[16:17]
	v_mov_b32_e32 v16, 0
	s_and_b32 s16, s0, vcc_lo
	s_and_saveexec_b32 s9, s16
	s_cbranch_execz .LBB443_5
; %bb.4:                                ;   in Loop: Header=BB443_3 Depth=1
	global_load_ushort v16, v[4:5], off
	s_waitcnt vmcnt(0)
	v_lshlrev_b32_e32 v16, 16, v16
.LBB443_5:                              ;   in Loop: Header=BB443_3 Depth=1
	s_or_b32 exec_lo, exec_lo, s9
	v_add_co_u32 v17, s9, v6, s14
	v_add_co_ci_u32_e64 v18, null, 0, s15, s9
	ds_write_b32 v14, v16
	v_cmp_gt_i64_e32 vcc_lo, s[28:29], v[17:18]
	v_mov_b32_e32 v17, 0
	s_and_b32 s16, vcc_lo, s1
	s_and_saveexec_b32 s9, s16
	s_cbranch_execz .LBB443_2
; %bb.6:                                ;   in Loop: Header=BB443_3 Depth=1
	global_load_ushort v16, v[2:3], off
	s_waitcnt vmcnt(0)
	v_lshlrev_b32_e32 v17, 16, v16
	s_branch .LBB443_2
.LBB443_7:
	s_clause 0x3
	s_load_dwordx4 s[24:27], s[4:5], 0x78
	s_load_dword s6, s[4:5], 0x50
	s_load_dwordx8 s[12:19], s[4:5], 0x58
	s_load_dword s4, s[4:5], 0x18
	v_add_co_u32 v1, s0, s2, v1
	v_add_co_ci_u32_e64 v2, null, s3, 0, s0
	s_waitcnt lgkmcnt(0)
	s_mul_i32 s1, s27, s8
	s_mul_hi_u32 s2, s26, s8
	s_mul_i32 s0, s26, s8
	s_add_i32 s1, s2, s1
	v_cmp_neq_f32_e64 s2, s6, 0
	s_lshl_b64 s[26:27], s[0:1], 1
	v_cmp_gt_i64_e64 s0, s[22:23], v[1:2]
	s_add_u32 s3, s18, s26
	s_addc_u32 s5, s19, s27
	s_and_b32 vcc_lo, exec_lo, s2
	s_cbranch_vccnz .LBB443_28
; %bb.8:
	s_and_saveexec_b32 s7, s0
	s_cbranch_execz .LBB443_26
; %bb.9:
	v_mul_lo_u32 v3, v2, s24
	v_mul_lo_u32 v4, v1, s25
	v_mad_u64_u32 v[5:6], null, v1, s24, 0
	v_add3_u32 v6, v6, v4, v3
	v_add_co_u32 v3, s1, s10, v0
	v_add_co_ci_u32_e64 v4, null, s11, 0, s1
	v_lshlrev_b64 v[5:6], 1, v[5:6]
	v_cmp_gt_i64_e32 vcc_lo, s[20:21], v[3:4]
	v_add_co_u32 v5, s1, s3, v5
	v_add_co_ci_u32_e64 v6, null, s5, v6, s1
	s_and_saveexec_b32 s2, vcc_lo
	s_cbranch_execz .LBB443_15
; %bb.10:
	v_mul_f32_e32 v12, s4, v10
	v_and_b32_e32 v11, 0x7f800000, v12
	v_cmp_ne_u32_e64 s1, 0x7f800000, v11
                                        ; implicit-def: $vgpr11
	s_and_saveexec_b32 s9, s1
	s_xor_b32 s1, exec_lo, s9
; %bb.11:
	v_bfe_u32 v11, v12, 16, 1
	v_add3_u32 v11, v12, v11, 0x7fff
                                        ; implicit-def: $vgpr12
; %bb.12:
	s_andn2_saveexec_b32 s9, s1
; %bb.13:
	v_mov_b32_e32 v11, 0
	v_or_b32_e32 v13, 0x10000, v12
	v_cmp_eq_u32_sdwa s1, v12, v11 src0_sel:WORD_0 src1_sel:DWORD
	v_cndmask_b32_e64 v11, v13, v12, s1
; %bb.14:
	s_or_b32 exec_lo, exec_lo, s9
	v_lshlrev_b64 v[12:13], 1, v[3:4]
	v_add_co_u32 v12, s1, v5, v12
	v_add_co_ci_u32_e64 v13, null, v6, v13, s1
	global_store_short_d16_hi v[12:13], v11, off
.LBB443_15:
	s_or_b32 exec_lo, exec_lo, s2
	v_add_co_u32 v11, s1, v3, 16
	v_add_co_ci_u32_e64 v12, null, 0, v4, s1
	v_cmp_gt_i64_e64 s1, s[20:21], v[11:12]
	s_and_saveexec_b32 s9, s1
	s_cbranch_execz .LBB443_21
; %bb.16:
	v_mul_f32_e32 v12, s4, v9
	v_and_b32_e32 v11, 0x7f800000, v12
	v_cmp_ne_u32_e64 s2, 0x7f800000, v11
                                        ; implicit-def: $vgpr11
	s_and_saveexec_b32 s18, s2
	s_xor_b32 s2, exec_lo, s18
; %bb.17:
	v_bfe_u32 v11, v12, 16, 1
	v_add3_u32 v11, v12, v11, 0x7fff
                                        ; implicit-def: $vgpr12
; %bb.18:
	s_andn2_saveexec_b32 s18, s2
; %bb.19:
	v_mov_b32_e32 v11, 0
	v_or_b32_e32 v13, 0x10000, v12
	v_cmp_eq_u32_sdwa s2, v12, v11 src0_sel:WORD_0 src1_sel:DWORD
	v_cndmask_b32_e64 v11, v13, v12, s2
; %bb.20:
	s_or_b32 exec_lo, exec_lo, s18
	v_lshlrev_b64 v[12:13], 1, v[3:4]
	v_add_co_u32 v12, s2, v5, v12
	v_add_co_ci_u32_e64 v13, null, v6, v13, s2
	global_store_short_d16_hi v[12:13], v11, off offset:32
.LBB443_21:
	s_or_b32 exec_lo, exec_lo, s9
	v_add_co_u32 v11, s2, v1, 16
	v_add_co_ci_u32_e64 v12, null, 0, v2, s2
	v_cmp_gt_i64_e64 s2, s[22:23], v[11:12]
	s_and_b32 exec_lo, exec_lo, s2
	s_cbranch_execz .LBB443_26
; %bb.22:
	s_lshl_b64 s[18:19], s[24:25], 5
	v_lshlrev_b64 v[3:4], 1, v[3:4]
	v_add_co_u32 v5, s2, v5, s18
	v_add_co_ci_u32_e64 v6, null, s19, v6, s2
	v_add_co_u32 v3, s2, v5, v3
	v_add_co_ci_u32_e64 v4, null, v6, v4, s2
	s_and_saveexec_b32 s2, vcc_lo
	s_cbranch_execz .LBB443_24
; %bb.23:
	v_mul_f32_e32 v5, s4, v8
	v_mov_b32_e32 v11, 0
	v_bfe_u32 v6, v5, 16, 1
	v_or_b32_e32 v12, 0x10000, v5
	v_and_b32_e32 v13, 0x7f800000, v5
	v_cmp_eq_u32_sdwa vcc_lo, v5, v11 src0_sel:WORD_0 src1_sel:DWORD
	v_add3_u32 v6, v5, v6, 0x7fff
	v_cndmask_b32_e32 v5, v12, v5, vcc_lo
	v_cmp_eq_u32_e32 vcc_lo, 0x7f800000, v13
	v_cndmask_b32_e32 v5, v6, v5, vcc_lo
	global_store_short_d16_hi v[3:4], v5, off
.LBB443_24:
	s_or_b32 exec_lo, exec_lo, s2
	s_and_b32 exec_lo, exec_lo, s1
	s_cbranch_execz .LBB443_26
; %bb.25:
	v_mul_f32_e32 v5, s4, v7
	v_mov_b32_e32 v11, 0
	v_bfe_u32 v6, v5, 16, 1
	v_or_b32_e32 v12, 0x10000, v5
	v_and_b32_e32 v13, 0x7f800000, v5
	v_cmp_eq_u32_sdwa vcc_lo, v5, v11 src0_sel:WORD_0 src1_sel:DWORD
	v_add3_u32 v6, v5, v6, 0x7fff
	v_cndmask_b32_e32 v5, v12, v5, vcc_lo
	v_cmp_eq_u32_e32 vcc_lo, 0x7f800000, v13
	v_cndmask_b32_e32 v5, v6, v5, vcc_lo
	global_store_short_d16_hi v[3:4], v5, off offset:32
.LBB443_26:
	s_or_b32 exec_lo, exec_lo, s7
	s_cbranch_execz .LBB443_29
.LBB443_27:
	s_endpgm
.LBB443_28:
.LBB443_29:
	s_and_saveexec_b32 s1, s0
	s_cbranch_execz .LBB443_27
; %bb.30:
	v_mul_lo_u32 v5, v2, s14
	v_mul_lo_u32 v6, v1, s15
	v_mad_u64_u32 v[3:4], null, v1, s14, 0
	v_mul_lo_u32 v13, v2, s24
	v_mul_lo_u32 v14, v1, s25
	v_mad_u64_u32 v[11:12], null, v1, s24, 0
	s_mul_i32 s0, s17, s8
	s_mul_hi_u32 s1, s16, s8
	v_add3_u32 v4, v4, v6, v5
	s_add_i32 s1, s1, s0
	s_mul_i32 s0, s16, s8
	v_add_co_u32 v5, s2, s10, v0
	v_add3_u32 v12, v12, v14, v13
	v_lshlrev_b64 v[3:4], 1, v[3:4]
	s_lshl_b64 s[0:1], s[0:1], 1
	v_add_co_ci_u32_e64 v6, null, s11, 0, s2
	v_lshlrev_b64 v[12:13], 1, v[11:12]
	s_add_u32 s0, s12, s0
	s_addc_u32 s1, s13, s1
	v_add_co_u32 v0, s0, s0, v3
	v_add_co_ci_u32_e64 v11, null, s1, v4, s0
	v_add_co_u32 v12, s0, s3, v12
	v_cmp_gt_i64_e32 vcc_lo, s[20:21], v[5:6]
	v_lshlrev_b64 v[3:4], 1, v[5:6]
	v_add_co_ci_u32_e64 v13, null, s5, v13, s0
	s_and_saveexec_b32 s1, vcc_lo
	s_cbranch_execz .LBB443_40
; %bb.31:
	v_add_co_u32 v14, s0, v0, v3
	v_add_co_ci_u32_e64 v15, null, v11, v4, s0
	global_load_ushort v14, v[14:15], off
	s_waitcnt vmcnt(0)
	v_lshlrev_b32_e32 v14, 16, v14
	v_mul_f32_e32 v14, s6, v14
	v_and_b32_e32 v15, 0x7f800000, v14
	v_cmp_ne_u32_e64 s0, 0x7f800000, v15
                                        ; implicit-def: $vgpr15
	s_and_saveexec_b32 s2, s0
	s_xor_b32 s0, exec_lo, s2
; %bb.32:
	v_bfe_u32 v15, v14, 16, 1
	v_add3_u32 v15, v14, v15, 0x7fff
                                        ; implicit-def: $vgpr14
; %bb.33:
	s_andn2_saveexec_b32 s2, s0
; %bb.34:
	v_mov_b32_e32 v15, 0
	v_or_b32_e32 v16, 0x10000, v14
	v_cmp_eq_u32_sdwa s0, v14, v15 src0_sel:WORD_0 src1_sel:DWORD
	v_cndmask_b32_e64 v15, v16, v14, s0
; %bb.35:
	s_or_b32 exec_lo, exec_lo, s2
	v_and_b32_e32 v14, 0xffff0000, v15
	v_fmac_f32_e32 v14, s4, v10
	v_and_b32_e32 v10, 0x7f800000, v14
	v_cmp_ne_u32_e64 s0, 0x7f800000, v10
                                        ; implicit-def: $vgpr10
	s_and_saveexec_b32 s2, s0
	s_xor_b32 s0, exec_lo, s2
; %bb.36:
	v_bfe_u32 v10, v14, 16, 1
	v_add3_u32 v10, v14, v10, 0x7fff
                                        ; implicit-def: $vgpr14
; %bb.37:
	s_andn2_saveexec_b32 s2, s0
; %bb.38:
	v_mov_b32_e32 v10, 0
	v_or_b32_e32 v15, 0x10000, v14
	v_cmp_eq_u32_sdwa s0, v14, v10 src0_sel:WORD_0 src1_sel:DWORD
	v_cndmask_b32_e64 v10, v15, v14, s0
; %bb.39:
	s_or_b32 exec_lo, exec_lo, s2
	v_add_co_u32 v14, s0, v12, v3
	v_add_co_ci_u32_e64 v15, null, v13, v4, s0
	global_store_short_d16_hi v[14:15], v10, off
.LBB443_40:
	s_or_b32 exec_lo, exec_lo, s1
	v_add_co_u32 v5, s0, v5, 16
	v_add_co_ci_u32_e64 v6, null, 0, v6, s0
	v_cmp_gt_i64_e64 s0, s[20:21], v[5:6]
	s_and_saveexec_b32 s2, s0
	s_cbranch_execz .LBB443_50
; %bb.41:
	v_add_co_u32 v5, s1, v0, v3
	v_add_co_ci_u32_e64 v6, null, v11, v4, s1
	global_load_ushort v5, v[5:6], off offset:32
	s_waitcnt vmcnt(0)
	v_lshlrev_b32_e32 v5, 16, v5
	v_mul_f32_e32 v5, s6, v5
	v_and_b32_e32 v6, 0x7f800000, v5
	v_cmp_ne_u32_e64 s1, 0x7f800000, v6
                                        ; implicit-def: $vgpr6
	s_and_saveexec_b32 s3, s1
	s_xor_b32 s1, exec_lo, s3
; %bb.42:
	v_bfe_u32 v6, v5, 16, 1
	v_add3_u32 v6, v5, v6, 0x7fff
                                        ; implicit-def: $vgpr5
; %bb.43:
	s_andn2_saveexec_b32 s3, s1
; %bb.44:
	v_mov_b32_e32 v6, 0
	v_or_b32_e32 v10, 0x10000, v5
	v_cmp_eq_u32_sdwa s1, v5, v6 src0_sel:WORD_0 src1_sel:DWORD
	v_cndmask_b32_e64 v6, v10, v5, s1
; %bb.45:
	s_or_b32 exec_lo, exec_lo, s3
	v_and_b32_e32 v5, 0xffff0000, v6
	v_fmac_f32_e32 v5, s4, v9
	v_and_b32_e32 v6, 0x7f800000, v5
	v_cmp_ne_u32_e64 s1, 0x7f800000, v6
                                        ; implicit-def: $vgpr6
	s_and_saveexec_b32 s3, s1
	s_xor_b32 s1, exec_lo, s3
; %bb.46:
	v_bfe_u32 v6, v5, 16, 1
	v_add3_u32 v6, v5, v6, 0x7fff
                                        ; implicit-def: $vgpr5
; %bb.47:
	s_andn2_saveexec_b32 s3, s1
; %bb.48:
	v_mov_b32_e32 v6, 0
	v_or_b32_e32 v9, 0x10000, v5
	v_cmp_eq_u32_sdwa s1, v5, v6 src0_sel:WORD_0 src1_sel:DWORD
	v_cndmask_b32_e64 v6, v9, v5, s1
; %bb.49:
	s_or_b32 exec_lo, exec_lo, s3
	v_add_co_u32 v9, s1, v12, v3
	v_add_co_ci_u32_e64 v10, null, v13, v4, s1
	global_store_short_d16_hi v[9:10], v6, off offset:32
.LBB443_50:
	s_or_b32 exec_lo, exec_lo, s2
	v_add_co_u32 v1, s1, v1, 16
	v_add_co_ci_u32_e64 v2, null, 0, v2, s1
	v_cmp_gt_i64_e64 s1, s[22:23], v[1:2]
	s_and_b32 exec_lo, exec_lo, s1
	s_cbranch_execz .LBB443_27
; %bb.51:
	s_lshl_b64 s[2:3], s[14:15], 5
	v_add_co_u32 v0, s1, v0, s2
	v_add_co_ci_u32_e64 v1, null, s3, v11, s1
	s_lshl_b64 s[2:3], s[24:25], 5
	v_add_co_u32 v2, s1, v12, s2
	v_add_co_ci_u32_e64 v9, null, s3, v13, s1
	v_add_co_u32 v5, s1, v0, v3
	v_add_co_ci_u32_e64 v6, null, v1, v4, s1
	v_add_co_u32 v0, s1, v2, v3
	v_add_co_ci_u32_e64 v1, null, v9, v4, s1
	s_and_saveexec_b32 s1, vcc_lo
	s_cbranch_execz .LBB443_61
; %bb.52:
	global_load_ushort v2, v[5:6], off
	s_waitcnt vmcnt(0)
	v_lshlrev_b32_e32 v2, 16, v2
	v_mul_f32_e32 v2, s6, v2
	v_and_b32_e32 v3, 0x7f800000, v2
	v_cmp_ne_u32_e32 vcc_lo, 0x7f800000, v3
                                        ; implicit-def: $vgpr3
	s_and_saveexec_b32 s2, vcc_lo
	s_xor_b32 s2, exec_lo, s2
; %bb.53:
	v_bfe_u32 v3, v2, 16, 1
	v_add3_u32 v3, v2, v3, 0x7fff
                                        ; implicit-def: $vgpr2
; %bb.54:
	s_andn2_saveexec_b32 s2, s2
; %bb.55:
	v_mov_b32_e32 v3, 0
	v_or_b32_e32 v4, 0x10000, v2
	v_cmp_eq_u32_sdwa vcc_lo, v2, v3 src0_sel:WORD_0 src1_sel:DWORD
	v_cndmask_b32_e32 v3, v4, v2, vcc_lo
; %bb.56:
	s_or_b32 exec_lo, exec_lo, s2
	v_and_b32_e32 v2, 0xffff0000, v3
	v_fmac_f32_e32 v2, s4, v8
	v_and_b32_e32 v3, 0x7f800000, v2
	v_cmp_ne_u32_e32 vcc_lo, 0x7f800000, v3
                                        ; implicit-def: $vgpr3
	s_and_saveexec_b32 s2, vcc_lo
	s_xor_b32 s2, exec_lo, s2
; %bb.57:
	v_bfe_u32 v3, v2, 16, 1
	v_add3_u32 v3, v2, v3, 0x7fff
                                        ; implicit-def: $vgpr2
; %bb.58:
	s_andn2_saveexec_b32 s2, s2
; %bb.59:
	v_mov_b32_e32 v3, 0
	v_or_b32_e32 v4, 0x10000, v2
	v_cmp_eq_u32_sdwa vcc_lo, v2, v3 src0_sel:WORD_0 src1_sel:DWORD
	v_cndmask_b32_e32 v3, v4, v2, vcc_lo
; %bb.60:
	s_or_b32 exec_lo, exec_lo, s2
	global_store_short_d16_hi v[0:1], v3, off
.LBB443_61:
	s_or_b32 exec_lo, exec_lo, s1
	s_and_b32 exec_lo, exec_lo, s0
	s_cbranch_execz .LBB443_27
; %bb.62:
	global_load_ushort v2, v[5:6], off offset:32
	s_waitcnt vmcnt(0)
	v_lshlrev_b32_e32 v2, 16, v2
	v_mul_f32_e32 v2, s6, v2
	v_and_b32_e32 v3, 0x7f800000, v2
	v_cmp_ne_u32_e32 vcc_lo, 0x7f800000, v3
                                        ; implicit-def: $vgpr3
	s_and_saveexec_b32 s0, vcc_lo
	s_xor_b32 s0, exec_lo, s0
; %bb.63:
	v_bfe_u32 v3, v2, 16, 1
	v_add3_u32 v3, v2, v3, 0x7fff
                                        ; implicit-def: $vgpr2
; %bb.64:
	s_andn2_saveexec_b32 s0, s0
; %bb.65:
	v_mov_b32_e32 v3, 0
	v_or_b32_e32 v4, 0x10000, v2
	v_cmp_eq_u32_sdwa vcc_lo, v2, v3 src0_sel:WORD_0 src1_sel:DWORD
	v_cndmask_b32_e32 v3, v4, v2, vcc_lo
; %bb.66:
	s_or_b32 exec_lo, exec_lo, s0
	v_and_b32_e32 v2, 0xffff0000, v3
	v_fmac_f32_e32 v2, s4, v7
	v_and_b32_e32 v3, 0x7f800000, v2
	v_cmp_ne_u32_e32 vcc_lo, 0x7f800000, v3
                                        ; implicit-def: $vgpr3
	s_and_saveexec_b32 s0, vcc_lo
	s_xor_b32 s0, exec_lo, s0
; %bb.67:
	v_bfe_u32 v3, v2, 16, 1
	v_add3_u32 v3, v2, v3, 0x7fff
                                        ; implicit-def: $vgpr2
; %bb.68:
	s_andn2_saveexec_b32 s0, s0
; %bb.69:
	v_mov_b32_e32 v3, 0
	v_or_b32_e32 v4, 0x10000, v2
	v_cmp_eq_u32_sdwa vcc_lo, v2, v3 src0_sel:WORD_0 src1_sel:DWORD
	v_cndmask_b32_e32 v3, v4, v2, vcc_lo
; %bb.70:
	s_or_b32 exec_lo, exec_lo, s0
	global_store_short_d16_hi v[0:1], v3, off offset:32
	s_endpgm
	.section	.rodata,"a",@progbits
	.p2align	6, 0x0
	.amdhsa_kernel _ZN12_GLOBAL__N_135rocblas_gemm_batched_general_kernelIfLi16ELi16ELi32ELi32ELi8ELi32ELi8ELi8ELi32ELc78ELc67EK16rocblas_bfloat16S2_S1_EEvlllT_PT11_llS5_llS3_PT12_llPT13_lli
		.amdhsa_group_segment_fixed_size 2048
		.amdhsa_private_segment_fixed_size 0
		.amdhsa_kernarg_size 140
		.amdhsa_user_sgpr_count 6
		.amdhsa_user_sgpr_private_segment_buffer 1
		.amdhsa_user_sgpr_dispatch_ptr 0
		.amdhsa_user_sgpr_queue_ptr 0
		.amdhsa_user_sgpr_kernarg_segment_ptr 1
		.amdhsa_user_sgpr_dispatch_id 0
		.amdhsa_user_sgpr_flat_scratch_init 0
		.amdhsa_user_sgpr_private_segment_size 0
		.amdhsa_wavefront_size32 1
		.amdhsa_uses_dynamic_stack 0
		.amdhsa_system_sgpr_private_segment_wavefront_offset 0
		.amdhsa_system_sgpr_workgroup_id_x 1
		.amdhsa_system_sgpr_workgroup_id_y 1
		.amdhsa_system_sgpr_workgroup_id_z 1
		.amdhsa_system_sgpr_workgroup_info 0
		.amdhsa_system_vgpr_workitem_id 1
		.amdhsa_next_free_vgpr 44
		.amdhsa_next_free_sgpr 34
		.amdhsa_reserve_vcc 1
		.amdhsa_reserve_flat_scratch 0
		.amdhsa_float_round_mode_32 0
		.amdhsa_float_round_mode_16_64 0
		.amdhsa_float_denorm_mode_32 3
		.amdhsa_float_denorm_mode_16_64 3
		.amdhsa_dx10_clamp 1
		.amdhsa_ieee_mode 1
		.amdhsa_fp16_overflow 0
		.amdhsa_workgroup_processor_mode 1
		.amdhsa_memory_ordered 1
		.amdhsa_forward_progress 1
		.amdhsa_shared_vgpr_count 0
		.amdhsa_exception_fp_ieee_invalid_op 0
		.amdhsa_exception_fp_denorm_src 0
		.amdhsa_exception_fp_ieee_div_zero 0
		.amdhsa_exception_fp_ieee_overflow 0
		.amdhsa_exception_fp_ieee_underflow 0
		.amdhsa_exception_fp_ieee_inexact 0
		.amdhsa_exception_int_div_zero 0
	.end_amdhsa_kernel
	.section	.text._ZN12_GLOBAL__N_135rocblas_gemm_batched_general_kernelIfLi16ELi16ELi32ELi32ELi8ELi32ELi8ELi8ELi32ELc78ELc67EK16rocblas_bfloat16S2_S1_EEvlllT_PT11_llS5_llS3_PT12_llPT13_lli,"axG",@progbits,_ZN12_GLOBAL__N_135rocblas_gemm_batched_general_kernelIfLi16ELi16ELi32ELi32ELi8ELi32ELi8ELi8ELi32ELc78ELc67EK16rocblas_bfloat16S2_S1_EEvlllT_PT11_llS5_llS3_PT12_llPT13_lli,comdat
.Lfunc_end443:
	.size	_ZN12_GLOBAL__N_135rocblas_gemm_batched_general_kernelIfLi16ELi16ELi32ELi32ELi8ELi32ELi8ELi8ELi32ELc78ELc67EK16rocblas_bfloat16S2_S1_EEvlllT_PT11_llS5_llS3_PT12_llPT13_lli, .Lfunc_end443-_ZN12_GLOBAL__N_135rocblas_gemm_batched_general_kernelIfLi16ELi16ELi32ELi32ELi8ELi32ELi8ELi8ELi32ELc78ELc67EK16rocblas_bfloat16S2_S1_EEvlllT_PT11_llS5_llS3_PT12_llPT13_lli
                                        ; -- End function
	.set _ZN12_GLOBAL__N_135rocblas_gemm_batched_general_kernelIfLi16ELi16ELi32ELi32ELi8ELi32ELi8ELi8ELi32ELc78ELc67EK16rocblas_bfloat16S2_S1_EEvlllT_PT11_llS5_llS3_PT12_llPT13_lli.num_vgpr, 44
	.set _ZN12_GLOBAL__N_135rocblas_gemm_batched_general_kernelIfLi16ELi16ELi32ELi32ELi8ELi32ELi8ELi8ELi32ELc78ELc67EK16rocblas_bfloat16S2_S1_EEvlllT_PT11_llS5_llS3_PT12_llPT13_lli.num_agpr, 0
	.set _ZN12_GLOBAL__N_135rocblas_gemm_batched_general_kernelIfLi16ELi16ELi32ELi32ELi8ELi32ELi8ELi8ELi32ELc78ELc67EK16rocblas_bfloat16S2_S1_EEvlllT_PT11_llS5_llS3_PT12_llPT13_lli.numbered_sgpr, 34
	.set _ZN12_GLOBAL__N_135rocblas_gemm_batched_general_kernelIfLi16ELi16ELi32ELi32ELi8ELi32ELi8ELi8ELi32ELc78ELc67EK16rocblas_bfloat16S2_S1_EEvlllT_PT11_llS5_llS3_PT12_llPT13_lli.num_named_barrier, 0
	.set _ZN12_GLOBAL__N_135rocblas_gemm_batched_general_kernelIfLi16ELi16ELi32ELi32ELi8ELi32ELi8ELi8ELi32ELc78ELc67EK16rocblas_bfloat16S2_S1_EEvlllT_PT11_llS5_llS3_PT12_llPT13_lli.private_seg_size, 0
	.set _ZN12_GLOBAL__N_135rocblas_gemm_batched_general_kernelIfLi16ELi16ELi32ELi32ELi8ELi32ELi8ELi8ELi32ELc78ELc67EK16rocblas_bfloat16S2_S1_EEvlllT_PT11_llS5_llS3_PT12_llPT13_lli.uses_vcc, 1
	.set _ZN12_GLOBAL__N_135rocblas_gemm_batched_general_kernelIfLi16ELi16ELi32ELi32ELi8ELi32ELi8ELi8ELi32ELc78ELc67EK16rocblas_bfloat16S2_S1_EEvlllT_PT11_llS5_llS3_PT12_llPT13_lli.uses_flat_scratch, 0
	.set _ZN12_GLOBAL__N_135rocblas_gemm_batched_general_kernelIfLi16ELi16ELi32ELi32ELi8ELi32ELi8ELi8ELi32ELc78ELc67EK16rocblas_bfloat16S2_S1_EEvlllT_PT11_llS5_llS3_PT12_llPT13_lli.has_dyn_sized_stack, 0
	.set _ZN12_GLOBAL__N_135rocblas_gemm_batched_general_kernelIfLi16ELi16ELi32ELi32ELi8ELi32ELi8ELi8ELi32ELc78ELc67EK16rocblas_bfloat16S2_S1_EEvlllT_PT11_llS5_llS3_PT12_llPT13_lli.has_recursion, 0
	.set _ZN12_GLOBAL__N_135rocblas_gemm_batched_general_kernelIfLi16ELi16ELi32ELi32ELi8ELi32ELi8ELi8ELi32ELc78ELc67EK16rocblas_bfloat16S2_S1_EEvlllT_PT11_llS5_llS3_PT12_llPT13_lli.has_indirect_call, 0
	.section	.AMDGPU.csdata,"",@progbits
; Kernel info:
; codeLenInByte = 2896
; TotalNumSgprs: 36
; NumVgprs: 44
; ScratchSize: 0
; MemoryBound: 0
; FloatMode: 240
; IeeeMode: 1
; LDSByteSize: 2048 bytes/workgroup (compile time only)
; SGPRBlocks: 0
; VGPRBlocks: 5
; NumSGPRsForWavesPerEU: 36
; NumVGPRsForWavesPerEU: 44
; Occupancy: 16
; WaveLimiterHint : 0
; COMPUTE_PGM_RSRC2:SCRATCH_EN: 0
; COMPUTE_PGM_RSRC2:USER_SGPR: 6
; COMPUTE_PGM_RSRC2:TRAP_HANDLER: 0
; COMPUTE_PGM_RSRC2:TGID_X_EN: 1
; COMPUTE_PGM_RSRC2:TGID_Y_EN: 1
; COMPUTE_PGM_RSRC2:TGID_Z_EN: 1
; COMPUTE_PGM_RSRC2:TIDIG_COMP_CNT: 1
	.section	.text._ZN12_GLOBAL__N_135rocblas_gemm_batched_general_kernelIfLi16ELi16ELi32ELi32ELi8ELi32ELi8ELi8ELi32ELc84ELc67EK16rocblas_bfloat16S2_S1_EEvlllT_PT11_llS5_llS3_PT12_llPT13_lli,"axG",@progbits,_ZN12_GLOBAL__N_135rocblas_gemm_batched_general_kernelIfLi16ELi16ELi32ELi32ELi8ELi32ELi8ELi8ELi32ELc84ELc67EK16rocblas_bfloat16S2_S1_EEvlllT_PT11_llS5_llS3_PT12_llPT13_lli,comdat
	.globl	_ZN12_GLOBAL__N_135rocblas_gemm_batched_general_kernelIfLi16ELi16ELi32ELi32ELi8ELi32ELi8ELi8ELi32ELc84ELc67EK16rocblas_bfloat16S2_S1_EEvlllT_PT11_llS5_llS3_PT12_llPT13_lli ; -- Begin function _ZN12_GLOBAL__N_135rocblas_gemm_batched_general_kernelIfLi16ELi16ELi32ELi32ELi8ELi32ELi8ELi8ELi32ELc84ELc67EK16rocblas_bfloat16S2_S1_EEvlllT_PT11_llS5_llS3_PT12_llPT13_lli
	.p2align	8
	.type	_ZN12_GLOBAL__N_135rocblas_gemm_batched_general_kernelIfLi16ELi16ELi32ELi32ELi8ELi32ELi8ELi8ELi32ELc84ELc67EK16rocblas_bfloat16S2_S1_EEvlllT_PT11_llS5_llS3_PT12_llPT13_lli,@function
_ZN12_GLOBAL__N_135rocblas_gemm_batched_general_kernelIfLi16ELi16ELi32ELi32ELi8ELi32ELi8ELi8ELi32ELc84ELc67EK16rocblas_bfloat16S2_S1_EEvlllT_PT11_llS5_llS3_PT12_llPT13_lli: ; @_ZN12_GLOBAL__N_135rocblas_gemm_batched_general_kernelIfLi16ELi16ELi32ELi32ELi8ELi32ELi8ELi8ELi32ELc84ELc67EK16rocblas_bfloat16S2_S1_EEvlllT_PT11_llS5_llS3_PT12_llPT13_lli
; %bb.0:
	s_clause 0x1
	s_load_dwordx2 s[10:11], s[4:5], 0x10
	s_load_dwordx4 s[20:23], s[4:5], 0x0
	s_mov_b32 s0, s7
	v_mov_b32_e32 v10, 0
	v_mov_b32_e32 v9, 0
	;; [unrolled: 1-line block ×4, first 2 shown]
	s_ashr_i32 s7, s6, 31
	s_ashr_i32 s1, s0, 31
	s_lshl_b64 s[6:7], s[6:7], 5
	s_waitcnt lgkmcnt(0)
	v_cmp_lt_i64_e64 s2, s[10:11], 1
	s_and_b32 vcc_lo, exec_lo, s2
	s_lshl_b64 s[2:3], s[0:1], 5
	s_cbranch_vccnz .LBB444_7
; %bb.1:
	s_clause 0x1
	s_load_dwordx4 s[24:27], s[4:5], 0x40
	s_load_dwordx8 s[12:19], s[4:5], 0x20
	v_lshl_add_u32 v2, v1, 4, v0
	v_and_b32_e32 v6, 7, v0
	v_mov_b32_e32 v3, s7
	s_lshl_b64 s[28:29], s[0:1], 6
	v_mov_b32_e32 v7, 0
	v_and_b32_e32 v14, 31, v2
	v_lshrrev_b32_e32 v10, 3, v2
	v_lshrrev_b32_e32 v13, 5, v2
	v_lshlrev_b32_e32 v15, 2, v6
	v_lshlrev_b32_e32 v11, 2, v0
	v_or_b32_e32 v2, s6, v14
	v_add_co_u32 v8, s0, v10, s2
	v_add_co_ci_u32_e64 v9, null, 0, s3, s0
	v_add_co_u32 v17, s0, s6, v14
	v_add_co_ci_u32_e64 v18, null, s7, 0, s0
	s_waitcnt lgkmcnt(0)
	v_mad_u64_u32 v[4:5], null, s24, v6, 0
	v_cmp_gt_i64_e64 s0, s[20:21], v[2:3]
	v_cmp_gt_i64_e64 s1, s[22:23], v[8:9]
	v_mul_lo_u32 v8, s15, v17
	v_mul_lo_u32 v9, s14, v18
	s_mul_i32 s9, s27, s8
	s_mul_hi_u32 s27, s26, s8
	v_mad_u64_u32 v[2:3], null, s25, v6, v[5:6]
	s_mul_i32 s26, s26, s8
	s_add_i32 s27, s27, s9
	s_mul_i32 s9, s17, s8
	s_mul_hi_u32 s17, s16, s8
	v_lshlrev_b32_e32 v16, 2, v14
	v_lshl_or_b32 v15, v10, 5, v15
	v_mov_b32_e32 v5, v2
	v_mad_u64_u32 v[2:3], null, s14, v17, 0
	s_lshl_b64 s[14:15], s[26:27], 1
	v_lshl_add_u32 v12, v1, 5, 0x400
	v_lshlrev_b64 v[4:5], 1, v[4:5]
	s_add_u32 s14, s28, s14
	s_addc_u32 s15, s29, s15
	v_lshl_or_b32 v14, v13, 7, v16
	v_add3_u32 v3, v3, v9, v8
	v_lshlrev_b32_e32 v8, 1, v10
	v_add_co_u32 v4, vcc_lo, s14, v4
	v_add_co_ci_u32_e64 v5, null, s15, v5, vcc_lo
	v_lshlrev_b64 v[2:3], 1, v[2:3]
	s_add_i32 s15, s17, s9
	s_mul_i32 s14, s16, s8
	v_lshlrev_b32_e32 v9, 1, v13
	s_lshl_b64 s[14:15], s[14:15], 1
	v_add_nc_u32_e32 v15, 0x400, v15
	v_add_co_u32 v2, vcc_lo, v2, s14
	v_add_co_ci_u32_e64 v3, null, s15, v3, vcc_lo
	v_add_co_u32 v4, vcc_lo, v4, v8
	v_add_co_ci_u32_e64 v5, null, 0, v5, vcc_lo
	;; [unrolled: 2-line block ×5, first 2 shown]
	v_mov_b32_e32 v8, 0
	v_mov_b32_e32 v9, 0
	;; [unrolled: 1-line block ×3, first 2 shown]
	s_lshl_b64 s[12:13], s[24:25], 4
	s_mov_b64 s[14:15], 0
	s_branch .LBB444_3
.LBB444_2:                              ;   in Loop: Header=BB444_3 Depth=1
	s_or_b32 exec_lo, exec_lo, s9
	ds_write_b32 v15, v17
	s_waitcnt lgkmcnt(0)
	s_barrier
	buffer_gl0_inv
	ds_read_b128 v[16:19], v12
	ds_read2_b32 v[32:33], v11 offset1:16
	ds_read_b128 v[20:23], v12 offset:512
	ds_read2_b32 v[34:35], v11 offset0:32 offset1:48
	ds_read2_b32 v[36:37], v11 offset0:64 offset1:80
	;; [unrolled: 1-line block ×3, first 2 shown]
	ds_read_b128 v[24:27], v12 offset:16
	ds_read2_b32 v[40:41], v11 offset0:128 offset1:144
	ds_read_b128 v[28:31], v12 offset:528
	ds_read2_b32 v[42:43], v11 offset0:160 offset1:176
	s_add_u32 s14, s14, 8
	s_addc_u32 s15, s15, 0
	v_add_co_u32 v2, vcc_lo, v2, s12
	v_cmp_lt_i64_e64 s9, s[14:15], s[10:11]
	v_add_co_ci_u32_e64 v3, null, s13, v3, vcc_lo
	v_add_co_u32 v4, vcc_lo, v4, 16
	v_add_co_ci_u32_e64 v5, null, 0, v5, vcc_lo
	s_waitcnt lgkmcnt(8)
	v_fmac_f32_e32 v10, v32, v16
	v_fmac_f32_e32 v9, v33, v16
	s_waitcnt lgkmcnt(7)
	v_fmac_f32_e32 v8, v32, v20
	v_fmac_f32_e32 v7, v33, v20
	ds_read2_b32 v[32:33], v11 offset0:192 offset1:208
	s_waitcnt lgkmcnt(7)
	v_fmac_f32_e32 v10, v34, v17
	v_fmac_f32_e32 v9, v35, v17
	;; [unrolled: 1-line block ×4, first 2 shown]
	ds_read2_b32 v[16:17], v11 offset0:224 offset1:240
	s_waitcnt lgkmcnt(7)
	v_fmac_f32_e32 v10, v36, v18
	v_fmac_f32_e32 v9, v37, v18
	;; [unrolled: 1-line block ×4, first 2 shown]
	s_and_b32 vcc_lo, exec_lo, s9
	s_waitcnt lgkmcnt(6)
	v_fmac_f32_e32 v10, v38, v19
	v_fmac_f32_e32 v9, v39, v19
	;; [unrolled: 1-line block ×4, first 2 shown]
	s_waitcnt lgkmcnt(0)
	v_fmac_f32_e32 v10, v40, v24
	v_fmac_f32_e32 v9, v41, v24
	;; [unrolled: 1-line block ×4, first 2 shown]
	s_barrier
	v_fmac_f32_e32 v10, v42, v25
	v_fmac_f32_e32 v9, v43, v25
	;; [unrolled: 1-line block ×4, first 2 shown]
	buffer_gl0_inv
	v_fmac_f32_e32 v10, v32, v26
	v_fmac_f32_e32 v9, v33, v26
	v_fmac_f32_e32 v8, v32, v30
	v_fmac_f32_e32 v7, v33, v30
	v_fmac_f32_e32 v10, v16, v27
	v_fmac_f32_e32 v9, v17, v27
	v_fmac_f32_e32 v8, v16, v31
	v_fmac_f32_e32 v7, v17, v31
	s_cbranch_vccz .LBB444_7
.LBB444_3:                              ; =>This Inner Loop Header: Depth=1
	v_add_co_u32 v16, s9, v13, s14
	v_add_co_ci_u32_e64 v17, null, 0, s15, s9
	v_cmp_gt_i64_e32 vcc_lo, s[10:11], v[16:17]
	v_mov_b32_e32 v16, 0
	s_and_b32 s16, s0, vcc_lo
	s_and_saveexec_b32 s9, s16
	s_cbranch_execz .LBB444_5
; %bb.4:                                ;   in Loop: Header=BB444_3 Depth=1
	global_load_ushort v16, v[4:5], off
	s_waitcnt vmcnt(0)
	v_lshlrev_b32_e32 v16, 16, v16
.LBB444_5:                              ;   in Loop: Header=BB444_3 Depth=1
	s_or_b32 exec_lo, exec_lo, s9
	v_add_co_u32 v17, s9, v6, s14
	v_add_co_ci_u32_e64 v18, null, 0, s15, s9
	ds_write_b32 v14, v16
	v_cmp_gt_i64_e32 vcc_lo, s[10:11], v[17:18]
	v_mov_b32_e32 v17, 0
	s_and_b32 s16, vcc_lo, s1
	s_and_saveexec_b32 s9, s16
	s_cbranch_execz .LBB444_2
; %bb.6:                                ;   in Loop: Header=BB444_3 Depth=1
	global_load_ushort v16, v[2:3], off
	s_waitcnt vmcnt(0)
	v_lshlrev_b32_e32 v17, 16, v16
	s_branch .LBB444_2
.LBB444_7:
	s_clause 0x3
	s_load_dwordx4 s[24:27], s[4:5], 0x78
	s_load_dword s9, s[4:5], 0x50
	s_load_dwordx8 s[12:19], s[4:5], 0x58
	s_load_dword s4, s[4:5], 0x18
	v_add_co_u32 v1, s0, s2, v1
	v_add_co_ci_u32_e64 v2, null, s3, 0, s0
	s_waitcnt lgkmcnt(0)
	s_mul_i32 s1, s27, s8
	s_mul_hi_u32 s2, s26, s8
	s_mul_i32 s0, s26, s8
	s_add_i32 s1, s2, s1
	v_cmp_neq_f32_e64 s2, s9, 0
	s_lshl_b64 s[10:11], s[0:1], 1
	v_cmp_gt_i64_e64 s0, s[22:23], v[1:2]
	s_add_u32 s3, s18, s10
	s_addc_u32 s5, s19, s11
	s_and_b32 vcc_lo, exec_lo, s2
	s_cbranch_vccnz .LBB444_28
; %bb.8:
	s_and_saveexec_b32 s10, s0
	s_cbranch_execz .LBB444_26
; %bb.9:
	v_mul_lo_u32 v3, v2, s24
	v_mul_lo_u32 v4, v1, s25
	v_mad_u64_u32 v[5:6], null, v1, s24, 0
	v_add3_u32 v6, v6, v4, v3
	v_add_co_u32 v3, s1, s6, v0
	v_add_co_ci_u32_e64 v4, null, s7, 0, s1
	v_lshlrev_b64 v[5:6], 1, v[5:6]
	v_cmp_gt_i64_e32 vcc_lo, s[20:21], v[3:4]
	v_add_co_u32 v5, s1, s3, v5
	v_add_co_ci_u32_e64 v6, null, s5, v6, s1
	s_and_saveexec_b32 s2, vcc_lo
	s_cbranch_execz .LBB444_15
; %bb.10:
	v_mul_f32_e32 v12, s4, v10
	v_and_b32_e32 v11, 0x7f800000, v12
	v_cmp_ne_u32_e64 s1, 0x7f800000, v11
                                        ; implicit-def: $vgpr11
	s_and_saveexec_b32 s11, s1
	s_xor_b32 s1, exec_lo, s11
; %bb.11:
	v_bfe_u32 v11, v12, 16, 1
	v_add3_u32 v11, v12, v11, 0x7fff
                                        ; implicit-def: $vgpr12
; %bb.12:
	s_andn2_saveexec_b32 s11, s1
; %bb.13:
	v_mov_b32_e32 v11, 0
	v_or_b32_e32 v13, 0x10000, v12
	v_cmp_eq_u32_sdwa s1, v12, v11 src0_sel:WORD_0 src1_sel:DWORD
	v_cndmask_b32_e64 v11, v13, v12, s1
; %bb.14:
	s_or_b32 exec_lo, exec_lo, s11
	v_lshlrev_b64 v[12:13], 1, v[3:4]
	v_add_co_u32 v12, s1, v5, v12
	v_add_co_ci_u32_e64 v13, null, v6, v13, s1
	global_store_short_d16_hi v[12:13], v11, off
.LBB444_15:
	s_or_b32 exec_lo, exec_lo, s2
	v_add_co_u32 v11, s1, v3, 16
	v_add_co_ci_u32_e64 v12, null, 0, v4, s1
	v_cmp_gt_i64_e64 s1, s[20:21], v[11:12]
	s_and_saveexec_b32 s11, s1
	s_cbranch_execz .LBB444_21
; %bb.16:
	v_mul_f32_e32 v12, s4, v9
	v_and_b32_e32 v11, 0x7f800000, v12
	v_cmp_ne_u32_e64 s2, 0x7f800000, v11
                                        ; implicit-def: $vgpr11
	s_and_saveexec_b32 s18, s2
	s_xor_b32 s2, exec_lo, s18
; %bb.17:
	v_bfe_u32 v11, v12, 16, 1
	v_add3_u32 v11, v12, v11, 0x7fff
                                        ; implicit-def: $vgpr12
; %bb.18:
	s_andn2_saveexec_b32 s18, s2
; %bb.19:
	v_mov_b32_e32 v11, 0
	v_or_b32_e32 v13, 0x10000, v12
	v_cmp_eq_u32_sdwa s2, v12, v11 src0_sel:WORD_0 src1_sel:DWORD
	v_cndmask_b32_e64 v11, v13, v12, s2
; %bb.20:
	s_or_b32 exec_lo, exec_lo, s18
	v_lshlrev_b64 v[12:13], 1, v[3:4]
	v_add_co_u32 v12, s2, v5, v12
	v_add_co_ci_u32_e64 v13, null, v6, v13, s2
	global_store_short_d16_hi v[12:13], v11, off offset:32
.LBB444_21:
	s_or_b32 exec_lo, exec_lo, s11
	v_add_co_u32 v11, s2, v1, 16
	v_add_co_ci_u32_e64 v12, null, 0, v2, s2
	v_cmp_gt_i64_e64 s2, s[22:23], v[11:12]
	s_and_b32 exec_lo, exec_lo, s2
	s_cbranch_execz .LBB444_26
; %bb.22:
	s_lshl_b64 s[18:19], s[24:25], 5
	v_lshlrev_b64 v[3:4], 1, v[3:4]
	v_add_co_u32 v5, s2, v5, s18
	v_add_co_ci_u32_e64 v6, null, s19, v6, s2
	v_add_co_u32 v3, s2, v5, v3
	v_add_co_ci_u32_e64 v4, null, v6, v4, s2
	s_and_saveexec_b32 s2, vcc_lo
	s_cbranch_execz .LBB444_24
; %bb.23:
	v_mul_f32_e32 v5, s4, v8
	v_mov_b32_e32 v11, 0
	v_bfe_u32 v6, v5, 16, 1
	v_or_b32_e32 v12, 0x10000, v5
	v_and_b32_e32 v13, 0x7f800000, v5
	v_cmp_eq_u32_sdwa vcc_lo, v5, v11 src0_sel:WORD_0 src1_sel:DWORD
	v_add3_u32 v6, v5, v6, 0x7fff
	v_cndmask_b32_e32 v5, v12, v5, vcc_lo
	v_cmp_eq_u32_e32 vcc_lo, 0x7f800000, v13
	v_cndmask_b32_e32 v5, v6, v5, vcc_lo
	global_store_short_d16_hi v[3:4], v5, off
.LBB444_24:
	s_or_b32 exec_lo, exec_lo, s2
	s_and_b32 exec_lo, exec_lo, s1
	s_cbranch_execz .LBB444_26
; %bb.25:
	v_mul_f32_e32 v5, s4, v7
	v_mov_b32_e32 v11, 0
	v_bfe_u32 v6, v5, 16, 1
	v_or_b32_e32 v12, 0x10000, v5
	v_and_b32_e32 v13, 0x7f800000, v5
	v_cmp_eq_u32_sdwa vcc_lo, v5, v11 src0_sel:WORD_0 src1_sel:DWORD
	v_add3_u32 v6, v5, v6, 0x7fff
	v_cndmask_b32_e32 v5, v12, v5, vcc_lo
	v_cmp_eq_u32_e32 vcc_lo, 0x7f800000, v13
	v_cndmask_b32_e32 v5, v6, v5, vcc_lo
	global_store_short_d16_hi v[3:4], v5, off offset:32
.LBB444_26:
	s_or_b32 exec_lo, exec_lo, s10
	s_cbranch_execz .LBB444_29
.LBB444_27:
	s_endpgm
.LBB444_28:
.LBB444_29:
	s_and_saveexec_b32 s1, s0
	s_cbranch_execz .LBB444_27
; %bb.30:
	v_mul_lo_u32 v5, v2, s14
	v_mul_lo_u32 v6, v1, s15
	v_mad_u64_u32 v[3:4], null, v1, s14, 0
	v_mul_lo_u32 v13, v2, s24
	v_mul_lo_u32 v14, v1, s25
	v_mad_u64_u32 v[11:12], null, v1, s24, 0
	s_mul_i32 s0, s17, s8
	s_mul_hi_u32 s1, s16, s8
	v_add3_u32 v4, v4, v6, v5
	s_add_i32 s1, s1, s0
	s_mul_i32 s0, s16, s8
	v_add_co_u32 v5, s2, s6, v0
	v_add3_u32 v12, v12, v14, v13
	v_lshlrev_b64 v[3:4], 1, v[3:4]
	s_lshl_b64 s[0:1], s[0:1], 1
	v_add_co_ci_u32_e64 v6, null, s7, 0, s2
	v_lshlrev_b64 v[12:13], 1, v[11:12]
	s_add_u32 s0, s12, s0
	s_addc_u32 s1, s13, s1
	v_add_co_u32 v0, s0, s0, v3
	v_add_co_ci_u32_e64 v11, null, s1, v4, s0
	v_add_co_u32 v12, s0, s3, v12
	v_cmp_gt_i64_e32 vcc_lo, s[20:21], v[5:6]
	v_lshlrev_b64 v[3:4], 1, v[5:6]
	v_add_co_ci_u32_e64 v13, null, s5, v13, s0
	s_and_saveexec_b32 s1, vcc_lo
	s_cbranch_execz .LBB444_40
; %bb.31:
	v_add_co_u32 v14, s0, v0, v3
	v_add_co_ci_u32_e64 v15, null, v11, v4, s0
	global_load_ushort v14, v[14:15], off
	s_waitcnt vmcnt(0)
	v_lshlrev_b32_e32 v14, 16, v14
	v_mul_f32_e32 v14, s9, v14
	v_and_b32_e32 v15, 0x7f800000, v14
	v_cmp_ne_u32_e64 s0, 0x7f800000, v15
                                        ; implicit-def: $vgpr15
	s_and_saveexec_b32 s2, s0
	s_xor_b32 s0, exec_lo, s2
; %bb.32:
	v_bfe_u32 v15, v14, 16, 1
	v_add3_u32 v15, v14, v15, 0x7fff
                                        ; implicit-def: $vgpr14
; %bb.33:
	s_andn2_saveexec_b32 s2, s0
; %bb.34:
	v_mov_b32_e32 v15, 0
	v_or_b32_e32 v16, 0x10000, v14
	v_cmp_eq_u32_sdwa s0, v14, v15 src0_sel:WORD_0 src1_sel:DWORD
	v_cndmask_b32_e64 v15, v16, v14, s0
; %bb.35:
	s_or_b32 exec_lo, exec_lo, s2
	v_and_b32_e32 v14, 0xffff0000, v15
	v_fmac_f32_e32 v14, s4, v10
	v_and_b32_e32 v10, 0x7f800000, v14
	v_cmp_ne_u32_e64 s0, 0x7f800000, v10
                                        ; implicit-def: $vgpr10
	s_and_saveexec_b32 s2, s0
	s_xor_b32 s0, exec_lo, s2
; %bb.36:
	v_bfe_u32 v10, v14, 16, 1
	v_add3_u32 v10, v14, v10, 0x7fff
                                        ; implicit-def: $vgpr14
; %bb.37:
	s_andn2_saveexec_b32 s2, s0
; %bb.38:
	v_mov_b32_e32 v10, 0
	v_or_b32_e32 v15, 0x10000, v14
	v_cmp_eq_u32_sdwa s0, v14, v10 src0_sel:WORD_0 src1_sel:DWORD
	v_cndmask_b32_e64 v10, v15, v14, s0
; %bb.39:
	s_or_b32 exec_lo, exec_lo, s2
	v_add_co_u32 v14, s0, v12, v3
	v_add_co_ci_u32_e64 v15, null, v13, v4, s0
	global_store_short_d16_hi v[14:15], v10, off
.LBB444_40:
	s_or_b32 exec_lo, exec_lo, s1
	v_add_co_u32 v5, s0, v5, 16
	v_add_co_ci_u32_e64 v6, null, 0, v6, s0
	v_cmp_gt_i64_e64 s0, s[20:21], v[5:6]
	s_and_saveexec_b32 s2, s0
	s_cbranch_execz .LBB444_50
; %bb.41:
	v_add_co_u32 v5, s1, v0, v3
	v_add_co_ci_u32_e64 v6, null, v11, v4, s1
	global_load_ushort v5, v[5:6], off offset:32
	s_waitcnt vmcnt(0)
	v_lshlrev_b32_e32 v5, 16, v5
	v_mul_f32_e32 v5, s9, v5
	v_and_b32_e32 v6, 0x7f800000, v5
	v_cmp_ne_u32_e64 s1, 0x7f800000, v6
                                        ; implicit-def: $vgpr6
	s_and_saveexec_b32 s3, s1
	s_xor_b32 s1, exec_lo, s3
; %bb.42:
	v_bfe_u32 v6, v5, 16, 1
	v_add3_u32 v6, v5, v6, 0x7fff
                                        ; implicit-def: $vgpr5
; %bb.43:
	s_andn2_saveexec_b32 s3, s1
; %bb.44:
	v_mov_b32_e32 v6, 0
	v_or_b32_e32 v10, 0x10000, v5
	v_cmp_eq_u32_sdwa s1, v5, v6 src0_sel:WORD_0 src1_sel:DWORD
	v_cndmask_b32_e64 v6, v10, v5, s1
; %bb.45:
	s_or_b32 exec_lo, exec_lo, s3
	v_and_b32_e32 v5, 0xffff0000, v6
	v_fmac_f32_e32 v5, s4, v9
	v_and_b32_e32 v6, 0x7f800000, v5
	v_cmp_ne_u32_e64 s1, 0x7f800000, v6
                                        ; implicit-def: $vgpr6
	s_and_saveexec_b32 s3, s1
	s_xor_b32 s1, exec_lo, s3
; %bb.46:
	v_bfe_u32 v6, v5, 16, 1
	v_add3_u32 v6, v5, v6, 0x7fff
                                        ; implicit-def: $vgpr5
; %bb.47:
	s_andn2_saveexec_b32 s3, s1
; %bb.48:
	v_mov_b32_e32 v6, 0
	v_or_b32_e32 v9, 0x10000, v5
	v_cmp_eq_u32_sdwa s1, v5, v6 src0_sel:WORD_0 src1_sel:DWORD
	v_cndmask_b32_e64 v6, v9, v5, s1
; %bb.49:
	s_or_b32 exec_lo, exec_lo, s3
	v_add_co_u32 v9, s1, v12, v3
	v_add_co_ci_u32_e64 v10, null, v13, v4, s1
	global_store_short_d16_hi v[9:10], v6, off offset:32
.LBB444_50:
	s_or_b32 exec_lo, exec_lo, s2
	v_add_co_u32 v1, s1, v1, 16
	v_add_co_ci_u32_e64 v2, null, 0, v2, s1
	v_cmp_gt_i64_e64 s1, s[22:23], v[1:2]
	s_and_b32 exec_lo, exec_lo, s1
	s_cbranch_execz .LBB444_27
; %bb.51:
	s_lshl_b64 s[2:3], s[14:15], 5
	v_add_co_u32 v0, s1, v0, s2
	v_add_co_ci_u32_e64 v1, null, s3, v11, s1
	s_lshl_b64 s[2:3], s[24:25], 5
	v_add_co_u32 v2, s1, v12, s2
	v_add_co_ci_u32_e64 v9, null, s3, v13, s1
	v_add_co_u32 v5, s1, v0, v3
	v_add_co_ci_u32_e64 v6, null, v1, v4, s1
	;; [unrolled: 2-line block ×3, first 2 shown]
	s_and_saveexec_b32 s1, vcc_lo
	s_cbranch_execz .LBB444_61
; %bb.52:
	global_load_ushort v2, v[5:6], off
	s_waitcnt vmcnt(0)
	v_lshlrev_b32_e32 v2, 16, v2
	v_mul_f32_e32 v2, s9, v2
	v_and_b32_e32 v3, 0x7f800000, v2
	v_cmp_ne_u32_e32 vcc_lo, 0x7f800000, v3
                                        ; implicit-def: $vgpr3
	s_and_saveexec_b32 s2, vcc_lo
	s_xor_b32 s2, exec_lo, s2
; %bb.53:
	v_bfe_u32 v3, v2, 16, 1
	v_add3_u32 v3, v2, v3, 0x7fff
                                        ; implicit-def: $vgpr2
; %bb.54:
	s_andn2_saveexec_b32 s2, s2
; %bb.55:
	v_mov_b32_e32 v3, 0
	v_or_b32_e32 v4, 0x10000, v2
	v_cmp_eq_u32_sdwa vcc_lo, v2, v3 src0_sel:WORD_0 src1_sel:DWORD
	v_cndmask_b32_e32 v3, v4, v2, vcc_lo
; %bb.56:
	s_or_b32 exec_lo, exec_lo, s2
	v_and_b32_e32 v2, 0xffff0000, v3
	v_fmac_f32_e32 v2, s4, v8
	v_and_b32_e32 v3, 0x7f800000, v2
	v_cmp_ne_u32_e32 vcc_lo, 0x7f800000, v3
                                        ; implicit-def: $vgpr3
	s_and_saveexec_b32 s2, vcc_lo
	s_xor_b32 s2, exec_lo, s2
; %bb.57:
	v_bfe_u32 v3, v2, 16, 1
	v_add3_u32 v3, v2, v3, 0x7fff
                                        ; implicit-def: $vgpr2
; %bb.58:
	s_andn2_saveexec_b32 s2, s2
; %bb.59:
	v_mov_b32_e32 v3, 0
	v_or_b32_e32 v4, 0x10000, v2
	v_cmp_eq_u32_sdwa vcc_lo, v2, v3 src0_sel:WORD_0 src1_sel:DWORD
	v_cndmask_b32_e32 v3, v4, v2, vcc_lo
; %bb.60:
	s_or_b32 exec_lo, exec_lo, s2
	global_store_short_d16_hi v[0:1], v3, off
.LBB444_61:
	s_or_b32 exec_lo, exec_lo, s1
	s_and_b32 exec_lo, exec_lo, s0
	s_cbranch_execz .LBB444_27
; %bb.62:
	global_load_ushort v2, v[5:6], off offset:32
	s_waitcnt vmcnt(0)
	v_lshlrev_b32_e32 v2, 16, v2
	v_mul_f32_e32 v2, s9, v2
	v_and_b32_e32 v3, 0x7f800000, v2
	v_cmp_ne_u32_e32 vcc_lo, 0x7f800000, v3
                                        ; implicit-def: $vgpr3
	s_and_saveexec_b32 s0, vcc_lo
	s_xor_b32 s0, exec_lo, s0
; %bb.63:
	v_bfe_u32 v3, v2, 16, 1
	v_add3_u32 v3, v2, v3, 0x7fff
                                        ; implicit-def: $vgpr2
; %bb.64:
	s_andn2_saveexec_b32 s0, s0
; %bb.65:
	v_mov_b32_e32 v3, 0
	v_or_b32_e32 v4, 0x10000, v2
	v_cmp_eq_u32_sdwa vcc_lo, v2, v3 src0_sel:WORD_0 src1_sel:DWORD
	v_cndmask_b32_e32 v3, v4, v2, vcc_lo
; %bb.66:
	s_or_b32 exec_lo, exec_lo, s0
	v_and_b32_e32 v2, 0xffff0000, v3
	v_fmac_f32_e32 v2, s4, v7
	v_and_b32_e32 v3, 0x7f800000, v2
	v_cmp_ne_u32_e32 vcc_lo, 0x7f800000, v3
                                        ; implicit-def: $vgpr3
	s_and_saveexec_b32 s0, vcc_lo
	s_xor_b32 s0, exec_lo, s0
; %bb.67:
	v_bfe_u32 v3, v2, 16, 1
	v_add3_u32 v3, v2, v3, 0x7fff
                                        ; implicit-def: $vgpr2
; %bb.68:
	s_andn2_saveexec_b32 s0, s0
; %bb.69:
	v_mov_b32_e32 v3, 0
	v_or_b32_e32 v4, 0x10000, v2
	v_cmp_eq_u32_sdwa vcc_lo, v2, v3 src0_sel:WORD_0 src1_sel:DWORD
	v_cndmask_b32_e32 v3, v4, v2, vcc_lo
; %bb.70:
	s_or_b32 exec_lo, exec_lo, s0
	global_store_short_d16_hi v[0:1], v3, off offset:32
	s_endpgm
	.section	.rodata,"a",@progbits
	.p2align	6, 0x0
	.amdhsa_kernel _ZN12_GLOBAL__N_135rocblas_gemm_batched_general_kernelIfLi16ELi16ELi32ELi32ELi8ELi32ELi8ELi8ELi32ELc84ELc67EK16rocblas_bfloat16S2_S1_EEvlllT_PT11_llS5_llS3_PT12_llPT13_lli
		.amdhsa_group_segment_fixed_size 2048
		.amdhsa_private_segment_fixed_size 0
		.amdhsa_kernarg_size 140
		.amdhsa_user_sgpr_count 6
		.amdhsa_user_sgpr_private_segment_buffer 1
		.amdhsa_user_sgpr_dispatch_ptr 0
		.amdhsa_user_sgpr_queue_ptr 0
		.amdhsa_user_sgpr_kernarg_segment_ptr 1
		.amdhsa_user_sgpr_dispatch_id 0
		.amdhsa_user_sgpr_flat_scratch_init 0
		.amdhsa_user_sgpr_private_segment_size 0
		.amdhsa_wavefront_size32 1
		.amdhsa_uses_dynamic_stack 0
		.amdhsa_system_sgpr_private_segment_wavefront_offset 0
		.amdhsa_system_sgpr_workgroup_id_x 1
		.amdhsa_system_sgpr_workgroup_id_y 1
		.amdhsa_system_sgpr_workgroup_id_z 1
		.amdhsa_system_sgpr_workgroup_info 0
		.amdhsa_system_vgpr_workitem_id 1
		.amdhsa_next_free_vgpr 44
		.amdhsa_next_free_sgpr 30
		.amdhsa_reserve_vcc 1
		.amdhsa_reserve_flat_scratch 0
		.amdhsa_float_round_mode_32 0
		.amdhsa_float_round_mode_16_64 0
		.amdhsa_float_denorm_mode_32 3
		.amdhsa_float_denorm_mode_16_64 3
		.amdhsa_dx10_clamp 1
		.amdhsa_ieee_mode 1
		.amdhsa_fp16_overflow 0
		.amdhsa_workgroup_processor_mode 1
		.amdhsa_memory_ordered 1
		.amdhsa_forward_progress 1
		.amdhsa_shared_vgpr_count 0
		.amdhsa_exception_fp_ieee_invalid_op 0
		.amdhsa_exception_fp_denorm_src 0
		.amdhsa_exception_fp_ieee_div_zero 0
		.amdhsa_exception_fp_ieee_overflow 0
		.amdhsa_exception_fp_ieee_underflow 0
		.amdhsa_exception_fp_ieee_inexact 0
		.amdhsa_exception_int_div_zero 0
	.end_amdhsa_kernel
	.section	.text._ZN12_GLOBAL__N_135rocblas_gemm_batched_general_kernelIfLi16ELi16ELi32ELi32ELi8ELi32ELi8ELi8ELi32ELc84ELc67EK16rocblas_bfloat16S2_S1_EEvlllT_PT11_llS5_llS3_PT12_llPT13_lli,"axG",@progbits,_ZN12_GLOBAL__N_135rocblas_gemm_batched_general_kernelIfLi16ELi16ELi32ELi32ELi8ELi32ELi8ELi8ELi32ELc84ELc67EK16rocblas_bfloat16S2_S1_EEvlllT_PT11_llS5_llS3_PT12_llPT13_lli,comdat
.Lfunc_end444:
	.size	_ZN12_GLOBAL__N_135rocblas_gemm_batched_general_kernelIfLi16ELi16ELi32ELi32ELi8ELi32ELi8ELi8ELi32ELc84ELc67EK16rocblas_bfloat16S2_S1_EEvlllT_PT11_llS5_llS3_PT12_llPT13_lli, .Lfunc_end444-_ZN12_GLOBAL__N_135rocblas_gemm_batched_general_kernelIfLi16ELi16ELi32ELi32ELi8ELi32ELi8ELi8ELi32ELc84ELc67EK16rocblas_bfloat16S2_S1_EEvlllT_PT11_llS5_llS3_PT12_llPT13_lli
                                        ; -- End function
	.set _ZN12_GLOBAL__N_135rocblas_gemm_batched_general_kernelIfLi16ELi16ELi32ELi32ELi8ELi32ELi8ELi8ELi32ELc84ELc67EK16rocblas_bfloat16S2_S1_EEvlllT_PT11_llS5_llS3_PT12_llPT13_lli.num_vgpr, 44
	.set _ZN12_GLOBAL__N_135rocblas_gemm_batched_general_kernelIfLi16ELi16ELi32ELi32ELi8ELi32ELi8ELi8ELi32ELc84ELc67EK16rocblas_bfloat16S2_S1_EEvlllT_PT11_llS5_llS3_PT12_llPT13_lli.num_agpr, 0
	.set _ZN12_GLOBAL__N_135rocblas_gemm_batched_general_kernelIfLi16ELi16ELi32ELi32ELi8ELi32ELi8ELi8ELi32ELc84ELc67EK16rocblas_bfloat16S2_S1_EEvlllT_PT11_llS5_llS3_PT12_llPT13_lli.numbered_sgpr, 30
	.set _ZN12_GLOBAL__N_135rocblas_gemm_batched_general_kernelIfLi16ELi16ELi32ELi32ELi8ELi32ELi8ELi8ELi32ELc84ELc67EK16rocblas_bfloat16S2_S1_EEvlllT_PT11_llS5_llS3_PT12_llPT13_lli.num_named_barrier, 0
	.set _ZN12_GLOBAL__N_135rocblas_gemm_batched_general_kernelIfLi16ELi16ELi32ELi32ELi8ELi32ELi8ELi8ELi32ELc84ELc67EK16rocblas_bfloat16S2_S1_EEvlllT_PT11_llS5_llS3_PT12_llPT13_lli.private_seg_size, 0
	.set _ZN12_GLOBAL__N_135rocblas_gemm_batched_general_kernelIfLi16ELi16ELi32ELi32ELi8ELi32ELi8ELi8ELi32ELc84ELc67EK16rocblas_bfloat16S2_S1_EEvlllT_PT11_llS5_llS3_PT12_llPT13_lli.uses_vcc, 1
	.set _ZN12_GLOBAL__N_135rocblas_gemm_batched_general_kernelIfLi16ELi16ELi32ELi32ELi8ELi32ELi8ELi8ELi32ELc84ELc67EK16rocblas_bfloat16S2_S1_EEvlllT_PT11_llS5_llS3_PT12_llPT13_lli.uses_flat_scratch, 0
	.set _ZN12_GLOBAL__N_135rocblas_gemm_batched_general_kernelIfLi16ELi16ELi32ELi32ELi8ELi32ELi8ELi8ELi32ELc84ELc67EK16rocblas_bfloat16S2_S1_EEvlllT_PT11_llS5_llS3_PT12_llPT13_lli.has_dyn_sized_stack, 0
	.set _ZN12_GLOBAL__N_135rocblas_gemm_batched_general_kernelIfLi16ELi16ELi32ELi32ELi8ELi32ELi8ELi8ELi32ELc84ELc67EK16rocblas_bfloat16S2_S1_EEvlllT_PT11_llS5_llS3_PT12_llPT13_lli.has_recursion, 0
	.set _ZN12_GLOBAL__N_135rocblas_gemm_batched_general_kernelIfLi16ELi16ELi32ELi32ELi8ELi32ELi8ELi8ELi32ELc84ELc67EK16rocblas_bfloat16S2_S1_EEvlllT_PT11_llS5_llS3_PT12_llPT13_lli.has_indirect_call, 0
	.section	.AMDGPU.csdata,"",@progbits
; Kernel info:
; codeLenInByte = 2900
; TotalNumSgprs: 32
; NumVgprs: 44
; ScratchSize: 0
; MemoryBound: 0
; FloatMode: 240
; IeeeMode: 1
; LDSByteSize: 2048 bytes/workgroup (compile time only)
; SGPRBlocks: 0
; VGPRBlocks: 5
; NumSGPRsForWavesPerEU: 32
; NumVGPRsForWavesPerEU: 44
; Occupancy: 16
; WaveLimiterHint : 0
; COMPUTE_PGM_RSRC2:SCRATCH_EN: 0
; COMPUTE_PGM_RSRC2:USER_SGPR: 6
; COMPUTE_PGM_RSRC2:TRAP_HANDLER: 0
; COMPUTE_PGM_RSRC2:TGID_X_EN: 1
; COMPUTE_PGM_RSRC2:TGID_Y_EN: 1
; COMPUTE_PGM_RSRC2:TGID_Z_EN: 1
; COMPUTE_PGM_RSRC2:TIDIG_COMP_CNT: 1
	.section	.text._ZN12_GLOBAL__N_127rocblas_gemm_batched_kernelIfLi16ELi16ELi64ELi64ELi4ELi64ELi4ELi4ELi64ELc78ELc78EK16rocblas_bfloat16KffEEvlllT_PT11_llS6_llS4_PT12_llPT13_lli,"axG",@progbits,_ZN12_GLOBAL__N_127rocblas_gemm_batched_kernelIfLi16ELi16ELi64ELi64ELi4ELi64ELi4ELi4ELi64ELc78ELc78EK16rocblas_bfloat16KffEEvlllT_PT11_llS6_llS4_PT12_llPT13_lli,comdat
	.globl	_ZN12_GLOBAL__N_127rocblas_gemm_batched_kernelIfLi16ELi16ELi64ELi64ELi4ELi64ELi4ELi4ELi64ELc78ELc78EK16rocblas_bfloat16KffEEvlllT_PT11_llS6_llS4_PT12_llPT13_lli ; -- Begin function _ZN12_GLOBAL__N_127rocblas_gemm_batched_kernelIfLi16ELi16ELi64ELi64ELi4ELi64ELi4ELi4ELi64ELc78ELc78EK16rocblas_bfloat16KffEEvlllT_PT11_llS6_llS4_PT12_llPT13_lli
	.p2align	8
	.type	_ZN12_GLOBAL__N_127rocblas_gemm_batched_kernelIfLi16ELi16ELi64ELi64ELi4ELi64ELi4ELi4ELi64ELc78ELc78EK16rocblas_bfloat16KffEEvlllT_PT11_llS6_llS4_PT12_llPT13_lli,@function
_ZN12_GLOBAL__N_127rocblas_gemm_batched_kernelIfLi16ELi16ELi64ELi64ELi4ELi64ELi4ELi4ELi64ELc78ELc78EK16rocblas_bfloat16KffEEvlllT_PT11_llS6_llS4_PT12_llPT13_lli: ; @_ZN12_GLOBAL__N_127rocblas_gemm_batched_kernelIfLi16ELi16ELi64ELi64ELi4ELi64ELi4ELi4ELi64ELc78ELc78EK16rocblas_bfloat16KffEEvlllT_PT11_llS6_llS4_PT12_llPT13_lli
; %bb.0:
	s_load_dwordx2 s[20:21], s[4:5], 0x10
	s_mov_b32 s0, s7
	v_mov_b32_e32 v19, 0
	v_mov_b32_e32 v21, 0
	;; [unrolled: 1-line block ×16, first 2 shown]
	s_ashr_i32 s7, s6, 31
	s_ashr_i32 s1, s0, 31
	s_waitcnt lgkmcnt(0)
	v_cmp_lt_i64_e64 s2, s[20:21], 1
	s_lshl_b64 s[6:7], s[6:7], 6
	s_lshl_b64 s[10:11], s[0:1], 6
	s_and_b32 vcc_lo, exec_lo, s2
	s_cbranch_vccnz .LBB445_3
; %bb.1:
	v_lshlrev_b32_e32 v4, 4, v1
	s_clause 0x1
	s_load_dwordx4 s[0:3], s[4:5], 0x40
	s_load_dwordx8 s[12:19], s[4:5], 0x20
	v_and_b32_e32 v7, 3, v0
	v_lshlrev_b32_e32 v22, 2, v0
	v_add_nc_u32_e32 v2, v4, v0
	v_add_nc_u32_e32 v23, 0x400, v4
	v_mov_b32_e32 v14, 0
	v_lshlrev_b32_e32 v8, 2, v7
	v_mov_b32_e32 v15, 0
	v_lshrrev_b32_e32 v5, 2, v2
	v_and_b32_e32 v9, 63, v2
	v_lshrrev_b32_e32 v10, 6, v2
	v_mov_b32_e32 v16, 0
	v_mov_b32_e32 v17, 0
	v_add_co_u32 v3, s9, v5, s10
	v_add_co_ci_u32_e64 v6, null, 0, s11, s9
	v_lshl_or_b32 v5, v5, 4, v8
	v_lshlrev_b32_e32 v13, 2, v9
	s_waitcnt lgkmcnt(0)
	v_mul_lo_u32 v11, s1, v3
	v_mul_lo_u32 v12, s0, v6
	v_mad_u64_u32 v[2:3], null, s0, v3, 0
	v_add_nc_u32_e32 v25, 0x400, v5
	v_mad_u64_u32 v[4:5], null, s14, v10, s[6:7]
	s_mul_i32 s1, s3, s8
	s_mul_hi_u32 s3, s2, s8
	s_mul_i32 s0, s2, s8
	v_add3_u32 v3, v3, v12, v11
	s_add_i32 s1, s3, s1
	v_mov_b32_e32 v6, 0
	s_lshl_b64 s[0:1], s[0:1], 1
	s_mul_i32 s2, s17, s8
	v_lshlrev_b64 v[2:3], 1, v[2:3]
	v_lshl_or_b32 v24, v10, 8, v13
	v_mov_b32_e32 v12, 0
	v_mov_b32_e32 v13, 0
	;; [unrolled: 1-line block ×4, first 2 shown]
	v_add_co_u32 v8, vcc_lo, v2, s0
	v_add_co_ci_u32_e64 v11, null, s1, v3, vcc_lo
	v_mad_u64_u32 v[2:3], null, s15, v10, v[5:6]
	v_add_co_u32 v3, vcc_lo, v4, v9
	v_lshlrev_b32_e32 v5, 1, v7
	s_mul_hi_u32 s0, s16, s8
	v_mov_b32_e32 v9, 0
	s_add_i32 s1, s0, s2
	v_add_co_ci_u32_e64 v4, null, 0, v2, vcc_lo
	v_add_co_u32 v2, vcc_lo, v8, v5
	s_mul_i32 s0, s16, s8
	v_lshlrev_b64 v[4:5], 1, v[3:4]
	v_add_co_ci_u32_e64 v7, null, 0, v11, vcc_lo
	s_lshl_b64 s[0:1], s[0:1], 1
	v_add_co_u32 v2, vcc_lo, s18, v2
	s_add_u32 s0, s12, s0
	v_add_co_ci_u32_e64 v3, null, s19, v7, vcc_lo
	s_addc_u32 s1, s13, s1
	v_add_co_u32 v4, vcc_lo, s0, v4
	v_add_co_ci_u32_e64 v5, null, s1, v5, vcc_lo
	v_mov_b32_e32 v7, 0
	v_mov_b32_e32 v8, 0
	;; [unrolled: 1-line block ×6, first 2 shown]
	s_lshl_b64 s[0:1], s[14:15], 3
	s_mov_b64 s[2:3], 0
.LBB445_2:                              ; =>This Inner Loop Header: Depth=1
	global_load_ushort v26, v[4:5], off
	global_load_ushort v27, v[2:3], off
	s_add_u32 s2, s2, 4
	s_addc_u32 s3, s3, 0
	v_add_co_u32 v2, vcc_lo, v2, 8
	v_cmp_lt_i64_e64 s9, s[2:3], s[20:21]
	v_add_co_ci_u32_e64 v3, null, 0, v3, vcc_lo
	v_add_co_u32 v4, vcc_lo, v4, s0
	v_add_co_ci_u32_e64 v5, null, s1, v5, vcc_lo
	s_and_b32 vcc_lo, exec_lo, s9
	s_waitcnt vmcnt(1)
	v_lshlrev_b32_e32 v26, 16, v26
	s_waitcnt vmcnt(0)
	v_lshlrev_b32_e32 v27, 16, v27
	ds_write_b32 v24, v26
	ds_write_b32 v25, v27
	s_waitcnt lgkmcnt(0)
	s_barrier
	buffer_gl0_inv
	ds_read_b128 v[26:29], v23
	ds_read2_b32 v[42:43], v22 offset1:16
	ds_read2_b32 v[44:45], v22 offset0:32 offset1:48
	ds_read_b128 v[30:33], v23 offset:256
	ds_read_b128 v[34:37], v23 offset:512
	;; [unrolled: 1-line block ×3, first 2 shown]
	ds_read2_b32 v[46:47], v22 offset0:64 offset1:80
	ds_read2_b32 v[48:49], v22 offset0:96 offset1:112
	;; [unrolled: 1-line block ×6, first 2 shown]
	s_waitcnt lgkmcnt(0)
	s_barrier
	buffer_gl0_inv
	v_fmac_f32_e32 v19, v42, v26
	v_fmac_f32_e32 v21, v43, v26
	;; [unrolled: 1-line block ×64, first 2 shown]
	s_cbranch_vccnz .LBB445_2
.LBB445_3:
	s_clause 0x3
	s_load_dwordx4 s[0:3], s[4:5], 0x78
	s_load_dword s9, s[4:5], 0x50
	s_load_dwordx8 s[12:19], s[4:5], 0x58
	s_load_dword s4, s[4:5], 0x18
	v_add_co_u32 v3, s5, s6, v0
	v_add_co_ci_u32_e64 v4, null, s7, 0, s5
	v_add_co_u32 v2, s5, s10, v1
	v_add_co_ci_u32_e64 v5, null, s11, 0, s5
	v_lshlrev_b64 v[0:1], 2, v[3:4]
	s_waitcnt lgkmcnt(0)
	s_mul_i32 s3, s3, s8
	s_mul_hi_u32 s5, s2, s8
	v_mul_lo_u32 v3, v5, s0
	v_mul_lo_u32 v4, v2, s1
	s_mul_i32 s2, s2, s8
	v_cmp_neq_f32_e64 s6, s9, 0
	s_add_i32 s3, s5, s3
	s_mov_b32 s5, 0
	s_lshl_b64 s[2:3], s[2:3], 2
	s_add_u32 s2, s18, s2
	s_addc_u32 s3, s19, s3
	s_and_b32 vcc_lo, exec_lo, s6
	s_cbranch_vccnz .LBB445_7
; %bb.4:
	v_mad_u64_u32 v[22:23], null, v2, s0, 0
	s_lshl_b64 s[6:7], s[0:1], 6
	v_mul_f32_e32 v26, s4, v19
	v_mul_f32_e32 v27, s4, v21
	;; [unrolled: 1-line block ×5, first 2 shown]
	v_add3_u32 v23, v23, v4, v3
	v_mul_f32_e32 v31, s4, v16
	v_mul_f32_e32 v32, s4, v15
	;; [unrolled: 1-line block ×3, first 2 shown]
	v_lshlrev_b64 v[22:23], 2, v[22:23]
	v_add_co_u32 v22, vcc_lo, s2, v22
	v_add_co_ci_u32_e64 v23, null, s3, v23, vcc_lo
	v_add_co_u32 v34, vcc_lo, v22, s6
	v_add_co_ci_u32_e64 v35, null, s7, v23, vcc_lo
	;; [unrolled: 2-line block ×4, first 2 shown]
	global_store_dword v[22:23], v26, off
	global_store_dword v[22:23], v27, off offset:64
	global_store_dword v[22:23], v28, off offset:128
	;; [unrolled: 1-line block ×3, first 2 shown]
	global_store_dword v[24:25], v30, off
	global_store_dword v[24:25], v31, off offset:64
	v_add_co_u32 v26, vcc_lo, v34, s6
	v_add_co_ci_u32_e64 v27, null, s7, v35, vcc_lo
	v_mul_f32_e32 v28, s4, v13
	v_add_co_u32 v22, vcc_lo, v26, v0
	v_add_co_ci_u32_e64 v23, null, v27, v1, vcc_lo
	v_mul_f32_e32 v29, s4, v12
	v_mul_f32_e32 v30, s4, v11
	global_store_dword v[24:25], v32, off offset:128
	global_store_dword v[24:25], v33, off offset:192
	global_store_dword v[22:23], v28, off
	global_store_dword v[22:23], v29, off offset:64
	global_store_dword v[22:23], v30, off offset:128
	v_add_co_u32 v24, vcc_lo, v26, s6
	v_add_co_ci_u32_e64 v25, null, s7, v27, vcc_lo
	v_mul_f32_e32 v28, s4, v10
	v_add_co_u32 v24, vcc_lo, v24, v0
	v_mul_f32_e32 v26, s4, v9
	v_add_co_ci_u32_e64 v25, null, v25, v1, vcc_lo
	v_mul_f32_e32 v27, s4, v8
	v_mul_f32_e32 v29, s4, v7
	;; [unrolled: 1-line block ×3, first 2 shown]
	global_store_dword v[22:23], v28, off offset:192
	global_store_dword v[24:25], v26, off
	global_store_dword v[24:25], v27, off offset:64
	global_store_dword v[24:25], v29, off offset:128
	;; [unrolled: 1-line block ×3, first 2 shown]
	s_andn2_b32 vcc_lo, exec_lo, s5
	s_cbranch_vccnz .LBB445_6
.LBB445_5:
	v_mul_lo_u32 v5, v5, s14
	v_mul_lo_u32 v24, v2, s15
	v_mad_u64_u32 v[22:23], null, v2, s14, 0
	s_mul_i32 s5, s17, s8
	s_mul_hi_u32 s7, s16, s8
	s_mul_i32 s6, s16, s8
	s_add_i32 s7, s7, s5
	s_lshl_b64 s[6:7], s[6:7], 2
	v_add3_u32 v23, v23, v24, v5
	s_add_u32 s5, s12, s6
	s_addc_u32 s6, s13, s7
	v_mad_u64_u32 v[24:25], null, v2, s0, 0
	v_lshlrev_b64 v[22:23], 2, v[22:23]
	s_lshl_b64 s[0:1], s[0:1], 6
	v_add3_u32 v25, v25, v4, v3
	v_add_co_u32 v5, vcc_lo, s5, v22
	v_add_co_ci_u32_e64 v26, null, s6, v23, vcc_lo
	v_lshlrev_b64 v[2:3], 2, v[24:25]
	v_add_co_u32 v22, vcc_lo, v5, v0
	v_add_co_ci_u32_e64 v23, null, v26, v1, vcc_lo
	v_add_co_u32 v24, vcc_lo, s2, v2
	global_load_dword v27, v[22:23], off
	v_add_co_ci_u32_e64 v25, null, s3, v3, vcc_lo
	v_add_co_u32 v2, vcc_lo, v24, v0
	s_lshl_b64 s[2:3], s[14:15], 6
	v_add_co_ci_u32_e64 v3, null, v25, v1, vcc_lo
	s_waitcnt vmcnt(0)
	v_mul_f32_e32 v4, s9, v27
	v_fmac_f32_e32 v4, s4, v19
	global_store_dword v[2:3], v4, off
	global_load_dword v4, v[22:23], off offset:64
	s_waitcnt vmcnt(0)
	v_mul_f32_e32 v4, s9, v4
	v_fmac_f32_e32 v4, s4, v21
	global_store_dword v[2:3], v4, off offset:64
	global_load_dword v4, v[22:23], off offset:128
	s_waitcnt vmcnt(0)
	v_mul_f32_e32 v4, s9, v4
	v_fmac_f32_e32 v4, s4, v20
	v_add_co_u32 v20, vcc_lo, v5, s2
	v_add_co_ci_u32_e64 v21, null, s3, v26, vcc_lo
	global_store_dword v[2:3], v4, off offset:128
	global_load_dword v4, v[22:23], off offset:192
	s_waitcnt vmcnt(0)
	v_mul_f32_e32 v19, s9, v4
	v_add_co_u32 v4, vcc_lo, v20, v0
	v_add_co_ci_u32_e64 v5, null, v21, v1, vcc_lo
	v_fmac_f32_e32 v19, s4, v18
	v_add_co_u32 v18, vcc_lo, v24, s0
	global_store_dword v[2:3], v19, off offset:192
	global_load_dword v2, v[4:5], off
	v_add_co_ci_u32_e64 v19, null, s1, v25, vcc_lo
	s_waitcnt vmcnt(0)
	v_mul_f32_e32 v22, s9, v2
	v_add_co_u32 v2, vcc_lo, v18, v0
	v_add_co_ci_u32_e64 v3, null, v19, v1, vcc_lo
	v_fmac_f32_e32 v22, s4, v17
	global_store_dword v[2:3], v22, off
	global_load_dword v17, v[4:5], off offset:64
	s_waitcnt vmcnt(0)
	v_mul_f32_e32 v17, s9, v17
	v_fmac_f32_e32 v17, s4, v16
	global_store_dword v[2:3], v17, off offset:64
	global_load_dword v16, v[4:5], off offset:128
	s_waitcnt vmcnt(0)
	v_mul_f32_e32 v16, s9, v16
	v_fmac_f32_e32 v16, s4, v15
	global_store_dword v[2:3], v16, off offset:128
	global_load_dword v4, v[4:5], off offset:192
	v_add_co_u32 v16, vcc_lo, v20, s2
	v_add_co_ci_u32_e64 v17, null, s3, v21, vcc_lo
	s_waitcnt vmcnt(0)
	v_mul_f32_e32 v15, s9, v4
	v_add_co_u32 v4, vcc_lo, v16, v0
	v_add_co_ci_u32_e64 v5, null, v17, v1, vcc_lo
	v_fmac_f32_e32 v15, s4, v14
	v_add_co_u32 v14, vcc_lo, v18, s0
	global_store_dword v[2:3], v15, off offset:192
	global_load_dword v2, v[4:5], off
	v_add_co_ci_u32_e64 v15, null, s1, v19, vcc_lo
	s_waitcnt vmcnt(0)
	v_mul_f32_e32 v18, s9, v2
	v_add_co_u32 v2, vcc_lo, v14, v0
	v_add_co_ci_u32_e64 v3, null, v15, v1, vcc_lo
	v_fmac_f32_e32 v18, s4, v13
	global_store_dword v[2:3], v18, off
	global_load_dword v13, v[4:5], off offset:64
	s_waitcnt vmcnt(0)
	v_mul_f32_e32 v13, s9, v13
	v_fmac_f32_e32 v13, s4, v12
	global_store_dword v[2:3], v13, off offset:64
	global_load_dword v12, v[4:5], off offset:128
	s_waitcnt vmcnt(0)
	v_mul_f32_e32 v12, s9, v12
	v_fmac_f32_e32 v12, s4, v11
	global_store_dword v[2:3], v12, off offset:128
	global_load_dword v4, v[4:5], off offset:192
	s_waitcnt vmcnt(0)
	v_mul_f32_e32 v11, s9, v4
	v_add_co_u32 v4, vcc_lo, v16, s2
	v_add_co_ci_u32_e64 v5, null, s3, v17, vcc_lo
	v_fmac_f32_e32 v11, s4, v10
	v_add_co_u32 v4, vcc_lo, v4, v0
	v_add_co_ci_u32_e64 v5, null, v5, v1, vcc_lo
	global_store_dword v[2:3], v11, off offset:192
	v_add_co_u32 v3, vcc_lo, v14, s0
	global_load_dword v2, v[4:5], off
	v_add_co_ci_u32_e64 v10, null, s1, v15, vcc_lo
	v_add_co_u32 v0, vcc_lo, v3, v0
	v_add_co_ci_u32_e64 v1, null, v10, v1, vcc_lo
	s_waitcnt vmcnt(0)
	v_mul_f32_e32 v2, s9, v2
	v_fmac_f32_e32 v2, s4, v9
	global_store_dword v[0:1], v2, off
	global_load_dword v2, v[4:5], off offset:64
	s_waitcnt vmcnt(0)
	v_mul_f32_e32 v2, s9, v2
	v_fmac_f32_e32 v2, s4, v8
	global_store_dword v[0:1], v2, off offset:64
	global_load_dword v2, v[4:5], off offset:128
	s_waitcnt vmcnt(0)
	v_mul_f32_e32 v2, s9, v2
	v_fmac_f32_e32 v2, s4, v7
	global_store_dword v[0:1], v2, off offset:128
	;; [unrolled: 5-line block ×3, first 2 shown]
.LBB445_6:
	s_endpgm
.LBB445_7:
	s_branch .LBB445_5
	.section	.rodata,"a",@progbits
	.p2align	6, 0x0
	.amdhsa_kernel _ZN12_GLOBAL__N_127rocblas_gemm_batched_kernelIfLi16ELi16ELi64ELi64ELi4ELi64ELi4ELi4ELi64ELc78ELc78EK16rocblas_bfloat16KffEEvlllT_PT11_llS6_llS4_PT12_llPT13_lli
		.amdhsa_group_segment_fixed_size 2048
		.amdhsa_private_segment_fixed_size 0
		.amdhsa_kernarg_size 140
		.amdhsa_user_sgpr_count 6
		.amdhsa_user_sgpr_private_segment_buffer 1
		.amdhsa_user_sgpr_dispatch_ptr 0
		.amdhsa_user_sgpr_queue_ptr 0
		.amdhsa_user_sgpr_kernarg_segment_ptr 1
		.amdhsa_user_sgpr_dispatch_id 0
		.amdhsa_user_sgpr_flat_scratch_init 0
		.amdhsa_user_sgpr_private_segment_size 0
		.amdhsa_wavefront_size32 1
		.amdhsa_uses_dynamic_stack 0
		.amdhsa_system_sgpr_private_segment_wavefront_offset 0
		.amdhsa_system_sgpr_workgroup_id_x 1
		.amdhsa_system_sgpr_workgroup_id_y 1
		.amdhsa_system_sgpr_workgroup_id_z 1
		.amdhsa_system_sgpr_workgroup_info 0
		.amdhsa_system_vgpr_workitem_id 1
		.amdhsa_next_free_vgpr 58
		.amdhsa_next_free_sgpr 22
		.amdhsa_reserve_vcc 1
		.amdhsa_reserve_flat_scratch 0
		.amdhsa_float_round_mode_32 0
		.amdhsa_float_round_mode_16_64 0
		.amdhsa_float_denorm_mode_32 3
		.amdhsa_float_denorm_mode_16_64 3
		.amdhsa_dx10_clamp 1
		.amdhsa_ieee_mode 1
		.amdhsa_fp16_overflow 0
		.amdhsa_workgroup_processor_mode 1
		.amdhsa_memory_ordered 1
		.amdhsa_forward_progress 1
		.amdhsa_shared_vgpr_count 0
		.amdhsa_exception_fp_ieee_invalid_op 0
		.amdhsa_exception_fp_denorm_src 0
		.amdhsa_exception_fp_ieee_div_zero 0
		.amdhsa_exception_fp_ieee_overflow 0
		.amdhsa_exception_fp_ieee_underflow 0
		.amdhsa_exception_fp_ieee_inexact 0
		.amdhsa_exception_int_div_zero 0
	.end_amdhsa_kernel
	.section	.text._ZN12_GLOBAL__N_127rocblas_gemm_batched_kernelIfLi16ELi16ELi64ELi64ELi4ELi64ELi4ELi4ELi64ELc78ELc78EK16rocblas_bfloat16KffEEvlllT_PT11_llS6_llS4_PT12_llPT13_lli,"axG",@progbits,_ZN12_GLOBAL__N_127rocblas_gemm_batched_kernelIfLi16ELi16ELi64ELi64ELi4ELi64ELi4ELi4ELi64ELc78ELc78EK16rocblas_bfloat16KffEEvlllT_PT11_llS6_llS4_PT12_llPT13_lli,comdat
.Lfunc_end445:
	.size	_ZN12_GLOBAL__N_127rocblas_gemm_batched_kernelIfLi16ELi16ELi64ELi64ELi4ELi64ELi4ELi4ELi64ELc78ELc78EK16rocblas_bfloat16KffEEvlllT_PT11_llS6_llS4_PT12_llPT13_lli, .Lfunc_end445-_ZN12_GLOBAL__N_127rocblas_gemm_batched_kernelIfLi16ELi16ELi64ELi64ELi4ELi64ELi4ELi4ELi64ELc78ELc78EK16rocblas_bfloat16KffEEvlllT_PT11_llS6_llS4_PT12_llPT13_lli
                                        ; -- End function
	.set _ZN12_GLOBAL__N_127rocblas_gemm_batched_kernelIfLi16ELi16ELi64ELi64ELi4ELi64ELi4ELi4ELi64ELc78ELc78EK16rocblas_bfloat16KffEEvlllT_PT11_llS6_llS4_PT12_llPT13_lli.num_vgpr, 58
	.set _ZN12_GLOBAL__N_127rocblas_gemm_batched_kernelIfLi16ELi16ELi64ELi64ELi4ELi64ELi4ELi4ELi64ELc78ELc78EK16rocblas_bfloat16KffEEvlllT_PT11_llS6_llS4_PT12_llPT13_lli.num_agpr, 0
	.set _ZN12_GLOBAL__N_127rocblas_gemm_batched_kernelIfLi16ELi16ELi64ELi64ELi4ELi64ELi4ELi4ELi64ELc78ELc78EK16rocblas_bfloat16KffEEvlllT_PT11_llS6_llS4_PT12_llPT13_lli.numbered_sgpr, 22
	.set _ZN12_GLOBAL__N_127rocblas_gemm_batched_kernelIfLi16ELi16ELi64ELi64ELi4ELi64ELi4ELi4ELi64ELc78ELc78EK16rocblas_bfloat16KffEEvlllT_PT11_llS6_llS4_PT12_llPT13_lli.num_named_barrier, 0
	.set _ZN12_GLOBAL__N_127rocblas_gemm_batched_kernelIfLi16ELi16ELi64ELi64ELi4ELi64ELi4ELi4ELi64ELc78ELc78EK16rocblas_bfloat16KffEEvlllT_PT11_llS6_llS4_PT12_llPT13_lli.private_seg_size, 0
	.set _ZN12_GLOBAL__N_127rocblas_gemm_batched_kernelIfLi16ELi16ELi64ELi64ELi4ELi64ELi4ELi4ELi64ELc78ELc78EK16rocblas_bfloat16KffEEvlllT_PT11_llS6_llS4_PT12_llPT13_lli.uses_vcc, 1
	.set _ZN12_GLOBAL__N_127rocblas_gemm_batched_kernelIfLi16ELi16ELi64ELi64ELi4ELi64ELi4ELi4ELi64ELc78ELc78EK16rocblas_bfloat16KffEEvlllT_PT11_llS6_llS4_PT12_llPT13_lli.uses_flat_scratch, 0
	.set _ZN12_GLOBAL__N_127rocblas_gemm_batched_kernelIfLi16ELi16ELi64ELi64ELi4ELi64ELi4ELi4ELi64ELc78ELc78EK16rocblas_bfloat16KffEEvlllT_PT11_llS6_llS4_PT12_llPT13_lli.has_dyn_sized_stack, 0
	.set _ZN12_GLOBAL__N_127rocblas_gemm_batched_kernelIfLi16ELi16ELi64ELi64ELi4ELi64ELi4ELi4ELi64ELc78ELc78EK16rocblas_bfloat16KffEEvlllT_PT11_llS6_llS4_PT12_llPT13_lli.has_recursion, 0
	.set _ZN12_GLOBAL__N_127rocblas_gemm_batched_kernelIfLi16ELi16ELi64ELi64ELi4ELi64ELi4ELi4ELi64ELc78ELc78EK16rocblas_bfloat16KffEEvlllT_PT11_llS6_llS4_PT12_llPT13_lli.has_indirect_call, 0
	.section	.AMDGPU.csdata,"",@progbits
; Kernel info:
; codeLenInByte = 2288
; TotalNumSgprs: 24
; NumVgprs: 58
; ScratchSize: 0
; MemoryBound: 0
; FloatMode: 240
; IeeeMode: 1
; LDSByteSize: 2048 bytes/workgroup (compile time only)
; SGPRBlocks: 0
; VGPRBlocks: 7
; NumSGPRsForWavesPerEU: 24
; NumVGPRsForWavesPerEU: 58
; Occupancy: 16
; WaveLimiterHint : 0
; COMPUTE_PGM_RSRC2:SCRATCH_EN: 0
; COMPUTE_PGM_RSRC2:USER_SGPR: 6
; COMPUTE_PGM_RSRC2:TRAP_HANDLER: 0
; COMPUTE_PGM_RSRC2:TGID_X_EN: 1
; COMPUTE_PGM_RSRC2:TGID_Y_EN: 1
; COMPUTE_PGM_RSRC2:TGID_Z_EN: 1
; COMPUTE_PGM_RSRC2:TIDIG_COMP_CNT: 1
	.section	.text._ZN12_GLOBAL__N_127rocblas_gemm_batched_kernelIfLi16ELi16ELi64ELi64ELi4ELi64ELi4ELi4ELi64ELc84ELc78EK16rocblas_bfloat16KffEEvlllT_PT11_llS6_llS4_PT12_llPT13_lli,"axG",@progbits,_ZN12_GLOBAL__N_127rocblas_gemm_batched_kernelIfLi16ELi16ELi64ELi64ELi4ELi64ELi4ELi4ELi64ELc84ELc78EK16rocblas_bfloat16KffEEvlllT_PT11_llS6_llS4_PT12_llPT13_lli,comdat
	.globl	_ZN12_GLOBAL__N_127rocblas_gemm_batched_kernelIfLi16ELi16ELi64ELi64ELi4ELi64ELi4ELi4ELi64ELc84ELc78EK16rocblas_bfloat16KffEEvlllT_PT11_llS6_llS4_PT12_llPT13_lli ; -- Begin function _ZN12_GLOBAL__N_127rocblas_gemm_batched_kernelIfLi16ELi16ELi64ELi64ELi4ELi64ELi4ELi4ELi64ELc84ELc78EK16rocblas_bfloat16KffEEvlllT_PT11_llS6_llS4_PT12_llPT13_lli
	.p2align	8
	.type	_ZN12_GLOBAL__N_127rocblas_gemm_batched_kernelIfLi16ELi16ELi64ELi64ELi4ELi64ELi4ELi4ELi64ELc84ELc78EK16rocblas_bfloat16KffEEvlllT_PT11_llS6_llS4_PT12_llPT13_lli,@function
_ZN12_GLOBAL__N_127rocblas_gemm_batched_kernelIfLi16ELi16ELi64ELi64ELi4ELi64ELi4ELi4ELi64ELc84ELc78EK16rocblas_bfloat16KffEEvlllT_PT11_llS6_llS4_PT12_llPT13_lli: ; @_ZN12_GLOBAL__N_127rocblas_gemm_batched_kernelIfLi16ELi16ELi64ELi64ELi4ELi64ELi4ELi4ELi64ELc84ELc78EK16rocblas_bfloat16KffEEvlllT_PT11_llS6_llS4_PT12_llPT13_lli
; %bb.0:
	s_load_dwordx2 s[20:21], s[4:5], 0x10
	s_mov_b32 s0, s7
	v_mov_b32_e32 v19, 0
	v_mov_b32_e32 v21, 0
	;; [unrolled: 1-line block ×16, first 2 shown]
	s_ashr_i32 s7, s6, 31
	s_ashr_i32 s1, s0, 31
	s_waitcnt lgkmcnt(0)
	v_cmp_lt_i64_e64 s2, s[20:21], 1
	s_lshl_b64 s[6:7], s[6:7], 6
	s_lshl_b64 s[10:11], s[0:1], 6
	s_and_b32 vcc_lo, exec_lo, s2
	s_cbranch_vccnz .LBB446_3
; %bb.1:
	v_lshlrev_b32_e32 v7, 4, v1
	s_clause 0x1
	s_load_dwordx4 s[0:3], s[4:5], 0x40
	s_load_dwordx8 s[12:19], s[4:5], 0x20
	v_and_b32_e32 v8, 3, v0
	v_mov_b32_e32 v6, 0
	v_add_nc_u32_e32 v2, v7, v0
	v_add_nc_u32_e32 v25, 0x400, v7
	v_lshlrev_b32_e32 v22, 2, v0
	v_lshlrev_b32_e32 v4, 2, v8
	v_mov_b32_e32 v14, 0
	v_lshrrev_b32_e32 v3, 2, v2
	v_and_b32_e32 v5, 63, v2
	v_lshrrev_b32_e32 v11, 6, v2
	v_mov_b32_e32 v15, 0
	v_mov_b32_e32 v16, 0
	v_add_co_u32 v9, s9, v3, s10
	v_add_co_ci_u32_e64 v10, null, 0, s11, s9
	v_lshl_or_b32 v4, v3, 4, v4
	v_lshlrev_b32_e32 v12, 2, v5
	s_waitcnt lgkmcnt(0)
	v_mul_lo_u32 v13, s1, v9
	v_mul_lo_u32 v10, s0, v10
	v_mad_u64_u32 v[2:3], null, s0, v9, 0
	v_add_co_u32 v5, s0, s6, v5
	v_add_co_ci_u32_e64 v9, null, s7, 0, s0
	v_lshl_or_b32 v23, v11, 8, v12
	v_add_nc_u32_e32 v24, 0x400, v4
	v_mul_lo_u32 v12, s15, v5
	v_add3_u32 v3, v3, v10, v13
	v_mul_lo_u32 v9, s14, v9
	v_mad_u64_u32 v[4:5], null, s14, v5, 0
	s_mul_i32 s0, s3, s8
	s_mul_hi_u32 s1, s2, s8
	v_lshlrev_b64 v[2:3], 1, v[2:3]
	s_add_i32 s1, s1, s0
	s_mul_i32 s0, s2, s8
	v_mov_b32_e32 v10, 0
	v_add3_u32 v5, v5, v9, v12
	s_lshl_b64 s[0:1], s[0:1], 1
	v_mov_b32_e32 v12, 0
	v_add_co_u32 v7, vcc_lo, v2, s0
	v_add_co_ci_u32_e64 v9, null, s1, v3, vcc_lo
	s_mul_i32 s0, s17, s8
	s_mul_hi_u32 s1, s16, s8
	v_lshlrev_b64 v[2:3], 1, v[4:5]
	s_add_i32 s1, s1, s0
	s_mul_i32 s0, s16, s8
	v_lshlrev_b32_e32 v4, 1, v8
	s_lshl_b64 s[0:1], s[0:1], 1
	v_lshlrev_b32_e32 v5, 1, v11
	v_add_co_u32 v2, vcc_lo, v2, s0
	v_add_co_ci_u32_e64 v3, null, s1, v3, vcc_lo
	v_add_co_u32 v4, vcc_lo, v7, v4
	v_add_co_ci_u32_e64 v7, null, 0, v9, vcc_lo
	v_add_co_u32 v5, vcc_lo, v2, v5
	v_add_co_ci_u32_e64 v8, null, 0, v3, vcc_lo
	v_add_co_u32 v2, vcc_lo, s18, v4
	v_add_co_ci_u32_e64 v3, null, s19, v7, vcc_lo
	v_add_co_u32 v4, vcc_lo, s12, v5
	v_add_co_ci_u32_e64 v5, null, s13, v8, vcc_lo
	v_mov_b32_e32 v7, 0
	v_mov_b32_e32 v8, 0
	;; [unrolled: 1-line block ×10, first 2 shown]
	s_mov_b64 s[0:1], 0
.LBB446_2:                              ; =>This Inner Loop Header: Depth=1
	global_load_ushort v26, v[4:5], off
	global_load_ushort v27, v[2:3], off
	s_add_u32 s0, s0, 4
	s_addc_u32 s1, s1, 0
	v_add_co_u32 v2, vcc_lo, v2, 8
	v_cmp_lt_i64_e64 s2, s[0:1], s[20:21]
	v_add_co_ci_u32_e64 v3, null, 0, v3, vcc_lo
	v_add_co_u32 v4, vcc_lo, v4, 8
	v_add_co_ci_u32_e64 v5, null, 0, v5, vcc_lo
	s_and_b32 vcc_lo, exec_lo, s2
	s_waitcnt vmcnt(1)
	v_lshlrev_b32_e32 v26, 16, v26
	s_waitcnt vmcnt(0)
	v_lshlrev_b32_e32 v27, 16, v27
	ds_write_b32 v23, v26
	ds_write_b32 v24, v27
	s_waitcnt lgkmcnt(0)
	s_barrier
	buffer_gl0_inv
	ds_read_b128 v[26:29], v25
	ds_read2_b32 v[42:43], v22 offset1:16
	ds_read2_b32 v[44:45], v22 offset0:32 offset1:48
	ds_read_b128 v[30:33], v25 offset:256
	ds_read_b128 v[34:37], v25 offset:512
	;; [unrolled: 1-line block ×3, first 2 shown]
	ds_read2_b32 v[46:47], v22 offset0:64 offset1:80
	ds_read2_b32 v[48:49], v22 offset0:96 offset1:112
	;; [unrolled: 1-line block ×6, first 2 shown]
	s_waitcnt lgkmcnt(0)
	s_barrier
	buffer_gl0_inv
	v_fmac_f32_e32 v19, v42, v26
	v_fmac_f32_e32 v21, v43, v26
	;; [unrolled: 1-line block ×64, first 2 shown]
	s_cbranch_vccnz .LBB446_2
.LBB446_3:
	s_clause 0x3
	s_load_dwordx4 s[0:3], s[4:5], 0x78
	s_load_dword s9, s[4:5], 0x50
	s_load_dwordx8 s[12:19], s[4:5], 0x58
	s_load_dword s4, s[4:5], 0x18
	v_add_co_u32 v3, s5, s6, v0
	v_add_co_ci_u32_e64 v4, null, s7, 0, s5
	v_add_co_u32 v2, s5, s10, v1
	v_add_co_ci_u32_e64 v5, null, s11, 0, s5
	v_lshlrev_b64 v[0:1], 2, v[3:4]
	s_waitcnt lgkmcnt(0)
	s_mul_i32 s3, s3, s8
	s_mul_hi_u32 s5, s2, s8
	v_mul_lo_u32 v3, v5, s0
	v_mul_lo_u32 v4, v2, s1
	s_mul_i32 s2, s2, s8
	v_cmp_neq_f32_e64 s6, s9, 0
	s_add_i32 s3, s5, s3
	s_mov_b32 s5, 0
	s_lshl_b64 s[2:3], s[2:3], 2
	s_add_u32 s2, s18, s2
	s_addc_u32 s3, s19, s3
	s_and_b32 vcc_lo, exec_lo, s6
	s_cbranch_vccnz .LBB446_7
; %bb.4:
	v_mad_u64_u32 v[22:23], null, v2, s0, 0
	s_lshl_b64 s[6:7], s[0:1], 6
	v_mul_f32_e32 v26, s4, v19
	v_mul_f32_e32 v27, s4, v21
	;; [unrolled: 1-line block ×5, first 2 shown]
	v_add3_u32 v23, v23, v4, v3
	v_mul_f32_e32 v31, s4, v16
	v_mul_f32_e32 v32, s4, v15
	;; [unrolled: 1-line block ×3, first 2 shown]
	v_lshlrev_b64 v[22:23], 2, v[22:23]
	v_add_co_u32 v22, vcc_lo, s2, v22
	v_add_co_ci_u32_e64 v23, null, s3, v23, vcc_lo
	v_add_co_u32 v34, vcc_lo, v22, s6
	v_add_co_ci_u32_e64 v35, null, s7, v23, vcc_lo
	;; [unrolled: 2-line block ×4, first 2 shown]
	global_store_dword v[22:23], v26, off
	global_store_dword v[22:23], v27, off offset:64
	global_store_dword v[22:23], v28, off offset:128
	;; [unrolled: 1-line block ×3, first 2 shown]
	global_store_dword v[24:25], v30, off
	global_store_dword v[24:25], v31, off offset:64
	v_add_co_u32 v26, vcc_lo, v34, s6
	v_add_co_ci_u32_e64 v27, null, s7, v35, vcc_lo
	v_mul_f32_e32 v28, s4, v13
	v_add_co_u32 v22, vcc_lo, v26, v0
	v_add_co_ci_u32_e64 v23, null, v27, v1, vcc_lo
	v_mul_f32_e32 v29, s4, v12
	v_mul_f32_e32 v30, s4, v11
	global_store_dword v[24:25], v32, off offset:128
	global_store_dword v[24:25], v33, off offset:192
	global_store_dword v[22:23], v28, off
	global_store_dword v[22:23], v29, off offset:64
	global_store_dword v[22:23], v30, off offset:128
	v_add_co_u32 v24, vcc_lo, v26, s6
	v_add_co_ci_u32_e64 v25, null, s7, v27, vcc_lo
	v_mul_f32_e32 v28, s4, v10
	v_add_co_u32 v24, vcc_lo, v24, v0
	v_mul_f32_e32 v26, s4, v9
	v_add_co_ci_u32_e64 v25, null, v25, v1, vcc_lo
	v_mul_f32_e32 v27, s4, v8
	v_mul_f32_e32 v29, s4, v7
	;; [unrolled: 1-line block ×3, first 2 shown]
	global_store_dword v[22:23], v28, off offset:192
	global_store_dword v[24:25], v26, off
	global_store_dword v[24:25], v27, off offset:64
	global_store_dword v[24:25], v29, off offset:128
	global_store_dword v[24:25], v30, off offset:192
	s_andn2_b32 vcc_lo, exec_lo, s5
	s_cbranch_vccnz .LBB446_6
.LBB446_5:
	v_mul_lo_u32 v5, v5, s14
	v_mul_lo_u32 v24, v2, s15
	v_mad_u64_u32 v[22:23], null, v2, s14, 0
	s_mul_i32 s5, s17, s8
	s_mul_hi_u32 s7, s16, s8
	s_mul_i32 s6, s16, s8
	s_add_i32 s7, s7, s5
	s_lshl_b64 s[6:7], s[6:7], 2
	v_add3_u32 v23, v23, v24, v5
	s_add_u32 s5, s12, s6
	s_addc_u32 s6, s13, s7
	v_mad_u64_u32 v[24:25], null, v2, s0, 0
	v_lshlrev_b64 v[22:23], 2, v[22:23]
	s_lshl_b64 s[0:1], s[0:1], 6
	v_add3_u32 v25, v25, v4, v3
	v_add_co_u32 v5, vcc_lo, s5, v22
	v_add_co_ci_u32_e64 v26, null, s6, v23, vcc_lo
	v_lshlrev_b64 v[2:3], 2, v[24:25]
	v_add_co_u32 v22, vcc_lo, v5, v0
	v_add_co_ci_u32_e64 v23, null, v26, v1, vcc_lo
	v_add_co_u32 v24, vcc_lo, s2, v2
	global_load_dword v27, v[22:23], off
	v_add_co_ci_u32_e64 v25, null, s3, v3, vcc_lo
	v_add_co_u32 v2, vcc_lo, v24, v0
	s_lshl_b64 s[2:3], s[14:15], 6
	v_add_co_ci_u32_e64 v3, null, v25, v1, vcc_lo
	s_waitcnt vmcnt(0)
	v_mul_f32_e32 v4, s9, v27
	v_fmac_f32_e32 v4, s4, v19
	global_store_dword v[2:3], v4, off
	global_load_dword v4, v[22:23], off offset:64
	s_waitcnt vmcnt(0)
	v_mul_f32_e32 v4, s9, v4
	v_fmac_f32_e32 v4, s4, v21
	global_store_dword v[2:3], v4, off offset:64
	global_load_dword v4, v[22:23], off offset:128
	s_waitcnt vmcnt(0)
	v_mul_f32_e32 v4, s9, v4
	v_fmac_f32_e32 v4, s4, v20
	v_add_co_u32 v20, vcc_lo, v5, s2
	v_add_co_ci_u32_e64 v21, null, s3, v26, vcc_lo
	global_store_dword v[2:3], v4, off offset:128
	global_load_dword v4, v[22:23], off offset:192
	s_waitcnt vmcnt(0)
	v_mul_f32_e32 v19, s9, v4
	v_add_co_u32 v4, vcc_lo, v20, v0
	v_add_co_ci_u32_e64 v5, null, v21, v1, vcc_lo
	v_fmac_f32_e32 v19, s4, v18
	v_add_co_u32 v18, vcc_lo, v24, s0
	global_store_dword v[2:3], v19, off offset:192
	global_load_dword v2, v[4:5], off
	v_add_co_ci_u32_e64 v19, null, s1, v25, vcc_lo
	s_waitcnt vmcnt(0)
	v_mul_f32_e32 v22, s9, v2
	v_add_co_u32 v2, vcc_lo, v18, v0
	v_add_co_ci_u32_e64 v3, null, v19, v1, vcc_lo
	v_fmac_f32_e32 v22, s4, v17
	global_store_dword v[2:3], v22, off
	global_load_dword v17, v[4:5], off offset:64
	s_waitcnt vmcnt(0)
	v_mul_f32_e32 v17, s9, v17
	v_fmac_f32_e32 v17, s4, v16
	global_store_dword v[2:3], v17, off offset:64
	global_load_dword v16, v[4:5], off offset:128
	s_waitcnt vmcnt(0)
	v_mul_f32_e32 v16, s9, v16
	v_fmac_f32_e32 v16, s4, v15
	global_store_dword v[2:3], v16, off offset:128
	global_load_dword v4, v[4:5], off offset:192
	v_add_co_u32 v16, vcc_lo, v20, s2
	v_add_co_ci_u32_e64 v17, null, s3, v21, vcc_lo
	s_waitcnt vmcnt(0)
	v_mul_f32_e32 v15, s9, v4
	v_add_co_u32 v4, vcc_lo, v16, v0
	v_add_co_ci_u32_e64 v5, null, v17, v1, vcc_lo
	v_fmac_f32_e32 v15, s4, v14
	v_add_co_u32 v14, vcc_lo, v18, s0
	global_store_dword v[2:3], v15, off offset:192
	global_load_dword v2, v[4:5], off
	v_add_co_ci_u32_e64 v15, null, s1, v19, vcc_lo
	s_waitcnt vmcnt(0)
	v_mul_f32_e32 v18, s9, v2
	v_add_co_u32 v2, vcc_lo, v14, v0
	v_add_co_ci_u32_e64 v3, null, v15, v1, vcc_lo
	v_fmac_f32_e32 v18, s4, v13
	global_store_dword v[2:3], v18, off
	global_load_dword v13, v[4:5], off offset:64
	s_waitcnt vmcnt(0)
	v_mul_f32_e32 v13, s9, v13
	v_fmac_f32_e32 v13, s4, v12
	global_store_dword v[2:3], v13, off offset:64
	global_load_dword v12, v[4:5], off offset:128
	s_waitcnt vmcnt(0)
	v_mul_f32_e32 v12, s9, v12
	v_fmac_f32_e32 v12, s4, v11
	global_store_dword v[2:3], v12, off offset:128
	global_load_dword v4, v[4:5], off offset:192
	s_waitcnt vmcnt(0)
	v_mul_f32_e32 v11, s9, v4
	v_add_co_u32 v4, vcc_lo, v16, s2
	v_add_co_ci_u32_e64 v5, null, s3, v17, vcc_lo
	v_fmac_f32_e32 v11, s4, v10
	v_add_co_u32 v4, vcc_lo, v4, v0
	v_add_co_ci_u32_e64 v5, null, v5, v1, vcc_lo
	global_store_dword v[2:3], v11, off offset:192
	v_add_co_u32 v3, vcc_lo, v14, s0
	global_load_dword v2, v[4:5], off
	v_add_co_ci_u32_e64 v10, null, s1, v15, vcc_lo
	v_add_co_u32 v0, vcc_lo, v3, v0
	v_add_co_ci_u32_e64 v1, null, v10, v1, vcc_lo
	s_waitcnt vmcnt(0)
	v_mul_f32_e32 v2, s9, v2
	v_fmac_f32_e32 v2, s4, v9
	global_store_dword v[0:1], v2, off
	global_load_dword v2, v[4:5], off offset:64
	s_waitcnt vmcnt(0)
	v_mul_f32_e32 v2, s9, v2
	v_fmac_f32_e32 v2, s4, v8
	global_store_dword v[0:1], v2, off offset:64
	global_load_dword v2, v[4:5], off offset:128
	s_waitcnt vmcnt(0)
	v_mul_f32_e32 v2, s9, v2
	v_fmac_f32_e32 v2, s4, v7
	global_store_dword v[0:1], v2, off offset:128
	;; [unrolled: 5-line block ×3, first 2 shown]
.LBB446_6:
	s_endpgm
.LBB446_7:
	s_branch .LBB446_5
	.section	.rodata,"a",@progbits
	.p2align	6, 0x0
	.amdhsa_kernel _ZN12_GLOBAL__N_127rocblas_gemm_batched_kernelIfLi16ELi16ELi64ELi64ELi4ELi64ELi4ELi4ELi64ELc84ELc78EK16rocblas_bfloat16KffEEvlllT_PT11_llS6_llS4_PT12_llPT13_lli
		.amdhsa_group_segment_fixed_size 2048
		.amdhsa_private_segment_fixed_size 0
		.amdhsa_kernarg_size 140
		.amdhsa_user_sgpr_count 6
		.amdhsa_user_sgpr_private_segment_buffer 1
		.amdhsa_user_sgpr_dispatch_ptr 0
		.amdhsa_user_sgpr_queue_ptr 0
		.amdhsa_user_sgpr_kernarg_segment_ptr 1
		.amdhsa_user_sgpr_dispatch_id 0
		.amdhsa_user_sgpr_flat_scratch_init 0
		.amdhsa_user_sgpr_private_segment_size 0
		.amdhsa_wavefront_size32 1
		.amdhsa_uses_dynamic_stack 0
		.amdhsa_system_sgpr_private_segment_wavefront_offset 0
		.amdhsa_system_sgpr_workgroup_id_x 1
		.amdhsa_system_sgpr_workgroup_id_y 1
		.amdhsa_system_sgpr_workgroup_id_z 1
		.amdhsa_system_sgpr_workgroup_info 0
		.amdhsa_system_vgpr_workitem_id 1
		.amdhsa_next_free_vgpr 58
		.amdhsa_next_free_sgpr 22
		.amdhsa_reserve_vcc 1
		.amdhsa_reserve_flat_scratch 0
		.amdhsa_float_round_mode_32 0
		.amdhsa_float_round_mode_16_64 0
		.amdhsa_float_denorm_mode_32 3
		.amdhsa_float_denorm_mode_16_64 3
		.amdhsa_dx10_clamp 1
		.amdhsa_ieee_mode 1
		.amdhsa_fp16_overflow 0
		.amdhsa_workgroup_processor_mode 1
		.amdhsa_memory_ordered 1
		.amdhsa_forward_progress 1
		.amdhsa_shared_vgpr_count 0
		.amdhsa_exception_fp_ieee_invalid_op 0
		.amdhsa_exception_fp_denorm_src 0
		.amdhsa_exception_fp_ieee_div_zero 0
		.amdhsa_exception_fp_ieee_overflow 0
		.amdhsa_exception_fp_ieee_underflow 0
		.amdhsa_exception_fp_ieee_inexact 0
		.amdhsa_exception_int_div_zero 0
	.end_amdhsa_kernel
	.section	.text._ZN12_GLOBAL__N_127rocblas_gemm_batched_kernelIfLi16ELi16ELi64ELi64ELi4ELi64ELi4ELi4ELi64ELc84ELc78EK16rocblas_bfloat16KffEEvlllT_PT11_llS6_llS4_PT12_llPT13_lli,"axG",@progbits,_ZN12_GLOBAL__N_127rocblas_gemm_batched_kernelIfLi16ELi16ELi64ELi64ELi4ELi64ELi4ELi4ELi64ELc84ELc78EK16rocblas_bfloat16KffEEvlllT_PT11_llS6_llS4_PT12_llPT13_lli,comdat
.Lfunc_end446:
	.size	_ZN12_GLOBAL__N_127rocblas_gemm_batched_kernelIfLi16ELi16ELi64ELi64ELi4ELi64ELi4ELi4ELi64ELc84ELc78EK16rocblas_bfloat16KffEEvlllT_PT11_llS6_llS4_PT12_llPT13_lli, .Lfunc_end446-_ZN12_GLOBAL__N_127rocblas_gemm_batched_kernelIfLi16ELi16ELi64ELi64ELi4ELi64ELi4ELi4ELi64ELc84ELc78EK16rocblas_bfloat16KffEEvlllT_PT11_llS6_llS4_PT12_llPT13_lli
                                        ; -- End function
	.set _ZN12_GLOBAL__N_127rocblas_gemm_batched_kernelIfLi16ELi16ELi64ELi64ELi4ELi64ELi4ELi4ELi64ELc84ELc78EK16rocblas_bfloat16KffEEvlllT_PT11_llS6_llS4_PT12_llPT13_lli.num_vgpr, 58
	.set _ZN12_GLOBAL__N_127rocblas_gemm_batched_kernelIfLi16ELi16ELi64ELi64ELi4ELi64ELi4ELi4ELi64ELc84ELc78EK16rocblas_bfloat16KffEEvlllT_PT11_llS6_llS4_PT12_llPT13_lli.num_agpr, 0
	.set _ZN12_GLOBAL__N_127rocblas_gemm_batched_kernelIfLi16ELi16ELi64ELi64ELi4ELi64ELi4ELi4ELi64ELc84ELc78EK16rocblas_bfloat16KffEEvlllT_PT11_llS6_llS4_PT12_llPT13_lli.numbered_sgpr, 22
	.set _ZN12_GLOBAL__N_127rocblas_gemm_batched_kernelIfLi16ELi16ELi64ELi64ELi4ELi64ELi4ELi4ELi64ELc84ELc78EK16rocblas_bfloat16KffEEvlllT_PT11_llS6_llS4_PT12_llPT13_lli.num_named_barrier, 0
	.set _ZN12_GLOBAL__N_127rocblas_gemm_batched_kernelIfLi16ELi16ELi64ELi64ELi4ELi64ELi4ELi4ELi64ELc84ELc78EK16rocblas_bfloat16KffEEvlllT_PT11_llS6_llS4_PT12_llPT13_lli.private_seg_size, 0
	.set _ZN12_GLOBAL__N_127rocblas_gemm_batched_kernelIfLi16ELi16ELi64ELi64ELi4ELi64ELi4ELi4ELi64ELc84ELc78EK16rocblas_bfloat16KffEEvlllT_PT11_llS6_llS4_PT12_llPT13_lli.uses_vcc, 1
	.set _ZN12_GLOBAL__N_127rocblas_gemm_batched_kernelIfLi16ELi16ELi64ELi64ELi4ELi64ELi4ELi4ELi64ELc84ELc78EK16rocblas_bfloat16KffEEvlllT_PT11_llS6_llS4_PT12_llPT13_lli.uses_flat_scratch, 0
	.set _ZN12_GLOBAL__N_127rocblas_gemm_batched_kernelIfLi16ELi16ELi64ELi64ELi4ELi64ELi4ELi4ELi64ELc84ELc78EK16rocblas_bfloat16KffEEvlllT_PT11_llS6_llS4_PT12_llPT13_lli.has_dyn_sized_stack, 0
	.set _ZN12_GLOBAL__N_127rocblas_gemm_batched_kernelIfLi16ELi16ELi64ELi64ELi4ELi64ELi4ELi4ELi64ELc84ELc78EK16rocblas_bfloat16KffEEvlllT_PT11_llS6_llS4_PT12_llPT13_lli.has_recursion, 0
	.set _ZN12_GLOBAL__N_127rocblas_gemm_batched_kernelIfLi16ELi16ELi64ELi64ELi4ELi64ELi4ELi4ELi64ELc84ELc78EK16rocblas_bfloat16KffEEvlllT_PT11_llS6_llS4_PT12_llPT13_lli.has_indirect_call, 0
	.section	.AMDGPU.csdata,"",@progbits
; Kernel info:
; codeLenInByte = 2328
; TotalNumSgprs: 24
; NumVgprs: 58
; ScratchSize: 0
; MemoryBound: 0
; FloatMode: 240
; IeeeMode: 1
; LDSByteSize: 2048 bytes/workgroup (compile time only)
; SGPRBlocks: 0
; VGPRBlocks: 7
; NumSGPRsForWavesPerEU: 24
; NumVGPRsForWavesPerEU: 58
; Occupancy: 16
; WaveLimiterHint : 0
; COMPUTE_PGM_RSRC2:SCRATCH_EN: 0
; COMPUTE_PGM_RSRC2:USER_SGPR: 6
; COMPUTE_PGM_RSRC2:TRAP_HANDLER: 0
; COMPUTE_PGM_RSRC2:TGID_X_EN: 1
; COMPUTE_PGM_RSRC2:TGID_Y_EN: 1
; COMPUTE_PGM_RSRC2:TGID_Z_EN: 1
; COMPUTE_PGM_RSRC2:TIDIG_COMP_CNT: 1
	.section	.text._ZN12_GLOBAL__N_127rocblas_gemm_batched_kernelIfLi16ELi16ELi64ELi64ELi4ELi64ELi4ELi4ELi64ELc78ELc84EK16rocblas_bfloat16KffEEvlllT_PT11_llS6_llS4_PT12_llPT13_lli,"axG",@progbits,_ZN12_GLOBAL__N_127rocblas_gemm_batched_kernelIfLi16ELi16ELi64ELi64ELi4ELi64ELi4ELi4ELi64ELc78ELc84EK16rocblas_bfloat16KffEEvlllT_PT11_llS6_llS4_PT12_llPT13_lli,comdat
	.globl	_ZN12_GLOBAL__N_127rocblas_gemm_batched_kernelIfLi16ELi16ELi64ELi64ELi4ELi64ELi4ELi4ELi64ELc78ELc84EK16rocblas_bfloat16KffEEvlllT_PT11_llS6_llS4_PT12_llPT13_lli ; -- Begin function _ZN12_GLOBAL__N_127rocblas_gemm_batched_kernelIfLi16ELi16ELi64ELi64ELi4ELi64ELi4ELi4ELi64ELc78ELc84EK16rocblas_bfloat16KffEEvlllT_PT11_llS6_llS4_PT12_llPT13_lli
	.p2align	8
	.type	_ZN12_GLOBAL__N_127rocblas_gemm_batched_kernelIfLi16ELi16ELi64ELi64ELi4ELi64ELi4ELi4ELi64ELc78ELc84EK16rocblas_bfloat16KffEEvlllT_PT11_llS6_llS4_PT12_llPT13_lli,@function
_ZN12_GLOBAL__N_127rocblas_gemm_batched_kernelIfLi16ELi16ELi64ELi64ELi4ELi64ELi4ELi4ELi64ELc78ELc84EK16rocblas_bfloat16KffEEvlllT_PT11_llS6_llS4_PT12_llPT13_lli: ; @_ZN12_GLOBAL__N_127rocblas_gemm_batched_kernelIfLi16ELi16ELi64ELi64ELi4ELi64ELi4ELi4ELi64ELc78ELc84EK16rocblas_bfloat16KffEEvlllT_PT11_llS6_llS4_PT12_llPT13_lli
; %bb.0:
	s_load_dwordx2 s[20:21], s[4:5], 0x10
	s_mov_b32 s0, s7
	v_mov_b32_e32 v19, 0
	v_mov_b32_e32 v21, 0
	;; [unrolled: 1-line block ×16, first 2 shown]
	s_ashr_i32 s7, s6, 31
	s_ashr_i32 s1, s0, 31
	s_waitcnt lgkmcnt(0)
	v_cmp_lt_i64_e64 s2, s[20:21], 1
	s_lshl_b64 s[6:7], s[6:7], 6
	s_lshl_b64 s[10:11], s[0:1], 6
	s_and_b32 vcc_lo, exec_lo, s2
	s_cbranch_vccnz .LBB447_3
; %bb.1:
	v_lshlrev_b32_e32 v4, 4, v1
	s_clause 0x1
	s_load_dwordx4 s[0:3], s[4:5], 0x40
	s_load_dwordx8 s[12:19], s[4:5], 0x20
	v_and_b32_e32 v8, 3, v0
	v_lshlrev_b32_e32 v22, 2, v0
	v_add_nc_u32_e32 v3, v4, v0
	v_add_nc_u32_e32 v23, 0x400, v4
	v_lshlrev_b32_e32 v5, 2, v8
	v_lshrrev_b32_e32 v2, 2, v3
	v_and_b32_e32 v10, 63, v3
	v_lshrrev_b32_e32 v9, 6, v3
	v_mov_b32_e32 v3, 0
	v_lshl_or_b32 v5, v2, 4, v5
	v_lshlrev_b32_e32 v6, 2, v10
	v_mov_b32_e32 v11, v3
	v_mov_b32_e32 v12, v3
	v_add_nc_u32_e32 v25, 0x400, v5
	s_waitcnt lgkmcnt(0)
	v_mad_u64_u32 v[4:5], null, s0, v8, v[2:3]
	v_lshl_or_b32 v24, v9, 8, v6
	v_mad_u64_u32 v[6:7], null, s14, v9, s[6:7]
	s_mul_i32 s3, s3, s8
	s_mul_hi_u32 s9, s2, s8
	s_mul_i32 s2, s2, s8
	v_mov_b32_e32 v2, v5
	v_add_co_u32 v4, vcc_lo, v4, s10
	v_mov_b32_e32 v5, v7
	s_add_i32 s3, s9, s3
	v_mad_u64_u32 v[7:8], null, s1, v8, v[2:3]
	s_lshl_b64 s[2:3], s[2:3], 1
	v_mad_u64_u32 v[8:9], null, s15, v9, v[5:6]
	s_mul_i32 s17, s17, s8
	s_mul_hi_u32 s22, s16, s8
	s_add_u32 s9, s18, s2
	v_add_co_ci_u32_e64 v5, null, s11, v7, vcc_lo
	v_add_co_u32 v6, vcc_lo, v6, v10
	v_add_co_ci_u32_e64 v7, null, 0, v8, vcc_lo
	v_lshlrev_b64 v[4:5], 1, v[4:5]
	s_mul_i32 s16, s16, s8
	s_addc_u32 s18, s19, s3
	s_add_i32 s17, s22, s17
	v_lshlrev_b64 v[6:7], 1, v[6:7]
	s_lshl_b64 s[2:3], s[16:17], 1
	s_lshl_b64 s[0:1], s[0:1], 3
	v_add_co_u32 v4, vcc_lo, s9, v4
	s_add_u32 s2, s12, s2
	v_add_co_ci_u32_e64 v5, null, s18, v5, vcc_lo
	s_addc_u32 s3, s13, s3
	v_add_co_u32 v6, vcc_lo, s2, v6
	v_add_co_ci_u32_e64 v7, null, s3, v7, vcc_lo
	v_mov_b32_e32 v2, v3
	v_mov_b32_e32 v8, v3
	;; [unrolled: 1-line block ×13, first 2 shown]
	s_lshl_b64 s[2:3], s[14:15], 3
	s_mov_b64 s[12:13], 0
.LBB447_2:                              ; =>This Inner Loop Header: Depth=1
	global_load_ushort v26, v[6:7], off
	global_load_ushort v27, v[4:5], off
	s_add_u32 s12, s12, 4
	s_addc_u32 s13, s13, 0
	v_add_co_u32 v4, vcc_lo, v4, s0
	v_cmp_lt_i64_e64 s9, s[12:13], s[20:21]
	v_add_co_ci_u32_e64 v5, null, s1, v5, vcc_lo
	v_add_co_u32 v6, vcc_lo, v6, s2
	v_add_co_ci_u32_e64 v7, null, s3, v7, vcc_lo
	s_and_b32 vcc_lo, exec_lo, s9
	s_waitcnt vmcnt(1)
	v_lshlrev_b32_e32 v26, 16, v26
	s_waitcnt vmcnt(0)
	v_lshlrev_b32_e32 v27, 16, v27
	ds_write_b32 v24, v26
	ds_write_b32 v25, v27
	s_waitcnt lgkmcnt(0)
	s_barrier
	buffer_gl0_inv
	ds_read_b128 v[26:29], v23
	ds_read2_b32 v[42:43], v22 offset1:16
	ds_read2_b32 v[44:45], v22 offset0:32 offset1:48
	ds_read_b128 v[30:33], v23 offset:256
	ds_read_b128 v[34:37], v23 offset:512
	;; [unrolled: 1-line block ×3, first 2 shown]
	ds_read2_b32 v[46:47], v22 offset0:64 offset1:80
	ds_read2_b32 v[48:49], v22 offset0:96 offset1:112
	;; [unrolled: 1-line block ×6, first 2 shown]
	s_waitcnt lgkmcnt(0)
	s_barrier
	buffer_gl0_inv
	v_fmac_f32_e32 v19, v42, v26
	v_fmac_f32_e32 v21, v43, v26
	;; [unrolled: 1-line block ×64, first 2 shown]
	s_cbranch_vccnz .LBB447_2
.LBB447_3:
	s_clause 0x3
	s_load_dwordx4 s[0:3], s[4:5], 0x78
	s_load_dword s9, s[4:5], 0x50
	s_load_dwordx8 s[12:19], s[4:5], 0x58
	s_load_dword s4, s[4:5], 0x18
	v_add_co_u32 v5, s5, s6, v0
	v_add_co_ci_u32_e64 v6, null, s7, 0, s5
	v_add_co_u32 v4, s5, s10, v1
	v_add_co_ci_u32_e64 v7, null, s11, 0, s5
	v_lshlrev_b64 v[0:1], 2, v[5:6]
	s_waitcnt lgkmcnt(0)
	s_mul_i32 s3, s3, s8
	s_mul_hi_u32 s5, s2, s8
	v_mul_lo_u32 v5, v7, s0
	v_mul_lo_u32 v6, v4, s1
	s_mul_i32 s2, s2, s8
	v_cmp_neq_f32_e64 s6, s9, 0
	s_add_i32 s3, s5, s3
	s_mov_b32 s5, 0
	s_lshl_b64 s[2:3], s[2:3], 2
	s_add_u32 s2, s18, s2
	s_addc_u32 s3, s19, s3
	s_and_b32 vcc_lo, exec_lo, s6
	s_cbranch_vccnz .LBB447_7
; %bb.4:
	v_mad_u64_u32 v[22:23], null, v4, s0, 0
	s_lshl_b64 s[6:7], s[0:1], 6
	v_mul_f32_e32 v26, s4, v19
	v_mul_f32_e32 v27, s4, v21
	;; [unrolled: 1-line block ×5, first 2 shown]
	v_add3_u32 v23, v23, v6, v5
	v_mul_f32_e32 v31, s4, v16
	v_mul_f32_e32 v32, s4, v15
	;; [unrolled: 1-line block ×3, first 2 shown]
	v_lshlrev_b64 v[22:23], 2, v[22:23]
	v_add_co_u32 v22, vcc_lo, s2, v22
	v_add_co_ci_u32_e64 v23, null, s3, v23, vcc_lo
	v_add_co_u32 v34, vcc_lo, v22, s6
	v_add_co_ci_u32_e64 v35, null, s7, v23, vcc_lo
	;; [unrolled: 2-line block ×4, first 2 shown]
	global_store_dword v[22:23], v26, off
	global_store_dword v[22:23], v27, off offset:64
	global_store_dword v[22:23], v28, off offset:128
	;; [unrolled: 1-line block ×3, first 2 shown]
	global_store_dword v[24:25], v30, off
	global_store_dword v[24:25], v31, off offset:64
	v_add_co_u32 v26, vcc_lo, v34, s6
	v_add_co_ci_u32_e64 v27, null, s7, v35, vcc_lo
	v_mul_f32_e32 v28, s4, v13
	v_add_co_u32 v22, vcc_lo, v26, v0
	v_add_co_ci_u32_e64 v23, null, v27, v1, vcc_lo
	v_mul_f32_e32 v29, s4, v12
	v_mul_f32_e32 v30, s4, v11
	global_store_dword v[24:25], v32, off offset:128
	global_store_dword v[24:25], v33, off offset:192
	global_store_dword v[22:23], v28, off
	global_store_dword v[22:23], v29, off offset:64
	global_store_dword v[22:23], v30, off offset:128
	v_add_co_u32 v24, vcc_lo, v26, s6
	v_add_co_ci_u32_e64 v25, null, s7, v27, vcc_lo
	v_mul_f32_e32 v28, s4, v10
	v_add_co_u32 v24, vcc_lo, v24, v0
	v_mul_f32_e32 v26, s4, v9
	v_add_co_ci_u32_e64 v25, null, v25, v1, vcc_lo
	v_mul_f32_e32 v27, s4, v8
	v_mul_f32_e32 v29, s4, v2
	;; [unrolled: 1-line block ×3, first 2 shown]
	global_store_dword v[22:23], v28, off offset:192
	global_store_dword v[24:25], v26, off
	global_store_dword v[24:25], v27, off offset:64
	global_store_dword v[24:25], v29, off offset:128
	global_store_dword v[24:25], v30, off offset:192
	s_andn2_b32 vcc_lo, exec_lo, s5
	s_cbranch_vccnz .LBB447_6
.LBB447_5:
	v_mul_lo_u32 v7, v7, s14
	v_mul_lo_u32 v24, v4, s15
	v_mad_u64_u32 v[22:23], null, v4, s14, 0
	s_mul_i32 s5, s17, s8
	s_mul_hi_u32 s7, s16, s8
	s_mul_i32 s6, s16, s8
	s_add_i32 s7, s7, s5
	s_lshl_b64 s[6:7], s[6:7], 2
	v_add3_u32 v23, v23, v24, v7
	s_add_u32 s5, s12, s6
	s_addc_u32 s6, s13, s7
	v_mad_u64_u32 v[24:25], null, v4, s0, 0
	v_lshlrev_b64 v[22:23], 2, v[22:23]
	s_lshl_b64 s[0:1], s[0:1], 6
	v_add3_u32 v25, v25, v6, v5
	v_add_co_u32 v7, vcc_lo, s5, v22
	v_add_co_ci_u32_e64 v26, null, s6, v23, vcc_lo
	v_lshlrev_b64 v[4:5], 2, v[24:25]
	v_add_co_u32 v22, vcc_lo, v7, v0
	v_add_co_ci_u32_e64 v23, null, v26, v1, vcc_lo
	v_add_co_u32 v24, vcc_lo, s2, v4
	global_load_dword v27, v[22:23], off
	v_add_co_ci_u32_e64 v25, null, s3, v5, vcc_lo
	v_add_co_u32 v4, vcc_lo, v24, v0
	s_lshl_b64 s[2:3], s[14:15], 6
	v_add_co_ci_u32_e64 v5, null, v25, v1, vcc_lo
	s_waitcnt vmcnt(0)
	v_mul_f32_e32 v6, s9, v27
	v_fmac_f32_e32 v6, s4, v19
	global_store_dword v[4:5], v6, off
	global_load_dword v6, v[22:23], off offset:64
	s_waitcnt vmcnt(0)
	v_mul_f32_e32 v6, s9, v6
	v_fmac_f32_e32 v6, s4, v21
	global_store_dword v[4:5], v6, off offset:64
	global_load_dword v6, v[22:23], off offset:128
	s_waitcnt vmcnt(0)
	v_mul_f32_e32 v6, s9, v6
	v_fmac_f32_e32 v6, s4, v20
	v_add_co_u32 v20, vcc_lo, v7, s2
	v_add_co_ci_u32_e64 v21, null, s3, v26, vcc_lo
	global_store_dword v[4:5], v6, off offset:128
	global_load_dword v6, v[22:23], off offset:192
	s_waitcnt vmcnt(0)
	v_mul_f32_e32 v19, s9, v6
	v_add_co_u32 v6, vcc_lo, v20, v0
	v_add_co_ci_u32_e64 v7, null, v21, v1, vcc_lo
	v_fmac_f32_e32 v19, s4, v18
	v_add_co_u32 v18, vcc_lo, v24, s0
	global_store_dword v[4:5], v19, off offset:192
	global_load_dword v4, v[6:7], off
	v_add_co_ci_u32_e64 v19, null, s1, v25, vcc_lo
	s_waitcnt vmcnt(0)
	v_mul_f32_e32 v22, s9, v4
	v_add_co_u32 v4, vcc_lo, v18, v0
	v_add_co_ci_u32_e64 v5, null, v19, v1, vcc_lo
	v_fmac_f32_e32 v22, s4, v17
	global_store_dword v[4:5], v22, off
	global_load_dword v17, v[6:7], off offset:64
	s_waitcnt vmcnt(0)
	v_mul_f32_e32 v17, s9, v17
	v_fmac_f32_e32 v17, s4, v16
	global_store_dword v[4:5], v17, off offset:64
	global_load_dword v16, v[6:7], off offset:128
	s_waitcnt vmcnt(0)
	v_mul_f32_e32 v16, s9, v16
	v_fmac_f32_e32 v16, s4, v15
	global_store_dword v[4:5], v16, off offset:128
	global_load_dword v6, v[6:7], off offset:192
	v_add_co_u32 v16, vcc_lo, v20, s2
	v_add_co_ci_u32_e64 v17, null, s3, v21, vcc_lo
	s_waitcnt vmcnt(0)
	v_mul_f32_e32 v15, s9, v6
	v_add_co_u32 v6, vcc_lo, v16, v0
	v_add_co_ci_u32_e64 v7, null, v17, v1, vcc_lo
	v_fmac_f32_e32 v15, s4, v14
	v_add_co_u32 v14, vcc_lo, v18, s0
	global_store_dword v[4:5], v15, off offset:192
	global_load_dword v4, v[6:7], off
	v_add_co_ci_u32_e64 v15, null, s1, v19, vcc_lo
	s_waitcnt vmcnt(0)
	v_mul_f32_e32 v18, s9, v4
	v_add_co_u32 v4, vcc_lo, v14, v0
	v_add_co_ci_u32_e64 v5, null, v15, v1, vcc_lo
	v_fmac_f32_e32 v18, s4, v13
	global_store_dword v[4:5], v18, off
	global_load_dword v13, v[6:7], off offset:64
	s_waitcnt vmcnt(0)
	v_mul_f32_e32 v13, s9, v13
	v_fmac_f32_e32 v13, s4, v12
	global_store_dword v[4:5], v13, off offset:64
	global_load_dword v12, v[6:7], off offset:128
	s_waitcnt vmcnt(0)
	v_mul_f32_e32 v12, s9, v12
	v_fmac_f32_e32 v12, s4, v11
	global_store_dword v[4:5], v12, off offset:128
	global_load_dword v6, v[6:7], off offset:192
	s_waitcnt vmcnt(0)
	v_mul_f32_e32 v11, s9, v6
	v_add_co_u32 v6, vcc_lo, v16, s2
	v_add_co_ci_u32_e64 v7, null, s3, v17, vcc_lo
	v_fmac_f32_e32 v11, s4, v10
	v_add_co_u32 v6, vcc_lo, v6, v0
	v_add_co_ci_u32_e64 v7, null, v7, v1, vcc_lo
	global_store_dword v[4:5], v11, off offset:192
	v_add_co_u32 v5, vcc_lo, v14, s0
	global_load_dword v4, v[6:7], off
	v_add_co_ci_u32_e64 v10, null, s1, v15, vcc_lo
	v_add_co_u32 v0, vcc_lo, v5, v0
	v_add_co_ci_u32_e64 v1, null, v10, v1, vcc_lo
	s_waitcnt vmcnt(0)
	v_mul_f32_e32 v4, s9, v4
	v_fmac_f32_e32 v4, s4, v9
	global_store_dword v[0:1], v4, off
	global_load_dword v4, v[6:7], off offset:64
	s_waitcnt vmcnt(0)
	v_mul_f32_e32 v4, s9, v4
	v_fmac_f32_e32 v4, s4, v8
	global_store_dword v[0:1], v4, off offset:64
	global_load_dword v4, v[6:7], off offset:128
	s_waitcnt vmcnt(0)
	v_mul_f32_e32 v4, s9, v4
	v_fmac_f32_e32 v4, s4, v2
	global_store_dword v[0:1], v4, off offset:128
	global_load_dword v2, v[6:7], off offset:192
	s_waitcnt vmcnt(0)
	v_mul_f32_e32 v2, s9, v2
	v_fmac_f32_e32 v2, s4, v3
	global_store_dword v[0:1], v2, off offset:192
.LBB447_6:
	s_endpgm
.LBB447_7:
	s_branch .LBB447_5
	.section	.rodata,"a",@progbits
	.p2align	6, 0x0
	.amdhsa_kernel _ZN12_GLOBAL__N_127rocblas_gemm_batched_kernelIfLi16ELi16ELi64ELi64ELi4ELi64ELi4ELi4ELi64ELc78ELc84EK16rocblas_bfloat16KffEEvlllT_PT11_llS6_llS4_PT12_llPT13_lli
		.amdhsa_group_segment_fixed_size 2048
		.amdhsa_private_segment_fixed_size 0
		.amdhsa_kernarg_size 140
		.amdhsa_user_sgpr_count 6
		.amdhsa_user_sgpr_private_segment_buffer 1
		.amdhsa_user_sgpr_dispatch_ptr 0
		.amdhsa_user_sgpr_queue_ptr 0
		.amdhsa_user_sgpr_kernarg_segment_ptr 1
		.amdhsa_user_sgpr_dispatch_id 0
		.amdhsa_user_sgpr_flat_scratch_init 0
		.amdhsa_user_sgpr_private_segment_size 0
		.amdhsa_wavefront_size32 1
		.amdhsa_uses_dynamic_stack 0
		.amdhsa_system_sgpr_private_segment_wavefront_offset 0
		.amdhsa_system_sgpr_workgroup_id_x 1
		.amdhsa_system_sgpr_workgroup_id_y 1
		.amdhsa_system_sgpr_workgroup_id_z 1
		.amdhsa_system_sgpr_workgroup_info 0
		.amdhsa_system_vgpr_workitem_id 1
		.amdhsa_next_free_vgpr 58
		.amdhsa_next_free_sgpr 23
		.amdhsa_reserve_vcc 1
		.amdhsa_reserve_flat_scratch 0
		.amdhsa_float_round_mode_32 0
		.amdhsa_float_round_mode_16_64 0
		.amdhsa_float_denorm_mode_32 3
		.amdhsa_float_denorm_mode_16_64 3
		.amdhsa_dx10_clamp 1
		.amdhsa_ieee_mode 1
		.amdhsa_fp16_overflow 0
		.amdhsa_workgroup_processor_mode 1
		.amdhsa_memory_ordered 1
		.amdhsa_forward_progress 1
		.amdhsa_shared_vgpr_count 0
		.amdhsa_exception_fp_ieee_invalid_op 0
		.amdhsa_exception_fp_denorm_src 0
		.amdhsa_exception_fp_ieee_div_zero 0
		.amdhsa_exception_fp_ieee_overflow 0
		.amdhsa_exception_fp_ieee_underflow 0
		.amdhsa_exception_fp_ieee_inexact 0
		.amdhsa_exception_int_div_zero 0
	.end_amdhsa_kernel
	.section	.text._ZN12_GLOBAL__N_127rocblas_gemm_batched_kernelIfLi16ELi16ELi64ELi64ELi4ELi64ELi4ELi4ELi64ELc78ELc84EK16rocblas_bfloat16KffEEvlllT_PT11_llS6_llS4_PT12_llPT13_lli,"axG",@progbits,_ZN12_GLOBAL__N_127rocblas_gemm_batched_kernelIfLi16ELi16ELi64ELi64ELi4ELi64ELi4ELi4ELi64ELc78ELc84EK16rocblas_bfloat16KffEEvlllT_PT11_llS6_llS4_PT12_llPT13_lli,comdat
.Lfunc_end447:
	.size	_ZN12_GLOBAL__N_127rocblas_gemm_batched_kernelIfLi16ELi16ELi64ELi64ELi4ELi64ELi4ELi4ELi64ELc78ELc84EK16rocblas_bfloat16KffEEvlllT_PT11_llS6_llS4_PT12_llPT13_lli, .Lfunc_end447-_ZN12_GLOBAL__N_127rocblas_gemm_batched_kernelIfLi16ELi16ELi64ELi64ELi4ELi64ELi4ELi4ELi64ELc78ELc84EK16rocblas_bfloat16KffEEvlllT_PT11_llS6_llS4_PT12_llPT13_lli
                                        ; -- End function
	.set _ZN12_GLOBAL__N_127rocblas_gemm_batched_kernelIfLi16ELi16ELi64ELi64ELi4ELi64ELi4ELi4ELi64ELc78ELc84EK16rocblas_bfloat16KffEEvlllT_PT11_llS6_llS4_PT12_llPT13_lli.num_vgpr, 58
	.set _ZN12_GLOBAL__N_127rocblas_gemm_batched_kernelIfLi16ELi16ELi64ELi64ELi4ELi64ELi4ELi4ELi64ELc78ELc84EK16rocblas_bfloat16KffEEvlllT_PT11_llS6_llS4_PT12_llPT13_lli.num_agpr, 0
	.set _ZN12_GLOBAL__N_127rocblas_gemm_batched_kernelIfLi16ELi16ELi64ELi64ELi4ELi64ELi4ELi4ELi64ELc78ELc84EK16rocblas_bfloat16KffEEvlllT_PT11_llS6_llS4_PT12_llPT13_lli.numbered_sgpr, 23
	.set _ZN12_GLOBAL__N_127rocblas_gemm_batched_kernelIfLi16ELi16ELi64ELi64ELi4ELi64ELi4ELi4ELi64ELc78ELc84EK16rocblas_bfloat16KffEEvlllT_PT11_llS6_llS4_PT12_llPT13_lli.num_named_barrier, 0
	.set _ZN12_GLOBAL__N_127rocblas_gemm_batched_kernelIfLi16ELi16ELi64ELi64ELi4ELi64ELi4ELi4ELi64ELc78ELc84EK16rocblas_bfloat16KffEEvlllT_PT11_llS6_llS4_PT12_llPT13_lli.private_seg_size, 0
	.set _ZN12_GLOBAL__N_127rocblas_gemm_batched_kernelIfLi16ELi16ELi64ELi64ELi4ELi64ELi4ELi4ELi64ELc78ELc84EK16rocblas_bfloat16KffEEvlllT_PT11_llS6_llS4_PT12_llPT13_lli.uses_vcc, 1
	.set _ZN12_GLOBAL__N_127rocblas_gemm_batched_kernelIfLi16ELi16ELi64ELi64ELi4ELi64ELi4ELi4ELi64ELc78ELc84EK16rocblas_bfloat16KffEEvlllT_PT11_llS6_llS4_PT12_llPT13_lli.uses_flat_scratch, 0
	.set _ZN12_GLOBAL__N_127rocblas_gemm_batched_kernelIfLi16ELi16ELi64ELi64ELi4ELi64ELi4ELi4ELi64ELc78ELc84EK16rocblas_bfloat16KffEEvlllT_PT11_llS6_llS4_PT12_llPT13_lli.has_dyn_sized_stack, 0
	.set _ZN12_GLOBAL__N_127rocblas_gemm_batched_kernelIfLi16ELi16ELi64ELi64ELi4ELi64ELi4ELi4ELi64ELc78ELc84EK16rocblas_bfloat16KffEEvlllT_PT11_llS6_llS4_PT12_llPT13_lli.has_recursion, 0
	.set _ZN12_GLOBAL__N_127rocblas_gemm_batched_kernelIfLi16ELi16ELi64ELi64ELi4ELi64ELi4ELi4ELi64ELc78ELc84EK16rocblas_bfloat16KffEEvlllT_PT11_llS6_llS4_PT12_llPT13_lli.has_indirect_call, 0
	.section	.AMDGPU.csdata,"",@progbits
; Kernel info:
; codeLenInByte = 2256
; TotalNumSgprs: 25
; NumVgprs: 58
; ScratchSize: 0
; MemoryBound: 0
; FloatMode: 240
; IeeeMode: 1
; LDSByteSize: 2048 bytes/workgroup (compile time only)
; SGPRBlocks: 0
; VGPRBlocks: 7
; NumSGPRsForWavesPerEU: 25
; NumVGPRsForWavesPerEU: 58
; Occupancy: 16
; WaveLimiterHint : 0
; COMPUTE_PGM_RSRC2:SCRATCH_EN: 0
; COMPUTE_PGM_RSRC2:USER_SGPR: 6
; COMPUTE_PGM_RSRC2:TRAP_HANDLER: 0
; COMPUTE_PGM_RSRC2:TGID_X_EN: 1
; COMPUTE_PGM_RSRC2:TGID_Y_EN: 1
; COMPUTE_PGM_RSRC2:TGID_Z_EN: 1
; COMPUTE_PGM_RSRC2:TIDIG_COMP_CNT: 1
	.section	.text._ZN12_GLOBAL__N_127rocblas_gemm_batched_kernelIfLi16ELi16ELi64ELi64ELi4ELi64ELi4ELi4ELi64ELc84ELc84EK16rocblas_bfloat16KffEEvlllT_PT11_llS6_llS4_PT12_llPT13_lli,"axG",@progbits,_ZN12_GLOBAL__N_127rocblas_gemm_batched_kernelIfLi16ELi16ELi64ELi64ELi4ELi64ELi4ELi4ELi64ELc84ELc84EK16rocblas_bfloat16KffEEvlllT_PT11_llS6_llS4_PT12_llPT13_lli,comdat
	.globl	_ZN12_GLOBAL__N_127rocblas_gemm_batched_kernelIfLi16ELi16ELi64ELi64ELi4ELi64ELi4ELi4ELi64ELc84ELc84EK16rocblas_bfloat16KffEEvlllT_PT11_llS6_llS4_PT12_llPT13_lli ; -- Begin function _ZN12_GLOBAL__N_127rocblas_gemm_batched_kernelIfLi16ELi16ELi64ELi64ELi4ELi64ELi4ELi4ELi64ELc84ELc84EK16rocblas_bfloat16KffEEvlllT_PT11_llS6_llS4_PT12_llPT13_lli
	.p2align	8
	.type	_ZN12_GLOBAL__N_127rocblas_gemm_batched_kernelIfLi16ELi16ELi64ELi64ELi4ELi64ELi4ELi4ELi64ELc84ELc84EK16rocblas_bfloat16KffEEvlllT_PT11_llS6_llS4_PT12_llPT13_lli,@function
_ZN12_GLOBAL__N_127rocblas_gemm_batched_kernelIfLi16ELi16ELi64ELi64ELi4ELi64ELi4ELi4ELi64ELc84ELc84EK16rocblas_bfloat16KffEEvlllT_PT11_llS6_llS4_PT12_llPT13_lli: ; @_ZN12_GLOBAL__N_127rocblas_gemm_batched_kernelIfLi16ELi16ELi64ELi64ELi4ELi64ELi4ELi4ELi64ELc84ELc84EK16rocblas_bfloat16KffEEvlllT_PT11_llS6_llS4_PT12_llPT13_lli
; %bb.0:
	s_load_dwordx2 s[20:21], s[4:5], 0x10
	s_mov_b32 s0, s7
	v_mov_b32_e32 v19, 0
	v_mov_b32_e32 v21, 0
	;; [unrolled: 1-line block ×16, first 2 shown]
	s_ashr_i32 s7, s6, 31
	s_ashr_i32 s1, s0, 31
	s_waitcnt lgkmcnt(0)
	v_cmp_lt_i64_e64 s2, s[20:21], 1
	s_lshl_b64 s[6:7], s[6:7], 6
	s_lshl_b64 s[10:11], s[0:1], 6
	s_and_b32 vcc_lo, exec_lo, s2
	s_cbranch_vccnz .LBB448_3
; %bb.1:
	v_lshlrev_b32_e32 v4, 4, v1
	s_clause 0x1
	s_load_dwordx4 s[0:3], s[4:5], 0x40
	s_load_dwordx8 s[12:19], s[4:5], 0x20
	v_and_b32_e32 v8, 3, v0
	v_mov_b32_e32 v3, 0
	v_add_nc_u32_e32 v5, v4, v0
	v_add_nc_u32_e32 v23, 0x400, v4
	v_lshlrev_b32_e32 v22, 2, v0
	v_lshlrev_b32_e32 v6, 2, v8
	v_mov_b32_e32 v13, v3
	v_and_b32_e32 v7, 63, v5
	v_lshrrev_b32_e32 v2, 2, v5
	v_lshrrev_b32_e32 v10, 6, v5
	v_mov_b32_e32 v14, v3
	v_mov_b32_e32 v15, v3
	v_lshlrev_b32_e32 v4, 2, v7
	v_lshl_or_b32 v9, v2, 4, v6
	v_add_co_u32 v6, s9, s6, v7
	v_add_co_ci_u32_e64 v7, null, s7, 0, s9
	v_lshl_or_b32 v24, v10, 8, v4
	s_waitcnt lgkmcnt(0)
	v_mad_u64_u32 v[4:5], null, s0, v8, v[2:3]
	v_mul_lo_u32 v11, s15, v6
	v_mul_lo_u32 v12, s14, v7
	v_mad_u64_u32 v[6:7], null, s14, v6, 0
	s_mul_i32 s3, s3, s8
	s_mul_hi_u32 s9, s2, s8
	v_mov_b32_e32 v2, v5
	s_mul_i32 s2, s2, s8
	s_add_i32 s3, s9, s3
	v_add_nc_u32_e32 v25, 0x400, v9
	v_add3_u32 v7, v7, v12, v11
	v_mad_u64_u32 v[8:9], null, s1, v8, v[2:3]
	s_lshl_b64 s[2:3], s[2:3], 1
	v_lshlrev_b32_e32 v2, 1, v10
	s_add_u32 s9, s18, s2
	s_addc_u32 s14, s19, s3
	s_mul_i32 s2, s17, s8
	s_mul_hi_u32 s3, s16, s8
	v_lshlrev_b64 v[5:6], 1, v[6:7]
	v_add_co_u32 v7, vcc_lo, v4, s10
	s_add_i32 s3, s3, s2
	s_mul_i32 s2, s16, s8
	v_add_co_ci_u32_e64 v8, null, s11, v8, vcc_lo
	s_lshl_b64 s[2:3], s[2:3], 1
	v_mov_b32_e32 v10, v3
	v_add_co_u32 v9, vcc_lo, v5, s2
	v_add_co_ci_u32_e64 v6, null, s3, v6, vcc_lo
	v_lshlrev_b64 v[4:5], 1, v[7:8]
	v_add_co_u32 v2, vcc_lo, v9, v2
	v_add_co_ci_u32_e64 v7, null, 0, v6, vcc_lo
	v_mov_b32_e32 v8, v3
	v_add_co_u32 v4, vcc_lo, s9, v4
	v_add_co_ci_u32_e64 v5, null, s14, v5, vcc_lo
	v_add_co_u32 v6, vcc_lo, s12, v2
	v_add_co_ci_u32_e64 v7, null, s13, v7, vcc_lo
	v_mov_b32_e32 v2, v3
	v_mov_b32_e32 v9, v3
	;; [unrolled: 1-line block ×10, first 2 shown]
	s_lshl_b64 s[0:1], s[0:1], 3
	s_mov_b64 s[2:3], 0
.LBB448_2:                              ; =>This Inner Loop Header: Depth=1
	global_load_ushort v26, v[6:7], off
	global_load_ushort v27, v[4:5], off
	s_add_u32 s2, s2, 4
	s_addc_u32 s3, s3, 0
	v_add_co_u32 v4, vcc_lo, v4, s0
	v_cmp_lt_i64_e64 s9, s[2:3], s[20:21]
	v_add_co_ci_u32_e64 v5, null, s1, v5, vcc_lo
	v_add_co_u32 v6, vcc_lo, v6, 8
	v_add_co_ci_u32_e64 v7, null, 0, v7, vcc_lo
	s_and_b32 vcc_lo, exec_lo, s9
	s_waitcnt vmcnt(1)
	v_lshlrev_b32_e32 v26, 16, v26
	s_waitcnt vmcnt(0)
	v_lshlrev_b32_e32 v27, 16, v27
	ds_write_b32 v24, v26
	ds_write_b32 v25, v27
	s_waitcnt lgkmcnt(0)
	s_barrier
	buffer_gl0_inv
	ds_read_b128 v[26:29], v23
	ds_read2_b32 v[42:43], v22 offset1:16
	ds_read2_b32 v[44:45], v22 offset0:32 offset1:48
	ds_read_b128 v[30:33], v23 offset:256
	ds_read_b128 v[34:37], v23 offset:512
	;; [unrolled: 1-line block ×3, first 2 shown]
	ds_read2_b32 v[46:47], v22 offset0:64 offset1:80
	ds_read2_b32 v[48:49], v22 offset0:96 offset1:112
	;; [unrolled: 1-line block ×6, first 2 shown]
	s_waitcnt lgkmcnt(0)
	s_barrier
	buffer_gl0_inv
	v_fmac_f32_e32 v19, v42, v26
	v_fmac_f32_e32 v21, v43, v26
	v_fmac_f32_e32 v20, v44, v26
	v_fmac_f32_e32 v18, v45, v26
	v_fmac_f32_e32 v17, v42, v30
	v_fmac_f32_e32 v16, v43, v30
	v_fmac_f32_e32 v15, v44, v30
	v_fmac_f32_e32 v14, v45, v30
	v_fmac_f32_e32 v13, v42, v34
	v_fmac_f32_e32 v12, v43, v34
	v_fmac_f32_e32 v11, v44, v34
	v_fmac_f32_e32 v10, v45, v34
	v_fmac_f32_e32 v9, v42, v38
	v_fmac_f32_e32 v8, v43, v38
	v_fmac_f32_e32 v2, v44, v38
	v_fmac_f32_e32 v3, v45, v38
	v_fmac_f32_e32 v19, v46, v27
	v_fmac_f32_e32 v21, v47, v27
	v_fmac_f32_e32 v20, v48, v27
	v_fmac_f32_e32 v18, v49, v27
	v_fmac_f32_e32 v17, v46, v31
	v_fmac_f32_e32 v16, v47, v31
	v_fmac_f32_e32 v15, v48, v31
	v_fmac_f32_e32 v14, v49, v31
	v_fmac_f32_e32 v13, v46, v35
	v_fmac_f32_e32 v12, v47, v35
	v_fmac_f32_e32 v11, v48, v35
	v_fmac_f32_e32 v10, v49, v35
	v_fmac_f32_e32 v9, v46, v39
	v_fmac_f32_e32 v8, v47, v39
	v_fmac_f32_e32 v2, v48, v39
	v_fmac_f32_e32 v3, v49, v39
	v_fmac_f32_e32 v19, v50, v28
	v_fmac_f32_e32 v21, v51, v28
	v_fmac_f32_e32 v20, v52, v28
	v_fmac_f32_e32 v18, v53, v28
	v_fmac_f32_e32 v17, v50, v32
	v_fmac_f32_e32 v16, v51, v32
	v_fmac_f32_e32 v15, v52, v32
	v_fmac_f32_e32 v14, v53, v32
	v_fmac_f32_e32 v13, v50, v36
	v_fmac_f32_e32 v12, v51, v36
	v_fmac_f32_e32 v11, v52, v36
	v_fmac_f32_e32 v10, v53, v36
	v_fmac_f32_e32 v9, v50, v40
	v_fmac_f32_e32 v8, v51, v40
	v_fmac_f32_e32 v2, v52, v40
	v_fmac_f32_e32 v3, v53, v40
	v_fmac_f32_e32 v19, v54, v29
	v_fmac_f32_e32 v21, v55, v29
	v_fmac_f32_e32 v20, v56, v29
	v_fmac_f32_e32 v18, v57, v29
	v_fmac_f32_e32 v17, v54, v33
	v_fmac_f32_e32 v16, v55, v33
	v_fmac_f32_e32 v15, v56, v33
	v_fmac_f32_e32 v14, v57, v33
	v_fmac_f32_e32 v13, v54, v37
	v_fmac_f32_e32 v12, v55, v37
	v_fmac_f32_e32 v11, v56, v37
	v_fmac_f32_e32 v10, v57, v37
	v_fmac_f32_e32 v9, v54, v41
	v_fmac_f32_e32 v8, v55, v41
	v_fmac_f32_e32 v2, v56, v41
	v_fmac_f32_e32 v3, v57, v41
	s_cbranch_vccnz .LBB448_2
.LBB448_3:
	s_clause 0x3
	s_load_dwordx4 s[0:3], s[4:5], 0x78
	s_load_dword s9, s[4:5], 0x50
	s_load_dwordx8 s[12:19], s[4:5], 0x58
	s_load_dword s4, s[4:5], 0x18
	v_add_co_u32 v5, s5, s6, v0
	v_add_co_ci_u32_e64 v6, null, s7, 0, s5
	v_add_co_u32 v4, s5, s10, v1
	v_add_co_ci_u32_e64 v7, null, s11, 0, s5
	v_lshlrev_b64 v[0:1], 2, v[5:6]
	s_waitcnt lgkmcnt(0)
	s_mul_i32 s3, s3, s8
	s_mul_hi_u32 s5, s2, s8
	v_mul_lo_u32 v5, v7, s0
	v_mul_lo_u32 v6, v4, s1
	s_mul_i32 s2, s2, s8
	v_cmp_neq_f32_e64 s6, s9, 0
	s_add_i32 s3, s5, s3
	s_mov_b32 s5, 0
	s_lshl_b64 s[2:3], s[2:3], 2
	s_add_u32 s2, s18, s2
	s_addc_u32 s3, s19, s3
	s_and_b32 vcc_lo, exec_lo, s6
	s_cbranch_vccnz .LBB448_7
; %bb.4:
	v_mad_u64_u32 v[22:23], null, v4, s0, 0
	s_lshl_b64 s[6:7], s[0:1], 6
	v_mul_f32_e32 v26, s4, v19
	v_mul_f32_e32 v27, s4, v21
	;; [unrolled: 1-line block ×5, first 2 shown]
	v_add3_u32 v23, v23, v6, v5
	v_mul_f32_e32 v31, s4, v16
	v_mul_f32_e32 v32, s4, v15
	;; [unrolled: 1-line block ×3, first 2 shown]
	v_lshlrev_b64 v[22:23], 2, v[22:23]
	v_add_co_u32 v22, vcc_lo, s2, v22
	v_add_co_ci_u32_e64 v23, null, s3, v23, vcc_lo
	v_add_co_u32 v34, vcc_lo, v22, s6
	v_add_co_ci_u32_e64 v35, null, s7, v23, vcc_lo
	;; [unrolled: 2-line block ×4, first 2 shown]
	global_store_dword v[22:23], v26, off
	global_store_dword v[22:23], v27, off offset:64
	global_store_dword v[22:23], v28, off offset:128
	;; [unrolled: 1-line block ×3, first 2 shown]
	global_store_dword v[24:25], v30, off
	global_store_dword v[24:25], v31, off offset:64
	v_add_co_u32 v26, vcc_lo, v34, s6
	v_add_co_ci_u32_e64 v27, null, s7, v35, vcc_lo
	v_mul_f32_e32 v28, s4, v13
	v_add_co_u32 v22, vcc_lo, v26, v0
	v_add_co_ci_u32_e64 v23, null, v27, v1, vcc_lo
	v_mul_f32_e32 v29, s4, v12
	v_mul_f32_e32 v30, s4, v11
	global_store_dword v[24:25], v32, off offset:128
	global_store_dword v[24:25], v33, off offset:192
	global_store_dword v[22:23], v28, off
	global_store_dword v[22:23], v29, off offset:64
	global_store_dword v[22:23], v30, off offset:128
	v_add_co_u32 v24, vcc_lo, v26, s6
	v_add_co_ci_u32_e64 v25, null, s7, v27, vcc_lo
	v_mul_f32_e32 v28, s4, v10
	v_add_co_u32 v24, vcc_lo, v24, v0
	v_mul_f32_e32 v26, s4, v9
	v_add_co_ci_u32_e64 v25, null, v25, v1, vcc_lo
	v_mul_f32_e32 v27, s4, v8
	v_mul_f32_e32 v29, s4, v2
	;; [unrolled: 1-line block ×3, first 2 shown]
	global_store_dword v[22:23], v28, off offset:192
	global_store_dword v[24:25], v26, off
	global_store_dword v[24:25], v27, off offset:64
	global_store_dword v[24:25], v29, off offset:128
	global_store_dword v[24:25], v30, off offset:192
	s_andn2_b32 vcc_lo, exec_lo, s5
	s_cbranch_vccnz .LBB448_6
.LBB448_5:
	v_mul_lo_u32 v7, v7, s14
	v_mul_lo_u32 v24, v4, s15
	v_mad_u64_u32 v[22:23], null, v4, s14, 0
	s_mul_i32 s5, s17, s8
	s_mul_hi_u32 s7, s16, s8
	s_mul_i32 s6, s16, s8
	s_add_i32 s7, s7, s5
	s_lshl_b64 s[6:7], s[6:7], 2
	v_add3_u32 v23, v23, v24, v7
	s_add_u32 s5, s12, s6
	s_addc_u32 s6, s13, s7
	v_mad_u64_u32 v[24:25], null, v4, s0, 0
	v_lshlrev_b64 v[22:23], 2, v[22:23]
	s_lshl_b64 s[0:1], s[0:1], 6
	v_add3_u32 v25, v25, v6, v5
	v_add_co_u32 v7, vcc_lo, s5, v22
	v_add_co_ci_u32_e64 v26, null, s6, v23, vcc_lo
	v_lshlrev_b64 v[4:5], 2, v[24:25]
	v_add_co_u32 v22, vcc_lo, v7, v0
	v_add_co_ci_u32_e64 v23, null, v26, v1, vcc_lo
	v_add_co_u32 v24, vcc_lo, s2, v4
	global_load_dword v27, v[22:23], off
	v_add_co_ci_u32_e64 v25, null, s3, v5, vcc_lo
	v_add_co_u32 v4, vcc_lo, v24, v0
	s_lshl_b64 s[2:3], s[14:15], 6
	v_add_co_ci_u32_e64 v5, null, v25, v1, vcc_lo
	s_waitcnt vmcnt(0)
	v_mul_f32_e32 v6, s9, v27
	v_fmac_f32_e32 v6, s4, v19
	global_store_dword v[4:5], v6, off
	global_load_dword v6, v[22:23], off offset:64
	s_waitcnt vmcnt(0)
	v_mul_f32_e32 v6, s9, v6
	v_fmac_f32_e32 v6, s4, v21
	global_store_dword v[4:5], v6, off offset:64
	global_load_dword v6, v[22:23], off offset:128
	s_waitcnt vmcnt(0)
	v_mul_f32_e32 v6, s9, v6
	v_fmac_f32_e32 v6, s4, v20
	v_add_co_u32 v20, vcc_lo, v7, s2
	v_add_co_ci_u32_e64 v21, null, s3, v26, vcc_lo
	global_store_dword v[4:5], v6, off offset:128
	global_load_dword v6, v[22:23], off offset:192
	s_waitcnt vmcnt(0)
	v_mul_f32_e32 v19, s9, v6
	v_add_co_u32 v6, vcc_lo, v20, v0
	v_add_co_ci_u32_e64 v7, null, v21, v1, vcc_lo
	v_fmac_f32_e32 v19, s4, v18
	v_add_co_u32 v18, vcc_lo, v24, s0
	global_store_dword v[4:5], v19, off offset:192
	global_load_dword v4, v[6:7], off
	v_add_co_ci_u32_e64 v19, null, s1, v25, vcc_lo
	s_waitcnt vmcnt(0)
	v_mul_f32_e32 v22, s9, v4
	v_add_co_u32 v4, vcc_lo, v18, v0
	v_add_co_ci_u32_e64 v5, null, v19, v1, vcc_lo
	v_fmac_f32_e32 v22, s4, v17
	global_store_dword v[4:5], v22, off
	global_load_dword v17, v[6:7], off offset:64
	s_waitcnt vmcnt(0)
	v_mul_f32_e32 v17, s9, v17
	v_fmac_f32_e32 v17, s4, v16
	global_store_dword v[4:5], v17, off offset:64
	global_load_dword v16, v[6:7], off offset:128
	s_waitcnt vmcnt(0)
	v_mul_f32_e32 v16, s9, v16
	v_fmac_f32_e32 v16, s4, v15
	global_store_dword v[4:5], v16, off offset:128
	global_load_dword v6, v[6:7], off offset:192
	v_add_co_u32 v16, vcc_lo, v20, s2
	v_add_co_ci_u32_e64 v17, null, s3, v21, vcc_lo
	s_waitcnt vmcnt(0)
	v_mul_f32_e32 v15, s9, v6
	v_add_co_u32 v6, vcc_lo, v16, v0
	v_add_co_ci_u32_e64 v7, null, v17, v1, vcc_lo
	v_fmac_f32_e32 v15, s4, v14
	v_add_co_u32 v14, vcc_lo, v18, s0
	global_store_dword v[4:5], v15, off offset:192
	global_load_dword v4, v[6:7], off
	v_add_co_ci_u32_e64 v15, null, s1, v19, vcc_lo
	s_waitcnt vmcnt(0)
	v_mul_f32_e32 v18, s9, v4
	v_add_co_u32 v4, vcc_lo, v14, v0
	v_add_co_ci_u32_e64 v5, null, v15, v1, vcc_lo
	v_fmac_f32_e32 v18, s4, v13
	global_store_dword v[4:5], v18, off
	global_load_dword v13, v[6:7], off offset:64
	s_waitcnt vmcnt(0)
	v_mul_f32_e32 v13, s9, v13
	v_fmac_f32_e32 v13, s4, v12
	global_store_dword v[4:5], v13, off offset:64
	global_load_dword v12, v[6:7], off offset:128
	s_waitcnt vmcnt(0)
	v_mul_f32_e32 v12, s9, v12
	v_fmac_f32_e32 v12, s4, v11
	global_store_dword v[4:5], v12, off offset:128
	global_load_dword v6, v[6:7], off offset:192
	s_waitcnt vmcnt(0)
	v_mul_f32_e32 v11, s9, v6
	v_add_co_u32 v6, vcc_lo, v16, s2
	v_add_co_ci_u32_e64 v7, null, s3, v17, vcc_lo
	v_fmac_f32_e32 v11, s4, v10
	v_add_co_u32 v6, vcc_lo, v6, v0
	v_add_co_ci_u32_e64 v7, null, v7, v1, vcc_lo
	global_store_dword v[4:5], v11, off offset:192
	v_add_co_u32 v5, vcc_lo, v14, s0
	global_load_dword v4, v[6:7], off
	v_add_co_ci_u32_e64 v10, null, s1, v15, vcc_lo
	v_add_co_u32 v0, vcc_lo, v5, v0
	v_add_co_ci_u32_e64 v1, null, v10, v1, vcc_lo
	s_waitcnt vmcnt(0)
	v_mul_f32_e32 v4, s9, v4
	v_fmac_f32_e32 v4, s4, v9
	global_store_dword v[0:1], v4, off
	global_load_dword v4, v[6:7], off offset:64
	s_waitcnt vmcnt(0)
	v_mul_f32_e32 v4, s9, v4
	v_fmac_f32_e32 v4, s4, v8
	global_store_dword v[0:1], v4, off offset:64
	global_load_dword v4, v[6:7], off offset:128
	s_waitcnt vmcnt(0)
	v_mul_f32_e32 v4, s9, v4
	v_fmac_f32_e32 v4, s4, v2
	global_store_dword v[0:1], v4, off offset:128
	;; [unrolled: 5-line block ×3, first 2 shown]
.LBB448_6:
	s_endpgm
.LBB448_7:
	s_branch .LBB448_5
	.section	.rodata,"a",@progbits
	.p2align	6, 0x0
	.amdhsa_kernel _ZN12_GLOBAL__N_127rocblas_gemm_batched_kernelIfLi16ELi16ELi64ELi64ELi4ELi64ELi4ELi4ELi64ELc84ELc84EK16rocblas_bfloat16KffEEvlllT_PT11_llS6_llS4_PT12_llPT13_lli
		.amdhsa_group_segment_fixed_size 2048
		.amdhsa_private_segment_fixed_size 0
		.amdhsa_kernarg_size 140
		.amdhsa_user_sgpr_count 6
		.amdhsa_user_sgpr_private_segment_buffer 1
		.amdhsa_user_sgpr_dispatch_ptr 0
		.amdhsa_user_sgpr_queue_ptr 0
		.amdhsa_user_sgpr_kernarg_segment_ptr 1
		.amdhsa_user_sgpr_dispatch_id 0
		.amdhsa_user_sgpr_flat_scratch_init 0
		.amdhsa_user_sgpr_private_segment_size 0
		.amdhsa_wavefront_size32 1
		.amdhsa_uses_dynamic_stack 0
		.amdhsa_system_sgpr_private_segment_wavefront_offset 0
		.amdhsa_system_sgpr_workgroup_id_x 1
		.amdhsa_system_sgpr_workgroup_id_y 1
		.amdhsa_system_sgpr_workgroup_id_z 1
		.amdhsa_system_sgpr_workgroup_info 0
		.amdhsa_system_vgpr_workitem_id 1
		.amdhsa_next_free_vgpr 58
		.amdhsa_next_free_sgpr 22
		.amdhsa_reserve_vcc 1
		.amdhsa_reserve_flat_scratch 0
		.amdhsa_float_round_mode_32 0
		.amdhsa_float_round_mode_16_64 0
		.amdhsa_float_denorm_mode_32 3
		.amdhsa_float_denorm_mode_16_64 3
		.amdhsa_dx10_clamp 1
		.amdhsa_ieee_mode 1
		.amdhsa_fp16_overflow 0
		.amdhsa_workgroup_processor_mode 1
		.amdhsa_memory_ordered 1
		.amdhsa_forward_progress 1
		.amdhsa_shared_vgpr_count 0
		.amdhsa_exception_fp_ieee_invalid_op 0
		.amdhsa_exception_fp_denorm_src 0
		.amdhsa_exception_fp_ieee_div_zero 0
		.amdhsa_exception_fp_ieee_overflow 0
		.amdhsa_exception_fp_ieee_underflow 0
		.amdhsa_exception_fp_ieee_inexact 0
		.amdhsa_exception_int_div_zero 0
	.end_amdhsa_kernel
	.section	.text._ZN12_GLOBAL__N_127rocblas_gemm_batched_kernelIfLi16ELi16ELi64ELi64ELi4ELi64ELi4ELi4ELi64ELc84ELc84EK16rocblas_bfloat16KffEEvlllT_PT11_llS6_llS4_PT12_llPT13_lli,"axG",@progbits,_ZN12_GLOBAL__N_127rocblas_gemm_batched_kernelIfLi16ELi16ELi64ELi64ELi4ELi64ELi4ELi4ELi64ELc84ELc84EK16rocblas_bfloat16KffEEvlllT_PT11_llS6_llS4_PT12_llPT13_lli,comdat
.Lfunc_end448:
	.size	_ZN12_GLOBAL__N_127rocblas_gemm_batched_kernelIfLi16ELi16ELi64ELi64ELi4ELi64ELi4ELi4ELi64ELc84ELc84EK16rocblas_bfloat16KffEEvlllT_PT11_llS6_llS4_PT12_llPT13_lli, .Lfunc_end448-_ZN12_GLOBAL__N_127rocblas_gemm_batched_kernelIfLi16ELi16ELi64ELi64ELi4ELi64ELi4ELi4ELi64ELc84ELc84EK16rocblas_bfloat16KffEEvlllT_PT11_llS6_llS4_PT12_llPT13_lli
                                        ; -- End function
	.set _ZN12_GLOBAL__N_127rocblas_gemm_batched_kernelIfLi16ELi16ELi64ELi64ELi4ELi64ELi4ELi4ELi64ELc84ELc84EK16rocblas_bfloat16KffEEvlllT_PT11_llS6_llS4_PT12_llPT13_lli.num_vgpr, 58
	.set _ZN12_GLOBAL__N_127rocblas_gemm_batched_kernelIfLi16ELi16ELi64ELi64ELi4ELi64ELi4ELi4ELi64ELc84ELc84EK16rocblas_bfloat16KffEEvlllT_PT11_llS6_llS4_PT12_llPT13_lli.num_agpr, 0
	.set _ZN12_GLOBAL__N_127rocblas_gemm_batched_kernelIfLi16ELi16ELi64ELi64ELi4ELi64ELi4ELi4ELi64ELc84ELc84EK16rocblas_bfloat16KffEEvlllT_PT11_llS6_llS4_PT12_llPT13_lli.numbered_sgpr, 22
	.set _ZN12_GLOBAL__N_127rocblas_gemm_batched_kernelIfLi16ELi16ELi64ELi64ELi4ELi64ELi4ELi4ELi64ELc84ELc84EK16rocblas_bfloat16KffEEvlllT_PT11_llS6_llS4_PT12_llPT13_lli.num_named_barrier, 0
	.set _ZN12_GLOBAL__N_127rocblas_gemm_batched_kernelIfLi16ELi16ELi64ELi64ELi4ELi64ELi4ELi4ELi64ELc84ELc84EK16rocblas_bfloat16KffEEvlllT_PT11_llS6_llS4_PT12_llPT13_lli.private_seg_size, 0
	.set _ZN12_GLOBAL__N_127rocblas_gemm_batched_kernelIfLi16ELi16ELi64ELi64ELi4ELi64ELi4ELi4ELi64ELc84ELc84EK16rocblas_bfloat16KffEEvlllT_PT11_llS6_llS4_PT12_llPT13_lli.uses_vcc, 1
	.set _ZN12_GLOBAL__N_127rocblas_gemm_batched_kernelIfLi16ELi16ELi64ELi64ELi4ELi64ELi4ELi4ELi64ELc84ELc84EK16rocblas_bfloat16KffEEvlllT_PT11_llS6_llS4_PT12_llPT13_lli.uses_flat_scratch, 0
	.set _ZN12_GLOBAL__N_127rocblas_gemm_batched_kernelIfLi16ELi16ELi64ELi64ELi4ELi64ELi4ELi4ELi64ELc84ELc84EK16rocblas_bfloat16KffEEvlllT_PT11_llS6_llS4_PT12_llPT13_lli.has_dyn_sized_stack, 0
	.set _ZN12_GLOBAL__N_127rocblas_gemm_batched_kernelIfLi16ELi16ELi64ELi64ELi4ELi64ELi4ELi4ELi64ELc84ELc84EK16rocblas_bfloat16KffEEvlllT_PT11_llS6_llS4_PT12_llPT13_lli.has_recursion, 0
	.set _ZN12_GLOBAL__N_127rocblas_gemm_batched_kernelIfLi16ELi16ELi64ELi64ELi4ELi64ELi4ELi4ELi64ELc84ELc84EK16rocblas_bfloat16KffEEvlllT_PT11_llS6_llS4_PT12_llPT13_lli.has_indirect_call, 0
	.section	.AMDGPU.csdata,"",@progbits
; Kernel info:
; codeLenInByte = 2292
; TotalNumSgprs: 24
; NumVgprs: 58
; ScratchSize: 0
; MemoryBound: 0
; FloatMode: 240
; IeeeMode: 1
; LDSByteSize: 2048 bytes/workgroup (compile time only)
; SGPRBlocks: 0
; VGPRBlocks: 7
; NumSGPRsForWavesPerEU: 24
; NumVGPRsForWavesPerEU: 58
; Occupancy: 16
; WaveLimiterHint : 0
; COMPUTE_PGM_RSRC2:SCRATCH_EN: 0
; COMPUTE_PGM_RSRC2:USER_SGPR: 6
; COMPUTE_PGM_RSRC2:TRAP_HANDLER: 0
; COMPUTE_PGM_RSRC2:TGID_X_EN: 1
; COMPUTE_PGM_RSRC2:TGID_Y_EN: 1
; COMPUTE_PGM_RSRC2:TGID_Z_EN: 1
; COMPUTE_PGM_RSRC2:TIDIG_COMP_CNT: 1
	.section	.text._ZN12_GLOBAL__N_127rocblas_gemm_batched_kernelIfLi16ELi16ELi64ELi64ELi4ELi64ELi4ELi4ELi64ELc67ELc67EK16rocblas_bfloat16KffEEvlllT_PT11_llS6_llS4_PT12_llPT13_lli,"axG",@progbits,_ZN12_GLOBAL__N_127rocblas_gemm_batched_kernelIfLi16ELi16ELi64ELi64ELi4ELi64ELi4ELi4ELi64ELc67ELc67EK16rocblas_bfloat16KffEEvlllT_PT11_llS6_llS4_PT12_llPT13_lli,comdat
	.globl	_ZN12_GLOBAL__N_127rocblas_gemm_batched_kernelIfLi16ELi16ELi64ELi64ELi4ELi64ELi4ELi4ELi64ELc67ELc67EK16rocblas_bfloat16KffEEvlllT_PT11_llS6_llS4_PT12_llPT13_lli ; -- Begin function _ZN12_GLOBAL__N_127rocblas_gemm_batched_kernelIfLi16ELi16ELi64ELi64ELi4ELi64ELi4ELi4ELi64ELc67ELc67EK16rocblas_bfloat16KffEEvlllT_PT11_llS6_llS4_PT12_llPT13_lli
	.p2align	8
	.type	_ZN12_GLOBAL__N_127rocblas_gemm_batched_kernelIfLi16ELi16ELi64ELi64ELi4ELi64ELi4ELi4ELi64ELc67ELc67EK16rocblas_bfloat16KffEEvlllT_PT11_llS6_llS4_PT12_llPT13_lli,@function
_ZN12_GLOBAL__N_127rocblas_gemm_batched_kernelIfLi16ELi16ELi64ELi64ELi4ELi64ELi4ELi4ELi64ELc67ELc67EK16rocblas_bfloat16KffEEvlllT_PT11_llS6_llS4_PT12_llPT13_lli: ; @_ZN12_GLOBAL__N_127rocblas_gemm_batched_kernelIfLi16ELi16ELi64ELi64ELi4ELi64ELi4ELi4ELi64ELc67ELc67EK16rocblas_bfloat16KffEEvlllT_PT11_llS6_llS4_PT12_llPT13_lli
; %bb.0:
	s_load_dwordx2 s[20:21], s[4:5], 0x10
	s_mov_b32 s0, s7
	v_mov_b32_e32 v19, 0
	v_mov_b32_e32 v21, 0
	;; [unrolled: 1-line block ×16, first 2 shown]
	s_ashr_i32 s7, s6, 31
	s_ashr_i32 s1, s0, 31
	s_waitcnt lgkmcnt(0)
	v_cmp_lt_i64_e64 s2, s[20:21], 1
	s_lshl_b64 s[6:7], s[6:7], 6
	s_lshl_b64 s[10:11], s[0:1], 6
	s_and_b32 vcc_lo, exec_lo, s2
	s_cbranch_vccnz .LBB449_3
; %bb.1:
	v_lshlrev_b32_e32 v4, 4, v1
	s_clause 0x1
	s_load_dwordx4 s[0:3], s[4:5], 0x40
	s_load_dwordx8 s[12:19], s[4:5], 0x20
	v_and_b32_e32 v8, 3, v0
	v_mov_b32_e32 v3, 0
	v_add_nc_u32_e32 v5, v4, v0
	v_add_nc_u32_e32 v23, 0x400, v4
	v_lshlrev_b32_e32 v22, 2, v0
	v_lshlrev_b32_e32 v6, 2, v8
	v_mov_b32_e32 v13, v3
	v_and_b32_e32 v7, 63, v5
	v_lshrrev_b32_e32 v2, 2, v5
	v_lshrrev_b32_e32 v10, 6, v5
	v_mov_b32_e32 v14, v3
	v_mov_b32_e32 v15, v3
	v_lshlrev_b32_e32 v4, 2, v7
	v_lshl_or_b32 v9, v2, 4, v6
	v_add_co_u32 v6, s9, s6, v7
	v_add_co_ci_u32_e64 v7, null, s7, 0, s9
	v_lshl_or_b32 v24, v10, 8, v4
	s_waitcnt lgkmcnt(0)
	v_mad_u64_u32 v[4:5], null, s0, v8, v[2:3]
	v_mul_lo_u32 v11, s15, v6
	v_mul_lo_u32 v12, s14, v7
	v_mad_u64_u32 v[6:7], null, s14, v6, 0
	s_mul_i32 s3, s3, s8
	s_mul_hi_u32 s9, s2, s8
	v_mov_b32_e32 v2, v5
	s_mul_i32 s2, s2, s8
	s_add_i32 s3, s9, s3
	v_add_nc_u32_e32 v25, 0x400, v9
	v_add3_u32 v7, v7, v12, v11
	v_mad_u64_u32 v[8:9], null, s1, v8, v[2:3]
	s_lshl_b64 s[2:3], s[2:3], 1
	v_lshlrev_b32_e32 v2, 1, v10
	s_add_u32 s9, s18, s2
	s_addc_u32 s14, s19, s3
	s_mul_i32 s2, s17, s8
	s_mul_hi_u32 s3, s16, s8
	v_lshlrev_b64 v[5:6], 1, v[6:7]
	v_add_co_u32 v7, vcc_lo, v4, s10
	s_add_i32 s3, s3, s2
	s_mul_i32 s2, s16, s8
	v_add_co_ci_u32_e64 v8, null, s11, v8, vcc_lo
	s_lshl_b64 s[2:3], s[2:3], 1
	v_mov_b32_e32 v10, v3
	v_add_co_u32 v9, vcc_lo, v5, s2
	v_add_co_ci_u32_e64 v6, null, s3, v6, vcc_lo
	v_lshlrev_b64 v[4:5], 1, v[7:8]
	v_add_co_u32 v2, vcc_lo, v9, v2
	v_add_co_ci_u32_e64 v7, null, 0, v6, vcc_lo
	v_mov_b32_e32 v8, v3
	v_add_co_u32 v4, vcc_lo, s9, v4
	v_add_co_ci_u32_e64 v5, null, s14, v5, vcc_lo
	v_add_co_u32 v6, vcc_lo, s12, v2
	v_add_co_ci_u32_e64 v7, null, s13, v7, vcc_lo
	v_mov_b32_e32 v2, v3
	v_mov_b32_e32 v9, v3
	;; [unrolled: 1-line block ×10, first 2 shown]
	s_lshl_b64 s[0:1], s[0:1], 3
	s_mov_b64 s[2:3], 0
.LBB449_2:                              ; =>This Inner Loop Header: Depth=1
	global_load_ushort v26, v[6:7], off
	global_load_ushort v27, v[4:5], off
	s_add_u32 s2, s2, 4
	s_addc_u32 s3, s3, 0
	v_add_co_u32 v4, vcc_lo, v4, s0
	v_cmp_lt_i64_e64 s9, s[2:3], s[20:21]
	v_add_co_ci_u32_e64 v5, null, s1, v5, vcc_lo
	v_add_co_u32 v6, vcc_lo, v6, 8
	v_add_co_ci_u32_e64 v7, null, 0, v7, vcc_lo
	s_and_b32 vcc_lo, exec_lo, s9
	s_waitcnt vmcnt(1)
	v_lshlrev_b32_e32 v26, 16, v26
	s_waitcnt vmcnt(0)
	v_lshlrev_b32_e32 v27, 16, v27
	ds_write_b32 v24, v26
	ds_write_b32 v25, v27
	s_waitcnt lgkmcnt(0)
	s_barrier
	buffer_gl0_inv
	ds_read_b128 v[26:29], v23
	ds_read2_b32 v[42:43], v22 offset1:16
	ds_read2_b32 v[44:45], v22 offset0:32 offset1:48
	ds_read_b128 v[30:33], v23 offset:256
	ds_read_b128 v[34:37], v23 offset:512
	;; [unrolled: 1-line block ×3, first 2 shown]
	ds_read2_b32 v[46:47], v22 offset0:64 offset1:80
	ds_read2_b32 v[48:49], v22 offset0:96 offset1:112
	;; [unrolled: 1-line block ×6, first 2 shown]
	s_waitcnt lgkmcnt(0)
	s_barrier
	buffer_gl0_inv
	v_fmac_f32_e32 v19, v42, v26
	v_fmac_f32_e32 v21, v43, v26
	;; [unrolled: 1-line block ×64, first 2 shown]
	s_cbranch_vccnz .LBB449_2
.LBB449_3:
	s_clause 0x3
	s_load_dwordx4 s[0:3], s[4:5], 0x78
	s_load_dword s9, s[4:5], 0x50
	s_load_dwordx8 s[12:19], s[4:5], 0x58
	s_load_dword s4, s[4:5], 0x18
	v_add_co_u32 v5, s5, s6, v0
	v_add_co_ci_u32_e64 v6, null, s7, 0, s5
	v_add_co_u32 v4, s5, s10, v1
	v_add_co_ci_u32_e64 v7, null, s11, 0, s5
	v_lshlrev_b64 v[0:1], 2, v[5:6]
	s_waitcnt lgkmcnt(0)
	s_mul_i32 s3, s3, s8
	s_mul_hi_u32 s5, s2, s8
	v_mul_lo_u32 v5, v7, s0
	v_mul_lo_u32 v6, v4, s1
	s_mul_i32 s2, s2, s8
	v_cmp_neq_f32_e64 s6, s9, 0
	s_add_i32 s3, s5, s3
	s_mov_b32 s5, 0
	s_lshl_b64 s[2:3], s[2:3], 2
	s_add_u32 s2, s18, s2
	s_addc_u32 s3, s19, s3
	s_and_b32 vcc_lo, exec_lo, s6
	s_cbranch_vccnz .LBB449_7
; %bb.4:
	v_mad_u64_u32 v[22:23], null, v4, s0, 0
	s_lshl_b64 s[6:7], s[0:1], 6
	v_mul_f32_e32 v26, s4, v19
	v_mul_f32_e32 v27, s4, v21
	v_mul_f32_e32 v28, s4, v20
	v_mul_f32_e32 v29, s4, v18
	v_mul_f32_e32 v30, s4, v17
	v_add3_u32 v23, v23, v6, v5
	v_mul_f32_e32 v31, s4, v16
	v_mul_f32_e32 v32, s4, v15
	;; [unrolled: 1-line block ×3, first 2 shown]
	v_lshlrev_b64 v[22:23], 2, v[22:23]
	v_add_co_u32 v22, vcc_lo, s2, v22
	v_add_co_ci_u32_e64 v23, null, s3, v23, vcc_lo
	v_add_co_u32 v34, vcc_lo, v22, s6
	v_add_co_ci_u32_e64 v35, null, s7, v23, vcc_lo
	;; [unrolled: 2-line block ×4, first 2 shown]
	global_store_dword v[22:23], v26, off
	global_store_dword v[22:23], v27, off offset:64
	global_store_dword v[22:23], v28, off offset:128
	;; [unrolled: 1-line block ×3, first 2 shown]
	global_store_dword v[24:25], v30, off
	global_store_dword v[24:25], v31, off offset:64
	v_add_co_u32 v26, vcc_lo, v34, s6
	v_add_co_ci_u32_e64 v27, null, s7, v35, vcc_lo
	v_mul_f32_e32 v28, s4, v13
	v_add_co_u32 v22, vcc_lo, v26, v0
	v_add_co_ci_u32_e64 v23, null, v27, v1, vcc_lo
	v_mul_f32_e32 v29, s4, v12
	v_mul_f32_e32 v30, s4, v11
	global_store_dword v[24:25], v32, off offset:128
	global_store_dword v[24:25], v33, off offset:192
	global_store_dword v[22:23], v28, off
	global_store_dword v[22:23], v29, off offset:64
	global_store_dword v[22:23], v30, off offset:128
	v_add_co_u32 v24, vcc_lo, v26, s6
	v_add_co_ci_u32_e64 v25, null, s7, v27, vcc_lo
	v_mul_f32_e32 v28, s4, v10
	v_add_co_u32 v24, vcc_lo, v24, v0
	v_mul_f32_e32 v26, s4, v9
	v_add_co_ci_u32_e64 v25, null, v25, v1, vcc_lo
	v_mul_f32_e32 v27, s4, v8
	v_mul_f32_e32 v29, s4, v2
	v_mul_f32_e32 v30, s4, v3
	global_store_dword v[22:23], v28, off offset:192
	global_store_dword v[24:25], v26, off
	global_store_dword v[24:25], v27, off offset:64
	global_store_dword v[24:25], v29, off offset:128
	;; [unrolled: 1-line block ×3, first 2 shown]
	s_andn2_b32 vcc_lo, exec_lo, s5
	s_cbranch_vccnz .LBB449_6
.LBB449_5:
	v_mul_lo_u32 v7, v7, s14
	v_mul_lo_u32 v24, v4, s15
	v_mad_u64_u32 v[22:23], null, v4, s14, 0
	s_mul_i32 s5, s17, s8
	s_mul_hi_u32 s7, s16, s8
	s_mul_i32 s6, s16, s8
	s_add_i32 s7, s7, s5
	s_lshl_b64 s[6:7], s[6:7], 2
	v_add3_u32 v23, v23, v24, v7
	s_add_u32 s5, s12, s6
	s_addc_u32 s6, s13, s7
	v_mad_u64_u32 v[24:25], null, v4, s0, 0
	v_lshlrev_b64 v[22:23], 2, v[22:23]
	s_lshl_b64 s[0:1], s[0:1], 6
	v_add3_u32 v25, v25, v6, v5
	v_add_co_u32 v7, vcc_lo, s5, v22
	v_add_co_ci_u32_e64 v26, null, s6, v23, vcc_lo
	v_lshlrev_b64 v[4:5], 2, v[24:25]
	v_add_co_u32 v22, vcc_lo, v7, v0
	v_add_co_ci_u32_e64 v23, null, v26, v1, vcc_lo
	v_add_co_u32 v24, vcc_lo, s2, v4
	global_load_dword v27, v[22:23], off
	v_add_co_ci_u32_e64 v25, null, s3, v5, vcc_lo
	v_add_co_u32 v4, vcc_lo, v24, v0
	s_lshl_b64 s[2:3], s[14:15], 6
	v_add_co_ci_u32_e64 v5, null, v25, v1, vcc_lo
	s_waitcnt vmcnt(0)
	v_mul_f32_e32 v6, s9, v27
	v_fmac_f32_e32 v6, s4, v19
	global_store_dword v[4:5], v6, off
	global_load_dword v6, v[22:23], off offset:64
	s_waitcnt vmcnt(0)
	v_mul_f32_e32 v6, s9, v6
	v_fmac_f32_e32 v6, s4, v21
	global_store_dword v[4:5], v6, off offset:64
	global_load_dword v6, v[22:23], off offset:128
	s_waitcnt vmcnt(0)
	v_mul_f32_e32 v6, s9, v6
	v_fmac_f32_e32 v6, s4, v20
	v_add_co_u32 v20, vcc_lo, v7, s2
	v_add_co_ci_u32_e64 v21, null, s3, v26, vcc_lo
	global_store_dword v[4:5], v6, off offset:128
	global_load_dword v6, v[22:23], off offset:192
	s_waitcnt vmcnt(0)
	v_mul_f32_e32 v19, s9, v6
	v_add_co_u32 v6, vcc_lo, v20, v0
	v_add_co_ci_u32_e64 v7, null, v21, v1, vcc_lo
	v_fmac_f32_e32 v19, s4, v18
	v_add_co_u32 v18, vcc_lo, v24, s0
	global_store_dword v[4:5], v19, off offset:192
	global_load_dword v4, v[6:7], off
	v_add_co_ci_u32_e64 v19, null, s1, v25, vcc_lo
	s_waitcnt vmcnt(0)
	v_mul_f32_e32 v22, s9, v4
	v_add_co_u32 v4, vcc_lo, v18, v0
	v_add_co_ci_u32_e64 v5, null, v19, v1, vcc_lo
	v_fmac_f32_e32 v22, s4, v17
	global_store_dword v[4:5], v22, off
	global_load_dword v17, v[6:7], off offset:64
	s_waitcnt vmcnt(0)
	v_mul_f32_e32 v17, s9, v17
	v_fmac_f32_e32 v17, s4, v16
	global_store_dword v[4:5], v17, off offset:64
	global_load_dword v16, v[6:7], off offset:128
	s_waitcnt vmcnt(0)
	v_mul_f32_e32 v16, s9, v16
	v_fmac_f32_e32 v16, s4, v15
	global_store_dword v[4:5], v16, off offset:128
	global_load_dword v6, v[6:7], off offset:192
	v_add_co_u32 v16, vcc_lo, v20, s2
	v_add_co_ci_u32_e64 v17, null, s3, v21, vcc_lo
	s_waitcnt vmcnt(0)
	v_mul_f32_e32 v15, s9, v6
	v_add_co_u32 v6, vcc_lo, v16, v0
	v_add_co_ci_u32_e64 v7, null, v17, v1, vcc_lo
	v_fmac_f32_e32 v15, s4, v14
	v_add_co_u32 v14, vcc_lo, v18, s0
	global_store_dword v[4:5], v15, off offset:192
	global_load_dword v4, v[6:7], off
	v_add_co_ci_u32_e64 v15, null, s1, v19, vcc_lo
	s_waitcnt vmcnt(0)
	v_mul_f32_e32 v18, s9, v4
	v_add_co_u32 v4, vcc_lo, v14, v0
	v_add_co_ci_u32_e64 v5, null, v15, v1, vcc_lo
	v_fmac_f32_e32 v18, s4, v13
	global_store_dword v[4:5], v18, off
	global_load_dword v13, v[6:7], off offset:64
	s_waitcnt vmcnt(0)
	v_mul_f32_e32 v13, s9, v13
	v_fmac_f32_e32 v13, s4, v12
	global_store_dword v[4:5], v13, off offset:64
	global_load_dword v12, v[6:7], off offset:128
	s_waitcnt vmcnt(0)
	v_mul_f32_e32 v12, s9, v12
	v_fmac_f32_e32 v12, s4, v11
	global_store_dword v[4:5], v12, off offset:128
	global_load_dword v6, v[6:7], off offset:192
	s_waitcnt vmcnt(0)
	v_mul_f32_e32 v11, s9, v6
	v_add_co_u32 v6, vcc_lo, v16, s2
	v_add_co_ci_u32_e64 v7, null, s3, v17, vcc_lo
	v_fmac_f32_e32 v11, s4, v10
	v_add_co_u32 v6, vcc_lo, v6, v0
	v_add_co_ci_u32_e64 v7, null, v7, v1, vcc_lo
	global_store_dword v[4:5], v11, off offset:192
	v_add_co_u32 v5, vcc_lo, v14, s0
	global_load_dword v4, v[6:7], off
	v_add_co_ci_u32_e64 v10, null, s1, v15, vcc_lo
	v_add_co_u32 v0, vcc_lo, v5, v0
	v_add_co_ci_u32_e64 v1, null, v10, v1, vcc_lo
	s_waitcnt vmcnt(0)
	v_mul_f32_e32 v4, s9, v4
	v_fmac_f32_e32 v4, s4, v9
	global_store_dword v[0:1], v4, off
	global_load_dword v4, v[6:7], off offset:64
	s_waitcnt vmcnt(0)
	v_mul_f32_e32 v4, s9, v4
	v_fmac_f32_e32 v4, s4, v8
	global_store_dword v[0:1], v4, off offset:64
	global_load_dword v4, v[6:7], off offset:128
	s_waitcnt vmcnt(0)
	v_mul_f32_e32 v4, s9, v4
	v_fmac_f32_e32 v4, s4, v2
	global_store_dword v[0:1], v4, off offset:128
	;; [unrolled: 5-line block ×3, first 2 shown]
.LBB449_6:
	s_endpgm
.LBB449_7:
	s_branch .LBB449_5
	.section	.rodata,"a",@progbits
	.p2align	6, 0x0
	.amdhsa_kernel _ZN12_GLOBAL__N_127rocblas_gemm_batched_kernelIfLi16ELi16ELi64ELi64ELi4ELi64ELi4ELi4ELi64ELc67ELc67EK16rocblas_bfloat16KffEEvlllT_PT11_llS6_llS4_PT12_llPT13_lli
		.amdhsa_group_segment_fixed_size 2048
		.amdhsa_private_segment_fixed_size 0
		.amdhsa_kernarg_size 140
		.amdhsa_user_sgpr_count 6
		.amdhsa_user_sgpr_private_segment_buffer 1
		.amdhsa_user_sgpr_dispatch_ptr 0
		.amdhsa_user_sgpr_queue_ptr 0
		.amdhsa_user_sgpr_kernarg_segment_ptr 1
		.amdhsa_user_sgpr_dispatch_id 0
		.amdhsa_user_sgpr_flat_scratch_init 0
		.amdhsa_user_sgpr_private_segment_size 0
		.amdhsa_wavefront_size32 1
		.amdhsa_uses_dynamic_stack 0
		.amdhsa_system_sgpr_private_segment_wavefront_offset 0
		.amdhsa_system_sgpr_workgroup_id_x 1
		.amdhsa_system_sgpr_workgroup_id_y 1
		.amdhsa_system_sgpr_workgroup_id_z 1
		.amdhsa_system_sgpr_workgroup_info 0
		.amdhsa_system_vgpr_workitem_id 1
		.amdhsa_next_free_vgpr 58
		.amdhsa_next_free_sgpr 22
		.amdhsa_reserve_vcc 1
		.amdhsa_reserve_flat_scratch 0
		.amdhsa_float_round_mode_32 0
		.amdhsa_float_round_mode_16_64 0
		.amdhsa_float_denorm_mode_32 3
		.amdhsa_float_denorm_mode_16_64 3
		.amdhsa_dx10_clamp 1
		.amdhsa_ieee_mode 1
		.amdhsa_fp16_overflow 0
		.amdhsa_workgroup_processor_mode 1
		.amdhsa_memory_ordered 1
		.amdhsa_forward_progress 1
		.amdhsa_shared_vgpr_count 0
		.amdhsa_exception_fp_ieee_invalid_op 0
		.amdhsa_exception_fp_denorm_src 0
		.amdhsa_exception_fp_ieee_div_zero 0
		.amdhsa_exception_fp_ieee_overflow 0
		.amdhsa_exception_fp_ieee_underflow 0
		.amdhsa_exception_fp_ieee_inexact 0
		.amdhsa_exception_int_div_zero 0
	.end_amdhsa_kernel
	.section	.text._ZN12_GLOBAL__N_127rocblas_gemm_batched_kernelIfLi16ELi16ELi64ELi64ELi4ELi64ELi4ELi4ELi64ELc67ELc67EK16rocblas_bfloat16KffEEvlllT_PT11_llS6_llS4_PT12_llPT13_lli,"axG",@progbits,_ZN12_GLOBAL__N_127rocblas_gemm_batched_kernelIfLi16ELi16ELi64ELi64ELi4ELi64ELi4ELi4ELi64ELc67ELc67EK16rocblas_bfloat16KffEEvlllT_PT11_llS6_llS4_PT12_llPT13_lli,comdat
.Lfunc_end449:
	.size	_ZN12_GLOBAL__N_127rocblas_gemm_batched_kernelIfLi16ELi16ELi64ELi64ELi4ELi64ELi4ELi4ELi64ELc67ELc67EK16rocblas_bfloat16KffEEvlllT_PT11_llS6_llS4_PT12_llPT13_lli, .Lfunc_end449-_ZN12_GLOBAL__N_127rocblas_gemm_batched_kernelIfLi16ELi16ELi64ELi64ELi4ELi64ELi4ELi4ELi64ELc67ELc67EK16rocblas_bfloat16KffEEvlllT_PT11_llS6_llS4_PT12_llPT13_lli
                                        ; -- End function
	.set _ZN12_GLOBAL__N_127rocblas_gemm_batched_kernelIfLi16ELi16ELi64ELi64ELi4ELi64ELi4ELi4ELi64ELc67ELc67EK16rocblas_bfloat16KffEEvlllT_PT11_llS6_llS4_PT12_llPT13_lli.num_vgpr, 58
	.set _ZN12_GLOBAL__N_127rocblas_gemm_batched_kernelIfLi16ELi16ELi64ELi64ELi4ELi64ELi4ELi4ELi64ELc67ELc67EK16rocblas_bfloat16KffEEvlllT_PT11_llS6_llS4_PT12_llPT13_lli.num_agpr, 0
	.set _ZN12_GLOBAL__N_127rocblas_gemm_batched_kernelIfLi16ELi16ELi64ELi64ELi4ELi64ELi4ELi4ELi64ELc67ELc67EK16rocblas_bfloat16KffEEvlllT_PT11_llS6_llS4_PT12_llPT13_lli.numbered_sgpr, 22
	.set _ZN12_GLOBAL__N_127rocblas_gemm_batched_kernelIfLi16ELi16ELi64ELi64ELi4ELi64ELi4ELi4ELi64ELc67ELc67EK16rocblas_bfloat16KffEEvlllT_PT11_llS6_llS4_PT12_llPT13_lli.num_named_barrier, 0
	.set _ZN12_GLOBAL__N_127rocblas_gemm_batched_kernelIfLi16ELi16ELi64ELi64ELi4ELi64ELi4ELi4ELi64ELc67ELc67EK16rocblas_bfloat16KffEEvlllT_PT11_llS6_llS4_PT12_llPT13_lli.private_seg_size, 0
	.set _ZN12_GLOBAL__N_127rocblas_gemm_batched_kernelIfLi16ELi16ELi64ELi64ELi4ELi64ELi4ELi4ELi64ELc67ELc67EK16rocblas_bfloat16KffEEvlllT_PT11_llS6_llS4_PT12_llPT13_lli.uses_vcc, 1
	.set _ZN12_GLOBAL__N_127rocblas_gemm_batched_kernelIfLi16ELi16ELi64ELi64ELi4ELi64ELi4ELi4ELi64ELc67ELc67EK16rocblas_bfloat16KffEEvlllT_PT11_llS6_llS4_PT12_llPT13_lli.uses_flat_scratch, 0
	.set _ZN12_GLOBAL__N_127rocblas_gemm_batched_kernelIfLi16ELi16ELi64ELi64ELi4ELi64ELi4ELi4ELi64ELc67ELc67EK16rocblas_bfloat16KffEEvlllT_PT11_llS6_llS4_PT12_llPT13_lli.has_dyn_sized_stack, 0
	.set _ZN12_GLOBAL__N_127rocblas_gemm_batched_kernelIfLi16ELi16ELi64ELi64ELi4ELi64ELi4ELi4ELi64ELc67ELc67EK16rocblas_bfloat16KffEEvlllT_PT11_llS6_llS4_PT12_llPT13_lli.has_recursion, 0
	.set _ZN12_GLOBAL__N_127rocblas_gemm_batched_kernelIfLi16ELi16ELi64ELi64ELi4ELi64ELi4ELi4ELi64ELc67ELc67EK16rocblas_bfloat16KffEEvlllT_PT11_llS6_llS4_PT12_llPT13_lli.has_indirect_call, 0
	.section	.AMDGPU.csdata,"",@progbits
; Kernel info:
; codeLenInByte = 2292
; TotalNumSgprs: 24
; NumVgprs: 58
; ScratchSize: 0
; MemoryBound: 0
; FloatMode: 240
; IeeeMode: 1
; LDSByteSize: 2048 bytes/workgroup (compile time only)
; SGPRBlocks: 0
; VGPRBlocks: 7
; NumSGPRsForWavesPerEU: 24
; NumVGPRsForWavesPerEU: 58
; Occupancy: 16
; WaveLimiterHint : 0
; COMPUTE_PGM_RSRC2:SCRATCH_EN: 0
; COMPUTE_PGM_RSRC2:USER_SGPR: 6
; COMPUTE_PGM_RSRC2:TRAP_HANDLER: 0
; COMPUTE_PGM_RSRC2:TGID_X_EN: 1
; COMPUTE_PGM_RSRC2:TGID_Y_EN: 1
; COMPUTE_PGM_RSRC2:TGID_Z_EN: 1
; COMPUTE_PGM_RSRC2:TIDIG_COMP_CNT: 1
	.section	.text._ZN12_GLOBAL__N_127rocblas_gemm_batched_kernelIfLi16ELi16ELi64ELi64ELi4ELi64ELi4ELi4ELi64ELc67ELc78EK16rocblas_bfloat16KffEEvlllT_PT11_llS6_llS4_PT12_llPT13_lli,"axG",@progbits,_ZN12_GLOBAL__N_127rocblas_gemm_batched_kernelIfLi16ELi16ELi64ELi64ELi4ELi64ELi4ELi4ELi64ELc67ELc78EK16rocblas_bfloat16KffEEvlllT_PT11_llS6_llS4_PT12_llPT13_lli,comdat
	.globl	_ZN12_GLOBAL__N_127rocblas_gemm_batched_kernelIfLi16ELi16ELi64ELi64ELi4ELi64ELi4ELi4ELi64ELc67ELc78EK16rocblas_bfloat16KffEEvlllT_PT11_llS6_llS4_PT12_llPT13_lli ; -- Begin function _ZN12_GLOBAL__N_127rocblas_gemm_batched_kernelIfLi16ELi16ELi64ELi64ELi4ELi64ELi4ELi4ELi64ELc67ELc78EK16rocblas_bfloat16KffEEvlllT_PT11_llS6_llS4_PT12_llPT13_lli
	.p2align	8
	.type	_ZN12_GLOBAL__N_127rocblas_gemm_batched_kernelIfLi16ELi16ELi64ELi64ELi4ELi64ELi4ELi4ELi64ELc67ELc78EK16rocblas_bfloat16KffEEvlllT_PT11_llS6_llS4_PT12_llPT13_lli,@function
_ZN12_GLOBAL__N_127rocblas_gemm_batched_kernelIfLi16ELi16ELi64ELi64ELi4ELi64ELi4ELi4ELi64ELc67ELc78EK16rocblas_bfloat16KffEEvlllT_PT11_llS6_llS4_PT12_llPT13_lli: ; @_ZN12_GLOBAL__N_127rocblas_gemm_batched_kernelIfLi16ELi16ELi64ELi64ELi4ELi64ELi4ELi4ELi64ELc67ELc78EK16rocblas_bfloat16KffEEvlllT_PT11_llS6_llS4_PT12_llPT13_lli
; %bb.0:
	s_load_dwordx2 s[20:21], s[4:5], 0x10
	s_mov_b32 s0, s7
	v_mov_b32_e32 v19, 0
	v_mov_b32_e32 v21, 0
	;; [unrolled: 1-line block ×16, first 2 shown]
	s_ashr_i32 s7, s6, 31
	s_ashr_i32 s1, s0, 31
	s_waitcnt lgkmcnt(0)
	v_cmp_lt_i64_e64 s2, s[20:21], 1
	s_lshl_b64 s[6:7], s[6:7], 6
	s_lshl_b64 s[10:11], s[0:1], 6
	s_and_b32 vcc_lo, exec_lo, s2
	s_cbranch_vccnz .LBB450_3
; %bb.1:
	v_lshlrev_b32_e32 v7, 4, v1
	s_clause 0x1
	s_load_dwordx4 s[0:3], s[4:5], 0x40
	s_load_dwordx8 s[12:19], s[4:5], 0x20
	v_and_b32_e32 v8, 3, v0
	v_mov_b32_e32 v6, 0
	v_add_nc_u32_e32 v2, v7, v0
	v_add_nc_u32_e32 v25, 0x400, v7
	v_lshlrev_b32_e32 v22, 2, v0
	v_lshlrev_b32_e32 v4, 2, v8
	v_mov_b32_e32 v14, 0
	v_lshrrev_b32_e32 v3, 2, v2
	v_and_b32_e32 v5, 63, v2
	v_lshrrev_b32_e32 v11, 6, v2
	v_mov_b32_e32 v15, 0
	v_mov_b32_e32 v16, 0
	v_add_co_u32 v9, s9, v3, s10
	v_add_co_ci_u32_e64 v10, null, 0, s11, s9
	v_lshl_or_b32 v4, v3, 4, v4
	v_lshlrev_b32_e32 v12, 2, v5
	s_waitcnt lgkmcnt(0)
	v_mul_lo_u32 v13, s1, v9
	v_mul_lo_u32 v10, s0, v10
	v_mad_u64_u32 v[2:3], null, s0, v9, 0
	v_add_co_u32 v5, s0, s6, v5
	v_add_co_ci_u32_e64 v9, null, s7, 0, s0
	v_lshl_or_b32 v23, v11, 8, v12
	v_add_nc_u32_e32 v24, 0x400, v4
	v_mul_lo_u32 v12, s15, v5
	v_add3_u32 v3, v3, v10, v13
	v_mul_lo_u32 v9, s14, v9
	v_mad_u64_u32 v[4:5], null, s14, v5, 0
	s_mul_i32 s0, s3, s8
	s_mul_hi_u32 s1, s2, s8
	v_lshlrev_b64 v[2:3], 1, v[2:3]
	s_add_i32 s1, s1, s0
	s_mul_i32 s0, s2, s8
	v_mov_b32_e32 v10, 0
	v_add3_u32 v5, v5, v9, v12
	s_lshl_b64 s[0:1], s[0:1], 1
	v_mov_b32_e32 v12, 0
	v_add_co_u32 v7, vcc_lo, v2, s0
	v_add_co_ci_u32_e64 v9, null, s1, v3, vcc_lo
	s_mul_i32 s0, s17, s8
	s_mul_hi_u32 s1, s16, s8
	v_lshlrev_b64 v[2:3], 1, v[4:5]
	s_add_i32 s1, s1, s0
	s_mul_i32 s0, s16, s8
	v_lshlrev_b32_e32 v4, 1, v8
	s_lshl_b64 s[0:1], s[0:1], 1
	v_lshlrev_b32_e32 v5, 1, v11
	v_add_co_u32 v2, vcc_lo, v2, s0
	v_add_co_ci_u32_e64 v3, null, s1, v3, vcc_lo
	v_add_co_u32 v4, vcc_lo, v7, v4
	v_add_co_ci_u32_e64 v7, null, 0, v9, vcc_lo
	v_add_co_u32 v5, vcc_lo, v2, v5
	v_add_co_ci_u32_e64 v8, null, 0, v3, vcc_lo
	v_add_co_u32 v2, vcc_lo, s18, v4
	v_add_co_ci_u32_e64 v3, null, s19, v7, vcc_lo
	v_add_co_u32 v4, vcc_lo, s12, v5
	v_add_co_ci_u32_e64 v5, null, s13, v8, vcc_lo
	v_mov_b32_e32 v7, 0
	v_mov_b32_e32 v8, 0
	;; [unrolled: 1-line block ×10, first 2 shown]
	s_mov_b64 s[0:1], 0
.LBB450_2:                              ; =>This Inner Loop Header: Depth=1
	global_load_ushort v26, v[4:5], off
	global_load_ushort v27, v[2:3], off
	s_add_u32 s0, s0, 4
	s_addc_u32 s1, s1, 0
	v_add_co_u32 v2, vcc_lo, v2, 8
	v_cmp_lt_i64_e64 s2, s[0:1], s[20:21]
	v_add_co_ci_u32_e64 v3, null, 0, v3, vcc_lo
	v_add_co_u32 v4, vcc_lo, v4, 8
	v_add_co_ci_u32_e64 v5, null, 0, v5, vcc_lo
	s_and_b32 vcc_lo, exec_lo, s2
	s_waitcnt vmcnt(1)
	v_lshlrev_b32_e32 v26, 16, v26
	s_waitcnt vmcnt(0)
	v_lshlrev_b32_e32 v27, 16, v27
	ds_write_b32 v23, v26
	ds_write_b32 v24, v27
	s_waitcnt lgkmcnt(0)
	s_barrier
	buffer_gl0_inv
	ds_read_b128 v[26:29], v25
	ds_read2_b32 v[42:43], v22 offset1:16
	ds_read2_b32 v[44:45], v22 offset0:32 offset1:48
	ds_read_b128 v[30:33], v25 offset:256
	ds_read_b128 v[34:37], v25 offset:512
	;; [unrolled: 1-line block ×3, first 2 shown]
	ds_read2_b32 v[46:47], v22 offset0:64 offset1:80
	ds_read2_b32 v[48:49], v22 offset0:96 offset1:112
	;; [unrolled: 1-line block ×6, first 2 shown]
	s_waitcnt lgkmcnt(0)
	s_barrier
	buffer_gl0_inv
	v_fmac_f32_e32 v19, v42, v26
	v_fmac_f32_e32 v21, v43, v26
	;; [unrolled: 1-line block ×64, first 2 shown]
	s_cbranch_vccnz .LBB450_2
.LBB450_3:
	s_clause 0x3
	s_load_dwordx4 s[0:3], s[4:5], 0x78
	s_load_dword s9, s[4:5], 0x50
	s_load_dwordx8 s[12:19], s[4:5], 0x58
	s_load_dword s4, s[4:5], 0x18
	v_add_co_u32 v3, s5, s6, v0
	v_add_co_ci_u32_e64 v4, null, s7, 0, s5
	v_add_co_u32 v2, s5, s10, v1
	v_add_co_ci_u32_e64 v5, null, s11, 0, s5
	v_lshlrev_b64 v[0:1], 2, v[3:4]
	s_waitcnt lgkmcnt(0)
	s_mul_i32 s3, s3, s8
	s_mul_hi_u32 s5, s2, s8
	v_mul_lo_u32 v3, v5, s0
	v_mul_lo_u32 v4, v2, s1
	s_mul_i32 s2, s2, s8
	v_cmp_neq_f32_e64 s6, s9, 0
	s_add_i32 s3, s5, s3
	s_mov_b32 s5, 0
	s_lshl_b64 s[2:3], s[2:3], 2
	s_add_u32 s2, s18, s2
	s_addc_u32 s3, s19, s3
	s_and_b32 vcc_lo, exec_lo, s6
	s_cbranch_vccnz .LBB450_7
; %bb.4:
	v_mad_u64_u32 v[22:23], null, v2, s0, 0
	s_lshl_b64 s[6:7], s[0:1], 6
	v_mul_f32_e32 v26, s4, v19
	v_mul_f32_e32 v27, s4, v21
	;; [unrolled: 1-line block ×5, first 2 shown]
	v_add3_u32 v23, v23, v4, v3
	v_mul_f32_e32 v31, s4, v16
	v_mul_f32_e32 v32, s4, v15
	;; [unrolled: 1-line block ×3, first 2 shown]
	v_lshlrev_b64 v[22:23], 2, v[22:23]
	v_add_co_u32 v22, vcc_lo, s2, v22
	v_add_co_ci_u32_e64 v23, null, s3, v23, vcc_lo
	v_add_co_u32 v34, vcc_lo, v22, s6
	v_add_co_ci_u32_e64 v35, null, s7, v23, vcc_lo
	;; [unrolled: 2-line block ×4, first 2 shown]
	global_store_dword v[22:23], v26, off
	global_store_dword v[22:23], v27, off offset:64
	global_store_dword v[22:23], v28, off offset:128
	;; [unrolled: 1-line block ×3, first 2 shown]
	global_store_dword v[24:25], v30, off
	global_store_dword v[24:25], v31, off offset:64
	v_add_co_u32 v26, vcc_lo, v34, s6
	v_add_co_ci_u32_e64 v27, null, s7, v35, vcc_lo
	v_mul_f32_e32 v28, s4, v13
	v_add_co_u32 v22, vcc_lo, v26, v0
	v_add_co_ci_u32_e64 v23, null, v27, v1, vcc_lo
	v_mul_f32_e32 v29, s4, v12
	v_mul_f32_e32 v30, s4, v11
	global_store_dword v[24:25], v32, off offset:128
	global_store_dword v[24:25], v33, off offset:192
	global_store_dword v[22:23], v28, off
	global_store_dword v[22:23], v29, off offset:64
	global_store_dword v[22:23], v30, off offset:128
	v_add_co_u32 v24, vcc_lo, v26, s6
	v_add_co_ci_u32_e64 v25, null, s7, v27, vcc_lo
	v_mul_f32_e32 v28, s4, v10
	v_add_co_u32 v24, vcc_lo, v24, v0
	v_mul_f32_e32 v26, s4, v9
	v_add_co_ci_u32_e64 v25, null, v25, v1, vcc_lo
	v_mul_f32_e32 v27, s4, v8
	v_mul_f32_e32 v29, s4, v7
	;; [unrolled: 1-line block ×3, first 2 shown]
	global_store_dword v[22:23], v28, off offset:192
	global_store_dword v[24:25], v26, off
	global_store_dword v[24:25], v27, off offset:64
	global_store_dword v[24:25], v29, off offset:128
	;; [unrolled: 1-line block ×3, first 2 shown]
	s_andn2_b32 vcc_lo, exec_lo, s5
	s_cbranch_vccnz .LBB450_6
.LBB450_5:
	v_mul_lo_u32 v5, v5, s14
	v_mul_lo_u32 v24, v2, s15
	v_mad_u64_u32 v[22:23], null, v2, s14, 0
	s_mul_i32 s5, s17, s8
	s_mul_hi_u32 s7, s16, s8
	s_mul_i32 s6, s16, s8
	s_add_i32 s7, s7, s5
	s_lshl_b64 s[6:7], s[6:7], 2
	v_add3_u32 v23, v23, v24, v5
	s_add_u32 s5, s12, s6
	s_addc_u32 s6, s13, s7
	v_mad_u64_u32 v[24:25], null, v2, s0, 0
	v_lshlrev_b64 v[22:23], 2, v[22:23]
	s_lshl_b64 s[0:1], s[0:1], 6
	v_add3_u32 v25, v25, v4, v3
	v_add_co_u32 v5, vcc_lo, s5, v22
	v_add_co_ci_u32_e64 v26, null, s6, v23, vcc_lo
	v_lshlrev_b64 v[2:3], 2, v[24:25]
	v_add_co_u32 v22, vcc_lo, v5, v0
	v_add_co_ci_u32_e64 v23, null, v26, v1, vcc_lo
	v_add_co_u32 v24, vcc_lo, s2, v2
	global_load_dword v27, v[22:23], off
	v_add_co_ci_u32_e64 v25, null, s3, v3, vcc_lo
	v_add_co_u32 v2, vcc_lo, v24, v0
	s_lshl_b64 s[2:3], s[14:15], 6
	v_add_co_ci_u32_e64 v3, null, v25, v1, vcc_lo
	s_waitcnt vmcnt(0)
	v_mul_f32_e32 v4, s9, v27
	v_fmac_f32_e32 v4, s4, v19
	global_store_dword v[2:3], v4, off
	global_load_dword v4, v[22:23], off offset:64
	s_waitcnt vmcnt(0)
	v_mul_f32_e32 v4, s9, v4
	v_fmac_f32_e32 v4, s4, v21
	global_store_dword v[2:3], v4, off offset:64
	global_load_dword v4, v[22:23], off offset:128
	s_waitcnt vmcnt(0)
	v_mul_f32_e32 v4, s9, v4
	v_fmac_f32_e32 v4, s4, v20
	v_add_co_u32 v20, vcc_lo, v5, s2
	v_add_co_ci_u32_e64 v21, null, s3, v26, vcc_lo
	global_store_dword v[2:3], v4, off offset:128
	global_load_dword v4, v[22:23], off offset:192
	s_waitcnt vmcnt(0)
	v_mul_f32_e32 v19, s9, v4
	v_add_co_u32 v4, vcc_lo, v20, v0
	v_add_co_ci_u32_e64 v5, null, v21, v1, vcc_lo
	v_fmac_f32_e32 v19, s4, v18
	v_add_co_u32 v18, vcc_lo, v24, s0
	global_store_dword v[2:3], v19, off offset:192
	global_load_dword v2, v[4:5], off
	v_add_co_ci_u32_e64 v19, null, s1, v25, vcc_lo
	s_waitcnt vmcnt(0)
	v_mul_f32_e32 v22, s9, v2
	v_add_co_u32 v2, vcc_lo, v18, v0
	v_add_co_ci_u32_e64 v3, null, v19, v1, vcc_lo
	v_fmac_f32_e32 v22, s4, v17
	global_store_dword v[2:3], v22, off
	global_load_dword v17, v[4:5], off offset:64
	s_waitcnt vmcnt(0)
	v_mul_f32_e32 v17, s9, v17
	v_fmac_f32_e32 v17, s4, v16
	global_store_dword v[2:3], v17, off offset:64
	global_load_dword v16, v[4:5], off offset:128
	s_waitcnt vmcnt(0)
	v_mul_f32_e32 v16, s9, v16
	v_fmac_f32_e32 v16, s4, v15
	global_store_dword v[2:3], v16, off offset:128
	global_load_dword v4, v[4:5], off offset:192
	v_add_co_u32 v16, vcc_lo, v20, s2
	v_add_co_ci_u32_e64 v17, null, s3, v21, vcc_lo
	s_waitcnt vmcnt(0)
	v_mul_f32_e32 v15, s9, v4
	v_add_co_u32 v4, vcc_lo, v16, v0
	v_add_co_ci_u32_e64 v5, null, v17, v1, vcc_lo
	v_fmac_f32_e32 v15, s4, v14
	v_add_co_u32 v14, vcc_lo, v18, s0
	global_store_dword v[2:3], v15, off offset:192
	global_load_dword v2, v[4:5], off
	v_add_co_ci_u32_e64 v15, null, s1, v19, vcc_lo
	s_waitcnt vmcnt(0)
	v_mul_f32_e32 v18, s9, v2
	v_add_co_u32 v2, vcc_lo, v14, v0
	v_add_co_ci_u32_e64 v3, null, v15, v1, vcc_lo
	v_fmac_f32_e32 v18, s4, v13
	global_store_dword v[2:3], v18, off
	global_load_dword v13, v[4:5], off offset:64
	s_waitcnt vmcnt(0)
	v_mul_f32_e32 v13, s9, v13
	v_fmac_f32_e32 v13, s4, v12
	global_store_dword v[2:3], v13, off offset:64
	global_load_dword v12, v[4:5], off offset:128
	s_waitcnt vmcnt(0)
	v_mul_f32_e32 v12, s9, v12
	v_fmac_f32_e32 v12, s4, v11
	global_store_dword v[2:3], v12, off offset:128
	global_load_dword v4, v[4:5], off offset:192
	s_waitcnt vmcnt(0)
	v_mul_f32_e32 v11, s9, v4
	v_add_co_u32 v4, vcc_lo, v16, s2
	v_add_co_ci_u32_e64 v5, null, s3, v17, vcc_lo
	v_fmac_f32_e32 v11, s4, v10
	v_add_co_u32 v4, vcc_lo, v4, v0
	v_add_co_ci_u32_e64 v5, null, v5, v1, vcc_lo
	global_store_dword v[2:3], v11, off offset:192
	v_add_co_u32 v3, vcc_lo, v14, s0
	global_load_dword v2, v[4:5], off
	v_add_co_ci_u32_e64 v10, null, s1, v15, vcc_lo
	v_add_co_u32 v0, vcc_lo, v3, v0
	v_add_co_ci_u32_e64 v1, null, v10, v1, vcc_lo
	s_waitcnt vmcnt(0)
	v_mul_f32_e32 v2, s9, v2
	v_fmac_f32_e32 v2, s4, v9
	global_store_dword v[0:1], v2, off
	global_load_dword v2, v[4:5], off offset:64
	s_waitcnt vmcnt(0)
	v_mul_f32_e32 v2, s9, v2
	v_fmac_f32_e32 v2, s4, v8
	global_store_dword v[0:1], v2, off offset:64
	global_load_dword v2, v[4:5], off offset:128
	s_waitcnt vmcnt(0)
	v_mul_f32_e32 v2, s9, v2
	v_fmac_f32_e32 v2, s4, v7
	global_store_dword v[0:1], v2, off offset:128
	;; [unrolled: 5-line block ×3, first 2 shown]
.LBB450_6:
	s_endpgm
.LBB450_7:
	s_branch .LBB450_5
	.section	.rodata,"a",@progbits
	.p2align	6, 0x0
	.amdhsa_kernel _ZN12_GLOBAL__N_127rocblas_gemm_batched_kernelIfLi16ELi16ELi64ELi64ELi4ELi64ELi4ELi4ELi64ELc67ELc78EK16rocblas_bfloat16KffEEvlllT_PT11_llS6_llS4_PT12_llPT13_lli
		.amdhsa_group_segment_fixed_size 2048
		.amdhsa_private_segment_fixed_size 0
		.amdhsa_kernarg_size 140
		.amdhsa_user_sgpr_count 6
		.amdhsa_user_sgpr_private_segment_buffer 1
		.amdhsa_user_sgpr_dispatch_ptr 0
		.amdhsa_user_sgpr_queue_ptr 0
		.amdhsa_user_sgpr_kernarg_segment_ptr 1
		.amdhsa_user_sgpr_dispatch_id 0
		.amdhsa_user_sgpr_flat_scratch_init 0
		.amdhsa_user_sgpr_private_segment_size 0
		.amdhsa_wavefront_size32 1
		.amdhsa_uses_dynamic_stack 0
		.amdhsa_system_sgpr_private_segment_wavefront_offset 0
		.amdhsa_system_sgpr_workgroup_id_x 1
		.amdhsa_system_sgpr_workgroup_id_y 1
		.amdhsa_system_sgpr_workgroup_id_z 1
		.amdhsa_system_sgpr_workgroup_info 0
		.amdhsa_system_vgpr_workitem_id 1
		.amdhsa_next_free_vgpr 58
		.amdhsa_next_free_sgpr 22
		.amdhsa_reserve_vcc 1
		.amdhsa_reserve_flat_scratch 0
		.amdhsa_float_round_mode_32 0
		.amdhsa_float_round_mode_16_64 0
		.amdhsa_float_denorm_mode_32 3
		.amdhsa_float_denorm_mode_16_64 3
		.amdhsa_dx10_clamp 1
		.amdhsa_ieee_mode 1
		.amdhsa_fp16_overflow 0
		.amdhsa_workgroup_processor_mode 1
		.amdhsa_memory_ordered 1
		.amdhsa_forward_progress 1
		.amdhsa_shared_vgpr_count 0
		.amdhsa_exception_fp_ieee_invalid_op 0
		.amdhsa_exception_fp_denorm_src 0
		.amdhsa_exception_fp_ieee_div_zero 0
		.amdhsa_exception_fp_ieee_overflow 0
		.amdhsa_exception_fp_ieee_underflow 0
		.amdhsa_exception_fp_ieee_inexact 0
		.amdhsa_exception_int_div_zero 0
	.end_amdhsa_kernel
	.section	.text._ZN12_GLOBAL__N_127rocblas_gemm_batched_kernelIfLi16ELi16ELi64ELi64ELi4ELi64ELi4ELi4ELi64ELc67ELc78EK16rocblas_bfloat16KffEEvlllT_PT11_llS6_llS4_PT12_llPT13_lli,"axG",@progbits,_ZN12_GLOBAL__N_127rocblas_gemm_batched_kernelIfLi16ELi16ELi64ELi64ELi4ELi64ELi4ELi4ELi64ELc67ELc78EK16rocblas_bfloat16KffEEvlllT_PT11_llS6_llS4_PT12_llPT13_lli,comdat
.Lfunc_end450:
	.size	_ZN12_GLOBAL__N_127rocblas_gemm_batched_kernelIfLi16ELi16ELi64ELi64ELi4ELi64ELi4ELi4ELi64ELc67ELc78EK16rocblas_bfloat16KffEEvlllT_PT11_llS6_llS4_PT12_llPT13_lli, .Lfunc_end450-_ZN12_GLOBAL__N_127rocblas_gemm_batched_kernelIfLi16ELi16ELi64ELi64ELi4ELi64ELi4ELi4ELi64ELc67ELc78EK16rocblas_bfloat16KffEEvlllT_PT11_llS6_llS4_PT12_llPT13_lli
                                        ; -- End function
	.set _ZN12_GLOBAL__N_127rocblas_gemm_batched_kernelIfLi16ELi16ELi64ELi64ELi4ELi64ELi4ELi4ELi64ELc67ELc78EK16rocblas_bfloat16KffEEvlllT_PT11_llS6_llS4_PT12_llPT13_lli.num_vgpr, 58
	.set _ZN12_GLOBAL__N_127rocblas_gemm_batched_kernelIfLi16ELi16ELi64ELi64ELi4ELi64ELi4ELi4ELi64ELc67ELc78EK16rocblas_bfloat16KffEEvlllT_PT11_llS6_llS4_PT12_llPT13_lli.num_agpr, 0
	.set _ZN12_GLOBAL__N_127rocblas_gemm_batched_kernelIfLi16ELi16ELi64ELi64ELi4ELi64ELi4ELi4ELi64ELc67ELc78EK16rocblas_bfloat16KffEEvlllT_PT11_llS6_llS4_PT12_llPT13_lli.numbered_sgpr, 22
	.set _ZN12_GLOBAL__N_127rocblas_gemm_batched_kernelIfLi16ELi16ELi64ELi64ELi4ELi64ELi4ELi4ELi64ELc67ELc78EK16rocblas_bfloat16KffEEvlllT_PT11_llS6_llS4_PT12_llPT13_lli.num_named_barrier, 0
	.set _ZN12_GLOBAL__N_127rocblas_gemm_batched_kernelIfLi16ELi16ELi64ELi64ELi4ELi64ELi4ELi4ELi64ELc67ELc78EK16rocblas_bfloat16KffEEvlllT_PT11_llS6_llS4_PT12_llPT13_lli.private_seg_size, 0
	.set _ZN12_GLOBAL__N_127rocblas_gemm_batched_kernelIfLi16ELi16ELi64ELi64ELi4ELi64ELi4ELi4ELi64ELc67ELc78EK16rocblas_bfloat16KffEEvlllT_PT11_llS6_llS4_PT12_llPT13_lli.uses_vcc, 1
	.set _ZN12_GLOBAL__N_127rocblas_gemm_batched_kernelIfLi16ELi16ELi64ELi64ELi4ELi64ELi4ELi4ELi64ELc67ELc78EK16rocblas_bfloat16KffEEvlllT_PT11_llS6_llS4_PT12_llPT13_lli.uses_flat_scratch, 0
	.set _ZN12_GLOBAL__N_127rocblas_gemm_batched_kernelIfLi16ELi16ELi64ELi64ELi4ELi64ELi4ELi4ELi64ELc67ELc78EK16rocblas_bfloat16KffEEvlllT_PT11_llS6_llS4_PT12_llPT13_lli.has_dyn_sized_stack, 0
	.set _ZN12_GLOBAL__N_127rocblas_gemm_batched_kernelIfLi16ELi16ELi64ELi64ELi4ELi64ELi4ELi4ELi64ELc67ELc78EK16rocblas_bfloat16KffEEvlllT_PT11_llS6_llS4_PT12_llPT13_lli.has_recursion, 0
	.set _ZN12_GLOBAL__N_127rocblas_gemm_batched_kernelIfLi16ELi16ELi64ELi64ELi4ELi64ELi4ELi4ELi64ELc67ELc78EK16rocblas_bfloat16KffEEvlllT_PT11_llS6_llS4_PT12_llPT13_lli.has_indirect_call, 0
	.section	.AMDGPU.csdata,"",@progbits
; Kernel info:
; codeLenInByte = 2328
; TotalNumSgprs: 24
; NumVgprs: 58
; ScratchSize: 0
; MemoryBound: 0
; FloatMode: 240
; IeeeMode: 1
; LDSByteSize: 2048 bytes/workgroup (compile time only)
; SGPRBlocks: 0
; VGPRBlocks: 7
; NumSGPRsForWavesPerEU: 24
; NumVGPRsForWavesPerEU: 58
; Occupancy: 16
; WaveLimiterHint : 0
; COMPUTE_PGM_RSRC2:SCRATCH_EN: 0
; COMPUTE_PGM_RSRC2:USER_SGPR: 6
; COMPUTE_PGM_RSRC2:TRAP_HANDLER: 0
; COMPUTE_PGM_RSRC2:TGID_X_EN: 1
; COMPUTE_PGM_RSRC2:TGID_Y_EN: 1
; COMPUTE_PGM_RSRC2:TGID_Z_EN: 1
; COMPUTE_PGM_RSRC2:TIDIG_COMP_CNT: 1
	.section	.text._ZN12_GLOBAL__N_127rocblas_gemm_batched_kernelIfLi16ELi16ELi64ELi64ELi4ELi64ELi4ELi4ELi64ELc67ELc84EK16rocblas_bfloat16KffEEvlllT_PT11_llS6_llS4_PT12_llPT13_lli,"axG",@progbits,_ZN12_GLOBAL__N_127rocblas_gemm_batched_kernelIfLi16ELi16ELi64ELi64ELi4ELi64ELi4ELi4ELi64ELc67ELc84EK16rocblas_bfloat16KffEEvlllT_PT11_llS6_llS4_PT12_llPT13_lli,comdat
	.globl	_ZN12_GLOBAL__N_127rocblas_gemm_batched_kernelIfLi16ELi16ELi64ELi64ELi4ELi64ELi4ELi4ELi64ELc67ELc84EK16rocblas_bfloat16KffEEvlllT_PT11_llS6_llS4_PT12_llPT13_lli ; -- Begin function _ZN12_GLOBAL__N_127rocblas_gemm_batched_kernelIfLi16ELi16ELi64ELi64ELi4ELi64ELi4ELi4ELi64ELc67ELc84EK16rocblas_bfloat16KffEEvlllT_PT11_llS6_llS4_PT12_llPT13_lli
	.p2align	8
	.type	_ZN12_GLOBAL__N_127rocblas_gemm_batched_kernelIfLi16ELi16ELi64ELi64ELi4ELi64ELi4ELi4ELi64ELc67ELc84EK16rocblas_bfloat16KffEEvlllT_PT11_llS6_llS4_PT12_llPT13_lli,@function
_ZN12_GLOBAL__N_127rocblas_gemm_batched_kernelIfLi16ELi16ELi64ELi64ELi4ELi64ELi4ELi4ELi64ELc67ELc84EK16rocblas_bfloat16KffEEvlllT_PT11_llS6_llS4_PT12_llPT13_lli: ; @_ZN12_GLOBAL__N_127rocblas_gemm_batched_kernelIfLi16ELi16ELi64ELi64ELi4ELi64ELi4ELi4ELi64ELc67ELc84EK16rocblas_bfloat16KffEEvlllT_PT11_llS6_llS4_PT12_llPT13_lli
; %bb.0:
	s_load_dwordx2 s[20:21], s[4:5], 0x10
	s_mov_b32 s0, s7
	v_mov_b32_e32 v19, 0
	v_mov_b32_e32 v21, 0
	;; [unrolled: 1-line block ×16, first 2 shown]
	s_ashr_i32 s7, s6, 31
	s_ashr_i32 s1, s0, 31
	s_waitcnt lgkmcnt(0)
	v_cmp_lt_i64_e64 s2, s[20:21], 1
	s_lshl_b64 s[6:7], s[6:7], 6
	s_lshl_b64 s[10:11], s[0:1], 6
	s_and_b32 vcc_lo, exec_lo, s2
	s_cbranch_vccnz .LBB451_3
; %bb.1:
	v_lshlrev_b32_e32 v4, 4, v1
	s_clause 0x1
	s_load_dwordx4 s[0:3], s[4:5], 0x40
	s_load_dwordx8 s[12:19], s[4:5], 0x20
	v_and_b32_e32 v8, 3, v0
	v_mov_b32_e32 v3, 0
	v_add_nc_u32_e32 v5, v4, v0
	v_add_nc_u32_e32 v23, 0x400, v4
	v_lshlrev_b32_e32 v22, 2, v0
	v_lshlrev_b32_e32 v6, 2, v8
	v_mov_b32_e32 v13, v3
	v_and_b32_e32 v7, 63, v5
	v_lshrrev_b32_e32 v2, 2, v5
	v_lshrrev_b32_e32 v10, 6, v5
	v_mov_b32_e32 v14, v3
	v_mov_b32_e32 v15, v3
	v_lshlrev_b32_e32 v4, 2, v7
	v_lshl_or_b32 v9, v2, 4, v6
	v_add_co_u32 v6, s9, s6, v7
	v_add_co_ci_u32_e64 v7, null, s7, 0, s9
	v_lshl_or_b32 v24, v10, 8, v4
	s_waitcnt lgkmcnt(0)
	v_mad_u64_u32 v[4:5], null, s0, v8, v[2:3]
	v_mul_lo_u32 v11, s15, v6
	v_mul_lo_u32 v12, s14, v7
	v_mad_u64_u32 v[6:7], null, s14, v6, 0
	s_mul_i32 s3, s3, s8
	s_mul_hi_u32 s9, s2, s8
	v_mov_b32_e32 v2, v5
	s_mul_i32 s2, s2, s8
	s_add_i32 s3, s9, s3
	v_add_nc_u32_e32 v25, 0x400, v9
	v_add3_u32 v7, v7, v12, v11
	v_mad_u64_u32 v[8:9], null, s1, v8, v[2:3]
	s_lshl_b64 s[2:3], s[2:3], 1
	v_lshlrev_b32_e32 v2, 1, v10
	s_add_u32 s9, s18, s2
	s_addc_u32 s14, s19, s3
	s_mul_i32 s2, s17, s8
	s_mul_hi_u32 s3, s16, s8
	v_lshlrev_b64 v[5:6], 1, v[6:7]
	v_add_co_u32 v7, vcc_lo, v4, s10
	s_add_i32 s3, s3, s2
	s_mul_i32 s2, s16, s8
	v_add_co_ci_u32_e64 v8, null, s11, v8, vcc_lo
	s_lshl_b64 s[2:3], s[2:3], 1
	v_mov_b32_e32 v10, v3
	v_add_co_u32 v9, vcc_lo, v5, s2
	v_add_co_ci_u32_e64 v6, null, s3, v6, vcc_lo
	v_lshlrev_b64 v[4:5], 1, v[7:8]
	v_add_co_u32 v2, vcc_lo, v9, v2
	v_add_co_ci_u32_e64 v7, null, 0, v6, vcc_lo
	v_mov_b32_e32 v8, v3
	v_add_co_u32 v4, vcc_lo, s9, v4
	v_add_co_ci_u32_e64 v5, null, s14, v5, vcc_lo
	v_add_co_u32 v6, vcc_lo, s12, v2
	v_add_co_ci_u32_e64 v7, null, s13, v7, vcc_lo
	v_mov_b32_e32 v2, v3
	v_mov_b32_e32 v9, v3
	;; [unrolled: 1-line block ×10, first 2 shown]
	s_lshl_b64 s[0:1], s[0:1], 3
	s_mov_b64 s[2:3], 0
.LBB451_2:                              ; =>This Inner Loop Header: Depth=1
	global_load_ushort v26, v[6:7], off
	global_load_ushort v27, v[4:5], off
	s_add_u32 s2, s2, 4
	s_addc_u32 s3, s3, 0
	v_add_co_u32 v4, vcc_lo, v4, s0
	v_cmp_lt_i64_e64 s9, s[2:3], s[20:21]
	v_add_co_ci_u32_e64 v5, null, s1, v5, vcc_lo
	v_add_co_u32 v6, vcc_lo, v6, 8
	v_add_co_ci_u32_e64 v7, null, 0, v7, vcc_lo
	s_and_b32 vcc_lo, exec_lo, s9
	s_waitcnt vmcnt(1)
	v_lshlrev_b32_e32 v26, 16, v26
	s_waitcnt vmcnt(0)
	v_lshlrev_b32_e32 v27, 16, v27
	ds_write_b32 v24, v26
	ds_write_b32 v25, v27
	s_waitcnt lgkmcnt(0)
	s_barrier
	buffer_gl0_inv
	ds_read_b128 v[26:29], v23
	ds_read2_b32 v[42:43], v22 offset1:16
	ds_read2_b32 v[44:45], v22 offset0:32 offset1:48
	ds_read_b128 v[30:33], v23 offset:256
	ds_read_b128 v[34:37], v23 offset:512
	;; [unrolled: 1-line block ×3, first 2 shown]
	ds_read2_b32 v[46:47], v22 offset0:64 offset1:80
	ds_read2_b32 v[48:49], v22 offset0:96 offset1:112
	ds_read2_b32 v[50:51], v22 offset0:128 offset1:144
	ds_read2_b32 v[52:53], v22 offset0:160 offset1:176
	ds_read2_b32 v[54:55], v22 offset0:192 offset1:208
	ds_read2_b32 v[56:57], v22 offset0:224 offset1:240
	s_waitcnt lgkmcnt(0)
	s_barrier
	buffer_gl0_inv
	v_fmac_f32_e32 v19, v42, v26
	v_fmac_f32_e32 v21, v43, v26
	v_fmac_f32_e32 v20, v44, v26
	v_fmac_f32_e32 v18, v45, v26
	v_fmac_f32_e32 v17, v42, v30
	v_fmac_f32_e32 v16, v43, v30
	v_fmac_f32_e32 v15, v44, v30
	v_fmac_f32_e32 v14, v45, v30
	v_fmac_f32_e32 v13, v42, v34
	v_fmac_f32_e32 v12, v43, v34
	v_fmac_f32_e32 v11, v44, v34
	v_fmac_f32_e32 v10, v45, v34
	v_fmac_f32_e32 v9, v42, v38
	v_fmac_f32_e32 v8, v43, v38
	v_fmac_f32_e32 v2, v44, v38
	v_fmac_f32_e32 v3, v45, v38
	v_fmac_f32_e32 v19, v46, v27
	v_fmac_f32_e32 v21, v47, v27
	v_fmac_f32_e32 v20, v48, v27
	v_fmac_f32_e32 v18, v49, v27
	v_fmac_f32_e32 v17, v46, v31
	v_fmac_f32_e32 v16, v47, v31
	v_fmac_f32_e32 v15, v48, v31
	v_fmac_f32_e32 v14, v49, v31
	v_fmac_f32_e32 v13, v46, v35
	v_fmac_f32_e32 v12, v47, v35
	v_fmac_f32_e32 v11, v48, v35
	v_fmac_f32_e32 v10, v49, v35
	v_fmac_f32_e32 v9, v46, v39
	v_fmac_f32_e32 v8, v47, v39
	v_fmac_f32_e32 v2, v48, v39
	v_fmac_f32_e32 v3, v49, v39
	v_fmac_f32_e32 v19, v50, v28
	v_fmac_f32_e32 v21, v51, v28
	v_fmac_f32_e32 v20, v52, v28
	v_fmac_f32_e32 v18, v53, v28
	v_fmac_f32_e32 v17, v50, v32
	v_fmac_f32_e32 v16, v51, v32
	v_fmac_f32_e32 v15, v52, v32
	v_fmac_f32_e32 v14, v53, v32
	v_fmac_f32_e32 v13, v50, v36
	v_fmac_f32_e32 v12, v51, v36
	v_fmac_f32_e32 v11, v52, v36
	v_fmac_f32_e32 v10, v53, v36
	v_fmac_f32_e32 v9, v50, v40
	v_fmac_f32_e32 v8, v51, v40
	v_fmac_f32_e32 v2, v52, v40
	v_fmac_f32_e32 v3, v53, v40
	v_fmac_f32_e32 v19, v54, v29
	v_fmac_f32_e32 v21, v55, v29
	v_fmac_f32_e32 v20, v56, v29
	v_fmac_f32_e32 v18, v57, v29
	v_fmac_f32_e32 v17, v54, v33
	v_fmac_f32_e32 v16, v55, v33
	v_fmac_f32_e32 v15, v56, v33
	v_fmac_f32_e32 v14, v57, v33
	v_fmac_f32_e32 v13, v54, v37
	v_fmac_f32_e32 v12, v55, v37
	v_fmac_f32_e32 v11, v56, v37
	v_fmac_f32_e32 v10, v57, v37
	v_fmac_f32_e32 v9, v54, v41
	v_fmac_f32_e32 v8, v55, v41
	v_fmac_f32_e32 v2, v56, v41
	v_fmac_f32_e32 v3, v57, v41
	s_cbranch_vccnz .LBB451_2
.LBB451_3:
	s_clause 0x3
	s_load_dwordx4 s[0:3], s[4:5], 0x78
	s_load_dword s9, s[4:5], 0x50
	s_load_dwordx8 s[12:19], s[4:5], 0x58
	s_load_dword s4, s[4:5], 0x18
	v_add_co_u32 v5, s5, s6, v0
	v_add_co_ci_u32_e64 v6, null, s7, 0, s5
	v_add_co_u32 v4, s5, s10, v1
	v_add_co_ci_u32_e64 v7, null, s11, 0, s5
	v_lshlrev_b64 v[0:1], 2, v[5:6]
	s_waitcnt lgkmcnt(0)
	s_mul_i32 s3, s3, s8
	s_mul_hi_u32 s5, s2, s8
	v_mul_lo_u32 v5, v7, s0
	v_mul_lo_u32 v6, v4, s1
	s_mul_i32 s2, s2, s8
	v_cmp_neq_f32_e64 s6, s9, 0
	s_add_i32 s3, s5, s3
	s_mov_b32 s5, 0
	s_lshl_b64 s[2:3], s[2:3], 2
	s_add_u32 s2, s18, s2
	s_addc_u32 s3, s19, s3
	s_and_b32 vcc_lo, exec_lo, s6
	s_cbranch_vccnz .LBB451_7
; %bb.4:
	v_mad_u64_u32 v[22:23], null, v4, s0, 0
	s_lshl_b64 s[6:7], s[0:1], 6
	v_mul_f32_e32 v26, s4, v19
	v_mul_f32_e32 v27, s4, v21
	;; [unrolled: 1-line block ×5, first 2 shown]
	v_add3_u32 v23, v23, v6, v5
	v_mul_f32_e32 v31, s4, v16
	v_mul_f32_e32 v32, s4, v15
	;; [unrolled: 1-line block ×3, first 2 shown]
	v_lshlrev_b64 v[22:23], 2, v[22:23]
	v_add_co_u32 v22, vcc_lo, s2, v22
	v_add_co_ci_u32_e64 v23, null, s3, v23, vcc_lo
	v_add_co_u32 v34, vcc_lo, v22, s6
	v_add_co_ci_u32_e64 v35, null, s7, v23, vcc_lo
	;; [unrolled: 2-line block ×4, first 2 shown]
	global_store_dword v[22:23], v26, off
	global_store_dword v[22:23], v27, off offset:64
	global_store_dword v[22:23], v28, off offset:128
	;; [unrolled: 1-line block ×3, first 2 shown]
	global_store_dword v[24:25], v30, off
	global_store_dword v[24:25], v31, off offset:64
	v_add_co_u32 v26, vcc_lo, v34, s6
	v_add_co_ci_u32_e64 v27, null, s7, v35, vcc_lo
	v_mul_f32_e32 v28, s4, v13
	v_add_co_u32 v22, vcc_lo, v26, v0
	v_add_co_ci_u32_e64 v23, null, v27, v1, vcc_lo
	v_mul_f32_e32 v29, s4, v12
	v_mul_f32_e32 v30, s4, v11
	global_store_dword v[24:25], v32, off offset:128
	global_store_dword v[24:25], v33, off offset:192
	global_store_dword v[22:23], v28, off
	global_store_dword v[22:23], v29, off offset:64
	global_store_dword v[22:23], v30, off offset:128
	v_add_co_u32 v24, vcc_lo, v26, s6
	v_add_co_ci_u32_e64 v25, null, s7, v27, vcc_lo
	v_mul_f32_e32 v28, s4, v10
	v_add_co_u32 v24, vcc_lo, v24, v0
	v_mul_f32_e32 v26, s4, v9
	v_add_co_ci_u32_e64 v25, null, v25, v1, vcc_lo
	v_mul_f32_e32 v27, s4, v8
	v_mul_f32_e32 v29, s4, v2
	;; [unrolled: 1-line block ×3, first 2 shown]
	global_store_dword v[22:23], v28, off offset:192
	global_store_dword v[24:25], v26, off
	global_store_dword v[24:25], v27, off offset:64
	global_store_dword v[24:25], v29, off offset:128
	;; [unrolled: 1-line block ×3, first 2 shown]
	s_andn2_b32 vcc_lo, exec_lo, s5
	s_cbranch_vccnz .LBB451_6
.LBB451_5:
	v_mul_lo_u32 v7, v7, s14
	v_mul_lo_u32 v24, v4, s15
	v_mad_u64_u32 v[22:23], null, v4, s14, 0
	s_mul_i32 s5, s17, s8
	s_mul_hi_u32 s7, s16, s8
	s_mul_i32 s6, s16, s8
	s_add_i32 s7, s7, s5
	s_lshl_b64 s[6:7], s[6:7], 2
	v_add3_u32 v23, v23, v24, v7
	s_add_u32 s5, s12, s6
	s_addc_u32 s6, s13, s7
	v_mad_u64_u32 v[24:25], null, v4, s0, 0
	v_lshlrev_b64 v[22:23], 2, v[22:23]
	s_lshl_b64 s[0:1], s[0:1], 6
	v_add3_u32 v25, v25, v6, v5
	v_add_co_u32 v7, vcc_lo, s5, v22
	v_add_co_ci_u32_e64 v26, null, s6, v23, vcc_lo
	v_lshlrev_b64 v[4:5], 2, v[24:25]
	v_add_co_u32 v22, vcc_lo, v7, v0
	v_add_co_ci_u32_e64 v23, null, v26, v1, vcc_lo
	v_add_co_u32 v24, vcc_lo, s2, v4
	global_load_dword v27, v[22:23], off
	v_add_co_ci_u32_e64 v25, null, s3, v5, vcc_lo
	v_add_co_u32 v4, vcc_lo, v24, v0
	s_lshl_b64 s[2:3], s[14:15], 6
	v_add_co_ci_u32_e64 v5, null, v25, v1, vcc_lo
	s_waitcnt vmcnt(0)
	v_mul_f32_e32 v6, s9, v27
	v_fmac_f32_e32 v6, s4, v19
	global_store_dword v[4:5], v6, off
	global_load_dword v6, v[22:23], off offset:64
	s_waitcnt vmcnt(0)
	v_mul_f32_e32 v6, s9, v6
	v_fmac_f32_e32 v6, s4, v21
	global_store_dword v[4:5], v6, off offset:64
	global_load_dword v6, v[22:23], off offset:128
	s_waitcnt vmcnt(0)
	v_mul_f32_e32 v6, s9, v6
	v_fmac_f32_e32 v6, s4, v20
	v_add_co_u32 v20, vcc_lo, v7, s2
	v_add_co_ci_u32_e64 v21, null, s3, v26, vcc_lo
	global_store_dword v[4:5], v6, off offset:128
	global_load_dword v6, v[22:23], off offset:192
	s_waitcnt vmcnt(0)
	v_mul_f32_e32 v19, s9, v6
	v_add_co_u32 v6, vcc_lo, v20, v0
	v_add_co_ci_u32_e64 v7, null, v21, v1, vcc_lo
	v_fmac_f32_e32 v19, s4, v18
	v_add_co_u32 v18, vcc_lo, v24, s0
	global_store_dword v[4:5], v19, off offset:192
	global_load_dword v4, v[6:7], off
	v_add_co_ci_u32_e64 v19, null, s1, v25, vcc_lo
	s_waitcnt vmcnt(0)
	v_mul_f32_e32 v22, s9, v4
	v_add_co_u32 v4, vcc_lo, v18, v0
	v_add_co_ci_u32_e64 v5, null, v19, v1, vcc_lo
	v_fmac_f32_e32 v22, s4, v17
	global_store_dword v[4:5], v22, off
	global_load_dword v17, v[6:7], off offset:64
	s_waitcnt vmcnt(0)
	v_mul_f32_e32 v17, s9, v17
	v_fmac_f32_e32 v17, s4, v16
	global_store_dword v[4:5], v17, off offset:64
	global_load_dword v16, v[6:7], off offset:128
	s_waitcnt vmcnt(0)
	v_mul_f32_e32 v16, s9, v16
	v_fmac_f32_e32 v16, s4, v15
	global_store_dword v[4:5], v16, off offset:128
	global_load_dword v6, v[6:7], off offset:192
	v_add_co_u32 v16, vcc_lo, v20, s2
	v_add_co_ci_u32_e64 v17, null, s3, v21, vcc_lo
	s_waitcnt vmcnt(0)
	v_mul_f32_e32 v15, s9, v6
	v_add_co_u32 v6, vcc_lo, v16, v0
	v_add_co_ci_u32_e64 v7, null, v17, v1, vcc_lo
	v_fmac_f32_e32 v15, s4, v14
	v_add_co_u32 v14, vcc_lo, v18, s0
	global_store_dword v[4:5], v15, off offset:192
	global_load_dword v4, v[6:7], off
	v_add_co_ci_u32_e64 v15, null, s1, v19, vcc_lo
	s_waitcnt vmcnt(0)
	v_mul_f32_e32 v18, s9, v4
	v_add_co_u32 v4, vcc_lo, v14, v0
	v_add_co_ci_u32_e64 v5, null, v15, v1, vcc_lo
	v_fmac_f32_e32 v18, s4, v13
	global_store_dword v[4:5], v18, off
	global_load_dword v13, v[6:7], off offset:64
	s_waitcnt vmcnt(0)
	v_mul_f32_e32 v13, s9, v13
	v_fmac_f32_e32 v13, s4, v12
	global_store_dword v[4:5], v13, off offset:64
	global_load_dword v12, v[6:7], off offset:128
	s_waitcnt vmcnt(0)
	v_mul_f32_e32 v12, s9, v12
	v_fmac_f32_e32 v12, s4, v11
	global_store_dword v[4:5], v12, off offset:128
	global_load_dword v6, v[6:7], off offset:192
	s_waitcnt vmcnt(0)
	v_mul_f32_e32 v11, s9, v6
	v_add_co_u32 v6, vcc_lo, v16, s2
	v_add_co_ci_u32_e64 v7, null, s3, v17, vcc_lo
	v_fmac_f32_e32 v11, s4, v10
	v_add_co_u32 v6, vcc_lo, v6, v0
	v_add_co_ci_u32_e64 v7, null, v7, v1, vcc_lo
	global_store_dword v[4:5], v11, off offset:192
	v_add_co_u32 v5, vcc_lo, v14, s0
	global_load_dword v4, v[6:7], off
	v_add_co_ci_u32_e64 v10, null, s1, v15, vcc_lo
	v_add_co_u32 v0, vcc_lo, v5, v0
	v_add_co_ci_u32_e64 v1, null, v10, v1, vcc_lo
	s_waitcnt vmcnt(0)
	v_mul_f32_e32 v4, s9, v4
	v_fmac_f32_e32 v4, s4, v9
	global_store_dword v[0:1], v4, off
	global_load_dword v4, v[6:7], off offset:64
	s_waitcnt vmcnt(0)
	v_mul_f32_e32 v4, s9, v4
	v_fmac_f32_e32 v4, s4, v8
	global_store_dword v[0:1], v4, off offset:64
	global_load_dword v4, v[6:7], off offset:128
	s_waitcnt vmcnt(0)
	v_mul_f32_e32 v4, s9, v4
	v_fmac_f32_e32 v4, s4, v2
	global_store_dword v[0:1], v4, off offset:128
	;; [unrolled: 5-line block ×3, first 2 shown]
.LBB451_6:
	s_endpgm
.LBB451_7:
	s_branch .LBB451_5
	.section	.rodata,"a",@progbits
	.p2align	6, 0x0
	.amdhsa_kernel _ZN12_GLOBAL__N_127rocblas_gemm_batched_kernelIfLi16ELi16ELi64ELi64ELi4ELi64ELi4ELi4ELi64ELc67ELc84EK16rocblas_bfloat16KffEEvlllT_PT11_llS6_llS4_PT12_llPT13_lli
		.amdhsa_group_segment_fixed_size 2048
		.amdhsa_private_segment_fixed_size 0
		.amdhsa_kernarg_size 140
		.amdhsa_user_sgpr_count 6
		.amdhsa_user_sgpr_private_segment_buffer 1
		.amdhsa_user_sgpr_dispatch_ptr 0
		.amdhsa_user_sgpr_queue_ptr 0
		.amdhsa_user_sgpr_kernarg_segment_ptr 1
		.amdhsa_user_sgpr_dispatch_id 0
		.amdhsa_user_sgpr_flat_scratch_init 0
		.amdhsa_user_sgpr_private_segment_size 0
		.amdhsa_wavefront_size32 1
		.amdhsa_uses_dynamic_stack 0
		.amdhsa_system_sgpr_private_segment_wavefront_offset 0
		.amdhsa_system_sgpr_workgroup_id_x 1
		.amdhsa_system_sgpr_workgroup_id_y 1
		.amdhsa_system_sgpr_workgroup_id_z 1
		.amdhsa_system_sgpr_workgroup_info 0
		.amdhsa_system_vgpr_workitem_id 1
		.amdhsa_next_free_vgpr 58
		.amdhsa_next_free_sgpr 22
		.amdhsa_reserve_vcc 1
		.amdhsa_reserve_flat_scratch 0
		.amdhsa_float_round_mode_32 0
		.amdhsa_float_round_mode_16_64 0
		.amdhsa_float_denorm_mode_32 3
		.amdhsa_float_denorm_mode_16_64 3
		.amdhsa_dx10_clamp 1
		.amdhsa_ieee_mode 1
		.amdhsa_fp16_overflow 0
		.amdhsa_workgroup_processor_mode 1
		.amdhsa_memory_ordered 1
		.amdhsa_forward_progress 1
		.amdhsa_shared_vgpr_count 0
		.amdhsa_exception_fp_ieee_invalid_op 0
		.amdhsa_exception_fp_denorm_src 0
		.amdhsa_exception_fp_ieee_div_zero 0
		.amdhsa_exception_fp_ieee_overflow 0
		.amdhsa_exception_fp_ieee_underflow 0
		.amdhsa_exception_fp_ieee_inexact 0
		.amdhsa_exception_int_div_zero 0
	.end_amdhsa_kernel
	.section	.text._ZN12_GLOBAL__N_127rocblas_gemm_batched_kernelIfLi16ELi16ELi64ELi64ELi4ELi64ELi4ELi4ELi64ELc67ELc84EK16rocblas_bfloat16KffEEvlllT_PT11_llS6_llS4_PT12_llPT13_lli,"axG",@progbits,_ZN12_GLOBAL__N_127rocblas_gemm_batched_kernelIfLi16ELi16ELi64ELi64ELi4ELi64ELi4ELi4ELi64ELc67ELc84EK16rocblas_bfloat16KffEEvlllT_PT11_llS6_llS4_PT12_llPT13_lli,comdat
.Lfunc_end451:
	.size	_ZN12_GLOBAL__N_127rocblas_gemm_batched_kernelIfLi16ELi16ELi64ELi64ELi4ELi64ELi4ELi4ELi64ELc67ELc84EK16rocblas_bfloat16KffEEvlllT_PT11_llS6_llS4_PT12_llPT13_lli, .Lfunc_end451-_ZN12_GLOBAL__N_127rocblas_gemm_batched_kernelIfLi16ELi16ELi64ELi64ELi4ELi64ELi4ELi4ELi64ELc67ELc84EK16rocblas_bfloat16KffEEvlllT_PT11_llS6_llS4_PT12_llPT13_lli
                                        ; -- End function
	.set _ZN12_GLOBAL__N_127rocblas_gemm_batched_kernelIfLi16ELi16ELi64ELi64ELi4ELi64ELi4ELi4ELi64ELc67ELc84EK16rocblas_bfloat16KffEEvlllT_PT11_llS6_llS4_PT12_llPT13_lli.num_vgpr, 58
	.set _ZN12_GLOBAL__N_127rocblas_gemm_batched_kernelIfLi16ELi16ELi64ELi64ELi4ELi64ELi4ELi4ELi64ELc67ELc84EK16rocblas_bfloat16KffEEvlllT_PT11_llS6_llS4_PT12_llPT13_lli.num_agpr, 0
	.set _ZN12_GLOBAL__N_127rocblas_gemm_batched_kernelIfLi16ELi16ELi64ELi64ELi4ELi64ELi4ELi4ELi64ELc67ELc84EK16rocblas_bfloat16KffEEvlllT_PT11_llS6_llS4_PT12_llPT13_lli.numbered_sgpr, 22
	.set _ZN12_GLOBAL__N_127rocblas_gemm_batched_kernelIfLi16ELi16ELi64ELi64ELi4ELi64ELi4ELi4ELi64ELc67ELc84EK16rocblas_bfloat16KffEEvlllT_PT11_llS6_llS4_PT12_llPT13_lli.num_named_barrier, 0
	.set _ZN12_GLOBAL__N_127rocblas_gemm_batched_kernelIfLi16ELi16ELi64ELi64ELi4ELi64ELi4ELi4ELi64ELc67ELc84EK16rocblas_bfloat16KffEEvlllT_PT11_llS6_llS4_PT12_llPT13_lli.private_seg_size, 0
	.set _ZN12_GLOBAL__N_127rocblas_gemm_batched_kernelIfLi16ELi16ELi64ELi64ELi4ELi64ELi4ELi4ELi64ELc67ELc84EK16rocblas_bfloat16KffEEvlllT_PT11_llS6_llS4_PT12_llPT13_lli.uses_vcc, 1
	.set _ZN12_GLOBAL__N_127rocblas_gemm_batched_kernelIfLi16ELi16ELi64ELi64ELi4ELi64ELi4ELi4ELi64ELc67ELc84EK16rocblas_bfloat16KffEEvlllT_PT11_llS6_llS4_PT12_llPT13_lli.uses_flat_scratch, 0
	.set _ZN12_GLOBAL__N_127rocblas_gemm_batched_kernelIfLi16ELi16ELi64ELi64ELi4ELi64ELi4ELi4ELi64ELc67ELc84EK16rocblas_bfloat16KffEEvlllT_PT11_llS6_llS4_PT12_llPT13_lli.has_dyn_sized_stack, 0
	.set _ZN12_GLOBAL__N_127rocblas_gemm_batched_kernelIfLi16ELi16ELi64ELi64ELi4ELi64ELi4ELi4ELi64ELc67ELc84EK16rocblas_bfloat16KffEEvlllT_PT11_llS6_llS4_PT12_llPT13_lli.has_recursion, 0
	.set _ZN12_GLOBAL__N_127rocblas_gemm_batched_kernelIfLi16ELi16ELi64ELi64ELi4ELi64ELi4ELi4ELi64ELc67ELc84EK16rocblas_bfloat16KffEEvlllT_PT11_llS6_llS4_PT12_llPT13_lli.has_indirect_call, 0
	.section	.AMDGPU.csdata,"",@progbits
; Kernel info:
; codeLenInByte = 2292
; TotalNumSgprs: 24
; NumVgprs: 58
; ScratchSize: 0
; MemoryBound: 0
; FloatMode: 240
; IeeeMode: 1
; LDSByteSize: 2048 bytes/workgroup (compile time only)
; SGPRBlocks: 0
; VGPRBlocks: 7
; NumSGPRsForWavesPerEU: 24
; NumVGPRsForWavesPerEU: 58
; Occupancy: 16
; WaveLimiterHint : 0
; COMPUTE_PGM_RSRC2:SCRATCH_EN: 0
; COMPUTE_PGM_RSRC2:USER_SGPR: 6
; COMPUTE_PGM_RSRC2:TRAP_HANDLER: 0
; COMPUTE_PGM_RSRC2:TGID_X_EN: 1
; COMPUTE_PGM_RSRC2:TGID_Y_EN: 1
; COMPUTE_PGM_RSRC2:TGID_Z_EN: 1
; COMPUTE_PGM_RSRC2:TIDIG_COMP_CNT: 1
	.section	.text._ZN12_GLOBAL__N_127rocblas_gemm_batched_kernelIfLi16ELi16ELi64ELi64ELi4ELi64ELi4ELi4ELi64ELc78ELc67EK16rocblas_bfloat16KffEEvlllT_PT11_llS6_llS4_PT12_llPT13_lli,"axG",@progbits,_ZN12_GLOBAL__N_127rocblas_gemm_batched_kernelIfLi16ELi16ELi64ELi64ELi4ELi64ELi4ELi4ELi64ELc78ELc67EK16rocblas_bfloat16KffEEvlllT_PT11_llS6_llS4_PT12_llPT13_lli,comdat
	.globl	_ZN12_GLOBAL__N_127rocblas_gemm_batched_kernelIfLi16ELi16ELi64ELi64ELi4ELi64ELi4ELi4ELi64ELc78ELc67EK16rocblas_bfloat16KffEEvlllT_PT11_llS6_llS4_PT12_llPT13_lli ; -- Begin function _ZN12_GLOBAL__N_127rocblas_gemm_batched_kernelIfLi16ELi16ELi64ELi64ELi4ELi64ELi4ELi4ELi64ELc78ELc67EK16rocblas_bfloat16KffEEvlllT_PT11_llS6_llS4_PT12_llPT13_lli
	.p2align	8
	.type	_ZN12_GLOBAL__N_127rocblas_gemm_batched_kernelIfLi16ELi16ELi64ELi64ELi4ELi64ELi4ELi4ELi64ELc78ELc67EK16rocblas_bfloat16KffEEvlllT_PT11_llS6_llS4_PT12_llPT13_lli,@function
_ZN12_GLOBAL__N_127rocblas_gemm_batched_kernelIfLi16ELi16ELi64ELi64ELi4ELi64ELi4ELi4ELi64ELc78ELc67EK16rocblas_bfloat16KffEEvlllT_PT11_llS6_llS4_PT12_llPT13_lli: ; @_ZN12_GLOBAL__N_127rocblas_gemm_batched_kernelIfLi16ELi16ELi64ELi64ELi4ELi64ELi4ELi4ELi64ELc78ELc67EK16rocblas_bfloat16KffEEvlllT_PT11_llS6_llS4_PT12_llPT13_lli
; %bb.0:
	s_load_dwordx2 s[20:21], s[4:5], 0x10
	s_mov_b32 s0, s7
	v_mov_b32_e32 v19, 0
	v_mov_b32_e32 v21, 0
	;; [unrolled: 1-line block ×16, first 2 shown]
	s_ashr_i32 s7, s6, 31
	s_ashr_i32 s1, s0, 31
	s_waitcnt lgkmcnt(0)
	v_cmp_lt_i64_e64 s2, s[20:21], 1
	s_lshl_b64 s[6:7], s[6:7], 6
	s_lshl_b64 s[10:11], s[0:1], 6
	s_and_b32 vcc_lo, exec_lo, s2
	s_cbranch_vccnz .LBB452_3
; %bb.1:
	v_lshlrev_b32_e32 v4, 4, v1
	s_clause 0x1
	s_load_dwordx4 s[0:3], s[4:5], 0x40
	s_load_dwordx8 s[12:19], s[4:5], 0x20
	v_and_b32_e32 v8, 3, v0
	v_lshlrev_b32_e32 v22, 2, v0
	v_add_nc_u32_e32 v3, v4, v0
	v_add_nc_u32_e32 v23, 0x400, v4
	v_lshlrev_b32_e32 v5, 2, v8
	v_lshrrev_b32_e32 v2, 2, v3
	v_and_b32_e32 v10, 63, v3
	v_lshrrev_b32_e32 v9, 6, v3
	v_mov_b32_e32 v3, 0
	v_lshl_or_b32 v5, v2, 4, v5
	v_lshlrev_b32_e32 v6, 2, v10
	v_mov_b32_e32 v11, v3
	v_mov_b32_e32 v12, v3
	v_add_nc_u32_e32 v25, 0x400, v5
	s_waitcnt lgkmcnt(0)
	v_mad_u64_u32 v[4:5], null, s0, v8, v[2:3]
	v_lshl_or_b32 v24, v9, 8, v6
	v_mad_u64_u32 v[6:7], null, s14, v9, s[6:7]
	s_mul_i32 s3, s3, s8
	s_mul_hi_u32 s9, s2, s8
	s_mul_i32 s2, s2, s8
	v_mov_b32_e32 v2, v5
	v_add_co_u32 v4, vcc_lo, v4, s10
	v_mov_b32_e32 v5, v7
	s_add_i32 s3, s9, s3
	v_mad_u64_u32 v[7:8], null, s1, v8, v[2:3]
	s_lshl_b64 s[2:3], s[2:3], 1
	v_mad_u64_u32 v[8:9], null, s15, v9, v[5:6]
	s_mul_i32 s17, s17, s8
	s_mul_hi_u32 s22, s16, s8
	s_add_u32 s9, s18, s2
	v_add_co_ci_u32_e64 v5, null, s11, v7, vcc_lo
	v_add_co_u32 v6, vcc_lo, v6, v10
	v_add_co_ci_u32_e64 v7, null, 0, v8, vcc_lo
	v_lshlrev_b64 v[4:5], 1, v[4:5]
	s_mul_i32 s16, s16, s8
	s_addc_u32 s18, s19, s3
	s_add_i32 s17, s22, s17
	v_lshlrev_b64 v[6:7], 1, v[6:7]
	s_lshl_b64 s[2:3], s[16:17], 1
	s_lshl_b64 s[0:1], s[0:1], 3
	v_add_co_u32 v4, vcc_lo, s9, v4
	s_add_u32 s2, s12, s2
	v_add_co_ci_u32_e64 v5, null, s18, v5, vcc_lo
	s_addc_u32 s3, s13, s3
	v_add_co_u32 v6, vcc_lo, s2, v6
	v_add_co_ci_u32_e64 v7, null, s3, v7, vcc_lo
	v_mov_b32_e32 v2, v3
	v_mov_b32_e32 v8, v3
	;; [unrolled: 1-line block ×13, first 2 shown]
	s_lshl_b64 s[2:3], s[14:15], 3
	s_mov_b64 s[12:13], 0
.LBB452_2:                              ; =>This Inner Loop Header: Depth=1
	global_load_ushort v26, v[6:7], off
	global_load_ushort v27, v[4:5], off
	s_add_u32 s12, s12, 4
	s_addc_u32 s13, s13, 0
	v_add_co_u32 v4, vcc_lo, v4, s0
	v_cmp_lt_i64_e64 s9, s[12:13], s[20:21]
	v_add_co_ci_u32_e64 v5, null, s1, v5, vcc_lo
	v_add_co_u32 v6, vcc_lo, v6, s2
	v_add_co_ci_u32_e64 v7, null, s3, v7, vcc_lo
	s_and_b32 vcc_lo, exec_lo, s9
	s_waitcnt vmcnt(1)
	v_lshlrev_b32_e32 v26, 16, v26
	s_waitcnt vmcnt(0)
	v_lshlrev_b32_e32 v27, 16, v27
	ds_write_b32 v24, v26
	ds_write_b32 v25, v27
	s_waitcnt lgkmcnt(0)
	s_barrier
	buffer_gl0_inv
	ds_read_b128 v[26:29], v23
	ds_read2_b32 v[42:43], v22 offset1:16
	ds_read2_b32 v[44:45], v22 offset0:32 offset1:48
	ds_read_b128 v[30:33], v23 offset:256
	ds_read_b128 v[34:37], v23 offset:512
	;; [unrolled: 1-line block ×3, first 2 shown]
	ds_read2_b32 v[46:47], v22 offset0:64 offset1:80
	ds_read2_b32 v[48:49], v22 offset0:96 offset1:112
	;; [unrolled: 1-line block ×6, first 2 shown]
	s_waitcnt lgkmcnt(0)
	s_barrier
	buffer_gl0_inv
	v_fmac_f32_e32 v19, v42, v26
	v_fmac_f32_e32 v21, v43, v26
	;; [unrolled: 1-line block ×64, first 2 shown]
	s_cbranch_vccnz .LBB452_2
.LBB452_3:
	s_clause 0x3
	s_load_dwordx4 s[0:3], s[4:5], 0x78
	s_load_dword s9, s[4:5], 0x50
	s_load_dwordx8 s[12:19], s[4:5], 0x58
	s_load_dword s4, s[4:5], 0x18
	v_add_co_u32 v5, s5, s6, v0
	v_add_co_ci_u32_e64 v6, null, s7, 0, s5
	v_add_co_u32 v4, s5, s10, v1
	v_add_co_ci_u32_e64 v7, null, s11, 0, s5
	v_lshlrev_b64 v[0:1], 2, v[5:6]
	s_waitcnt lgkmcnt(0)
	s_mul_i32 s3, s3, s8
	s_mul_hi_u32 s5, s2, s8
	v_mul_lo_u32 v5, v7, s0
	v_mul_lo_u32 v6, v4, s1
	s_mul_i32 s2, s2, s8
	v_cmp_neq_f32_e64 s6, s9, 0
	s_add_i32 s3, s5, s3
	s_mov_b32 s5, 0
	s_lshl_b64 s[2:3], s[2:3], 2
	s_add_u32 s2, s18, s2
	s_addc_u32 s3, s19, s3
	s_and_b32 vcc_lo, exec_lo, s6
	s_cbranch_vccnz .LBB452_7
; %bb.4:
	v_mad_u64_u32 v[22:23], null, v4, s0, 0
	s_lshl_b64 s[6:7], s[0:1], 6
	v_mul_f32_e32 v26, s4, v19
	v_mul_f32_e32 v27, s4, v21
	;; [unrolled: 1-line block ×5, first 2 shown]
	v_add3_u32 v23, v23, v6, v5
	v_mul_f32_e32 v31, s4, v16
	v_mul_f32_e32 v32, s4, v15
	v_mul_f32_e32 v33, s4, v14
	v_lshlrev_b64 v[22:23], 2, v[22:23]
	v_add_co_u32 v22, vcc_lo, s2, v22
	v_add_co_ci_u32_e64 v23, null, s3, v23, vcc_lo
	v_add_co_u32 v34, vcc_lo, v22, s6
	v_add_co_ci_u32_e64 v35, null, s7, v23, vcc_lo
	v_add_co_u32 v22, vcc_lo, v22, v0
	v_add_co_ci_u32_e64 v23, null, v23, v1, vcc_lo
	v_add_co_u32 v24, vcc_lo, v34, v0
	v_add_co_ci_u32_e64 v25, null, v35, v1, vcc_lo
	global_store_dword v[22:23], v26, off
	global_store_dword v[22:23], v27, off offset:64
	global_store_dword v[22:23], v28, off offset:128
	;; [unrolled: 1-line block ×3, first 2 shown]
	global_store_dword v[24:25], v30, off
	global_store_dword v[24:25], v31, off offset:64
	v_add_co_u32 v26, vcc_lo, v34, s6
	v_add_co_ci_u32_e64 v27, null, s7, v35, vcc_lo
	v_mul_f32_e32 v28, s4, v13
	v_add_co_u32 v22, vcc_lo, v26, v0
	v_add_co_ci_u32_e64 v23, null, v27, v1, vcc_lo
	v_mul_f32_e32 v29, s4, v12
	v_mul_f32_e32 v30, s4, v11
	global_store_dword v[24:25], v32, off offset:128
	global_store_dword v[24:25], v33, off offset:192
	global_store_dword v[22:23], v28, off
	global_store_dword v[22:23], v29, off offset:64
	global_store_dword v[22:23], v30, off offset:128
	v_add_co_u32 v24, vcc_lo, v26, s6
	v_add_co_ci_u32_e64 v25, null, s7, v27, vcc_lo
	v_mul_f32_e32 v28, s4, v10
	v_add_co_u32 v24, vcc_lo, v24, v0
	v_mul_f32_e32 v26, s4, v9
	v_add_co_ci_u32_e64 v25, null, v25, v1, vcc_lo
	v_mul_f32_e32 v27, s4, v8
	v_mul_f32_e32 v29, s4, v2
	;; [unrolled: 1-line block ×3, first 2 shown]
	global_store_dword v[22:23], v28, off offset:192
	global_store_dword v[24:25], v26, off
	global_store_dword v[24:25], v27, off offset:64
	global_store_dword v[24:25], v29, off offset:128
	;; [unrolled: 1-line block ×3, first 2 shown]
	s_andn2_b32 vcc_lo, exec_lo, s5
	s_cbranch_vccnz .LBB452_6
.LBB452_5:
	v_mul_lo_u32 v7, v7, s14
	v_mul_lo_u32 v24, v4, s15
	v_mad_u64_u32 v[22:23], null, v4, s14, 0
	s_mul_i32 s5, s17, s8
	s_mul_hi_u32 s7, s16, s8
	s_mul_i32 s6, s16, s8
	s_add_i32 s7, s7, s5
	s_lshl_b64 s[6:7], s[6:7], 2
	v_add3_u32 v23, v23, v24, v7
	s_add_u32 s5, s12, s6
	s_addc_u32 s6, s13, s7
	v_mad_u64_u32 v[24:25], null, v4, s0, 0
	v_lshlrev_b64 v[22:23], 2, v[22:23]
	s_lshl_b64 s[0:1], s[0:1], 6
	v_add3_u32 v25, v25, v6, v5
	v_add_co_u32 v7, vcc_lo, s5, v22
	v_add_co_ci_u32_e64 v26, null, s6, v23, vcc_lo
	v_lshlrev_b64 v[4:5], 2, v[24:25]
	v_add_co_u32 v22, vcc_lo, v7, v0
	v_add_co_ci_u32_e64 v23, null, v26, v1, vcc_lo
	v_add_co_u32 v24, vcc_lo, s2, v4
	global_load_dword v27, v[22:23], off
	v_add_co_ci_u32_e64 v25, null, s3, v5, vcc_lo
	v_add_co_u32 v4, vcc_lo, v24, v0
	s_lshl_b64 s[2:3], s[14:15], 6
	v_add_co_ci_u32_e64 v5, null, v25, v1, vcc_lo
	s_waitcnt vmcnt(0)
	v_mul_f32_e32 v6, s9, v27
	v_fmac_f32_e32 v6, s4, v19
	global_store_dword v[4:5], v6, off
	global_load_dword v6, v[22:23], off offset:64
	s_waitcnt vmcnt(0)
	v_mul_f32_e32 v6, s9, v6
	v_fmac_f32_e32 v6, s4, v21
	global_store_dword v[4:5], v6, off offset:64
	global_load_dword v6, v[22:23], off offset:128
	s_waitcnt vmcnt(0)
	v_mul_f32_e32 v6, s9, v6
	v_fmac_f32_e32 v6, s4, v20
	v_add_co_u32 v20, vcc_lo, v7, s2
	v_add_co_ci_u32_e64 v21, null, s3, v26, vcc_lo
	global_store_dword v[4:5], v6, off offset:128
	global_load_dword v6, v[22:23], off offset:192
	s_waitcnt vmcnt(0)
	v_mul_f32_e32 v19, s9, v6
	v_add_co_u32 v6, vcc_lo, v20, v0
	v_add_co_ci_u32_e64 v7, null, v21, v1, vcc_lo
	v_fmac_f32_e32 v19, s4, v18
	v_add_co_u32 v18, vcc_lo, v24, s0
	global_store_dword v[4:5], v19, off offset:192
	global_load_dword v4, v[6:7], off
	v_add_co_ci_u32_e64 v19, null, s1, v25, vcc_lo
	s_waitcnt vmcnt(0)
	v_mul_f32_e32 v22, s9, v4
	v_add_co_u32 v4, vcc_lo, v18, v0
	v_add_co_ci_u32_e64 v5, null, v19, v1, vcc_lo
	v_fmac_f32_e32 v22, s4, v17
	global_store_dword v[4:5], v22, off
	global_load_dword v17, v[6:7], off offset:64
	s_waitcnt vmcnt(0)
	v_mul_f32_e32 v17, s9, v17
	v_fmac_f32_e32 v17, s4, v16
	global_store_dword v[4:5], v17, off offset:64
	global_load_dword v16, v[6:7], off offset:128
	s_waitcnt vmcnt(0)
	v_mul_f32_e32 v16, s9, v16
	v_fmac_f32_e32 v16, s4, v15
	global_store_dword v[4:5], v16, off offset:128
	global_load_dword v6, v[6:7], off offset:192
	v_add_co_u32 v16, vcc_lo, v20, s2
	v_add_co_ci_u32_e64 v17, null, s3, v21, vcc_lo
	s_waitcnt vmcnt(0)
	v_mul_f32_e32 v15, s9, v6
	v_add_co_u32 v6, vcc_lo, v16, v0
	v_add_co_ci_u32_e64 v7, null, v17, v1, vcc_lo
	v_fmac_f32_e32 v15, s4, v14
	v_add_co_u32 v14, vcc_lo, v18, s0
	global_store_dword v[4:5], v15, off offset:192
	global_load_dword v4, v[6:7], off
	v_add_co_ci_u32_e64 v15, null, s1, v19, vcc_lo
	s_waitcnt vmcnt(0)
	v_mul_f32_e32 v18, s9, v4
	v_add_co_u32 v4, vcc_lo, v14, v0
	v_add_co_ci_u32_e64 v5, null, v15, v1, vcc_lo
	v_fmac_f32_e32 v18, s4, v13
	global_store_dword v[4:5], v18, off
	global_load_dword v13, v[6:7], off offset:64
	s_waitcnt vmcnt(0)
	v_mul_f32_e32 v13, s9, v13
	v_fmac_f32_e32 v13, s4, v12
	global_store_dword v[4:5], v13, off offset:64
	global_load_dword v12, v[6:7], off offset:128
	s_waitcnt vmcnt(0)
	v_mul_f32_e32 v12, s9, v12
	v_fmac_f32_e32 v12, s4, v11
	global_store_dword v[4:5], v12, off offset:128
	global_load_dword v6, v[6:7], off offset:192
	s_waitcnt vmcnt(0)
	v_mul_f32_e32 v11, s9, v6
	v_add_co_u32 v6, vcc_lo, v16, s2
	v_add_co_ci_u32_e64 v7, null, s3, v17, vcc_lo
	v_fmac_f32_e32 v11, s4, v10
	v_add_co_u32 v6, vcc_lo, v6, v0
	v_add_co_ci_u32_e64 v7, null, v7, v1, vcc_lo
	global_store_dword v[4:5], v11, off offset:192
	v_add_co_u32 v5, vcc_lo, v14, s0
	global_load_dword v4, v[6:7], off
	v_add_co_ci_u32_e64 v10, null, s1, v15, vcc_lo
	v_add_co_u32 v0, vcc_lo, v5, v0
	v_add_co_ci_u32_e64 v1, null, v10, v1, vcc_lo
	s_waitcnt vmcnt(0)
	v_mul_f32_e32 v4, s9, v4
	v_fmac_f32_e32 v4, s4, v9
	global_store_dword v[0:1], v4, off
	global_load_dword v4, v[6:7], off offset:64
	s_waitcnt vmcnt(0)
	v_mul_f32_e32 v4, s9, v4
	v_fmac_f32_e32 v4, s4, v8
	global_store_dword v[0:1], v4, off offset:64
	global_load_dword v4, v[6:7], off offset:128
	s_waitcnt vmcnt(0)
	v_mul_f32_e32 v4, s9, v4
	v_fmac_f32_e32 v4, s4, v2
	global_store_dword v[0:1], v4, off offset:128
	;; [unrolled: 5-line block ×3, first 2 shown]
.LBB452_6:
	s_endpgm
.LBB452_7:
	s_branch .LBB452_5
	.section	.rodata,"a",@progbits
	.p2align	6, 0x0
	.amdhsa_kernel _ZN12_GLOBAL__N_127rocblas_gemm_batched_kernelIfLi16ELi16ELi64ELi64ELi4ELi64ELi4ELi4ELi64ELc78ELc67EK16rocblas_bfloat16KffEEvlllT_PT11_llS6_llS4_PT12_llPT13_lli
		.amdhsa_group_segment_fixed_size 2048
		.amdhsa_private_segment_fixed_size 0
		.amdhsa_kernarg_size 140
		.amdhsa_user_sgpr_count 6
		.amdhsa_user_sgpr_private_segment_buffer 1
		.amdhsa_user_sgpr_dispatch_ptr 0
		.amdhsa_user_sgpr_queue_ptr 0
		.amdhsa_user_sgpr_kernarg_segment_ptr 1
		.amdhsa_user_sgpr_dispatch_id 0
		.amdhsa_user_sgpr_flat_scratch_init 0
		.amdhsa_user_sgpr_private_segment_size 0
		.amdhsa_wavefront_size32 1
		.amdhsa_uses_dynamic_stack 0
		.amdhsa_system_sgpr_private_segment_wavefront_offset 0
		.amdhsa_system_sgpr_workgroup_id_x 1
		.amdhsa_system_sgpr_workgroup_id_y 1
		.amdhsa_system_sgpr_workgroup_id_z 1
		.amdhsa_system_sgpr_workgroup_info 0
		.amdhsa_system_vgpr_workitem_id 1
		.amdhsa_next_free_vgpr 58
		.amdhsa_next_free_sgpr 23
		.amdhsa_reserve_vcc 1
		.amdhsa_reserve_flat_scratch 0
		.amdhsa_float_round_mode_32 0
		.amdhsa_float_round_mode_16_64 0
		.amdhsa_float_denorm_mode_32 3
		.amdhsa_float_denorm_mode_16_64 3
		.amdhsa_dx10_clamp 1
		.amdhsa_ieee_mode 1
		.amdhsa_fp16_overflow 0
		.amdhsa_workgroup_processor_mode 1
		.amdhsa_memory_ordered 1
		.amdhsa_forward_progress 1
		.amdhsa_shared_vgpr_count 0
		.amdhsa_exception_fp_ieee_invalid_op 0
		.amdhsa_exception_fp_denorm_src 0
		.amdhsa_exception_fp_ieee_div_zero 0
		.amdhsa_exception_fp_ieee_overflow 0
		.amdhsa_exception_fp_ieee_underflow 0
		.amdhsa_exception_fp_ieee_inexact 0
		.amdhsa_exception_int_div_zero 0
	.end_amdhsa_kernel
	.section	.text._ZN12_GLOBAL__N_127rocblas_gemm_batched_kernelIfLi16ELi16ELi64ELi64ELi4ELi64ELi4ELi4ELi64ELc78ELc67EK16rocblas_bfloat16KffEEvlllT_PT11_llS6_llS4_PT12_llPT13_lli,"axG",@progbits,_ZN12_GLOBAL__N_127rocblas_gemm_batched_kernelIfLi16ELi16ELi64ELi64ELi4ELi64ELi4ELi4ELi64ELc78ELc67EK16rocblas_bfloat16KffEEvlllT_PT11_llS6_llS4_PT12_llPT13_lli,comdat
.Lfunc_end452:
	.size	_ZN12_GLOBAL__N_127rocblas_gemm_batched_kernelIfLi16ELi16ELi64ELi64ELi4ELi64ELi4ELi4ELi64ELc78ELc67EK16rocblas_bfloat16KffEEvlllT_PT11_llS6_llS4_PT12_llPT13_lli, .Lfunc_end452-_ZN12_GLOBAL__N_127rocblas_gemm_batched_kernelIfLi16ELi16ELi64ELi64ELi4ELi64ELi4ELi4ELi64ELc78ELc67EK16rocblas_bfloat16KffEEvlllT_PT11_llS6_llS4_PT12_llPT13_lli
                                        ; -- End function
	.set _ZN12_GLOBAL__N_127rocblas_gemm_batched_kernelIfLi16ELi16ELi64ELi64ELi4ELi64ELi4ELi4ELi64ELc78ELc67EK16rocblas_bfloat16KffEEvlllT_PT11_llS6_llS4_PT12_llPT13_lli.num_vgpr, 58
	.set _ZN12_GLOBAL__N_127rocblas_gemm_batched_kernelIfLi16ELi16ELi64ELi64ELi4ELi64ELi4ELi4ELi64ELc78ELc67EK16rocblas_bfloat16KffEEvlllT_PT11_llS6_llS4_PT12_llPT13_lli.num_agpr, 0
	.set _ZN12_GLOBAL__N_127rocblas_gemm_batched_kernelIfLi16ELi16ELi64ELi64ELi4ELi64ELi4ELi4ELi64ELc78ELc67EK16rocblas_bfloat16KffEEvlllT_PT11_llS6_llS4_PT12_llPT13_lli.numbered_sgpr, 23
	.set _ZN12_GLOBAL__N_127rocblas_gemm_batched_kernelIfLi16ELi16ELi64ELi64ELi4ELi64ELi4ELi4ELi64ELc78ELc67EK16rocblas_bfloat16KffEEvlllT_PT11_llS6_llS4_PT12_llPT13_lli.num_named_barrier, 0
	.set _ZN12_GLOBAL__N_127rocblas_gemm_batched_kernelIfLi16ELi16ELi64ELi64ELi4ELi64ELi4ELi4ELi64ELc78ELc67EK16rocblas_bfloat16KffEEvlllT_PT11_llS6_llS4_PT12_llPT13_lli.private_seg_size, 0
	.set _ZN12_GLOBAL__N_127rocblas_gemm_batched_kernelIfLi16ELi16ELi64ELi64ELi4ELi64ELi4ELi4ELi64ELc78ELc67EK16rocblas_bfloat16KffEEvlllT_PT11_llS6_llS4_PT12_llPT13_lli.uses_vcc, 1
	.set _ZN12_GLOBAL__N_127rocblas_gemm_batched_kernelIfLi16ELi16ELi64ELi64ELi4ELi64ELi4ELi4ELi64ELc78ELc67EK16rocblas_bfloat16KffEEvlllT_PT11_llS6_llS4_PT12_llPT13_lli.uses_flat_scratch, 0
	.set _ZN12_GLOBAL__N_127rocblas_gemm_batched_kernelIfLi16ELi16ELi64ELi64ELi4ELi64ELi4ELi4ELi64ELc78ELc67EK16rocblas_bfloat16KffEEvlllT_PT11_llS6_llS4_PT12_llPT13_lli.has_dyn_sized_stack, 0
	.set _ZN12_GLOBAL__N_127rocblas_gemm_batched_kernelIfLi16ELi16ELi64ELi64ELi4ELi64ELi4ELi4ELi64ELc78ELc67EK16rocblas_bfloat16KffEEvlllT_PT11_llS6_llS4_PT12_llPT13_lli.has_recursion, 0
	.set _ZN12_GLOBAL__N_127rocblas_gemm_batched_kernelIfLi16ELi16ELi64ELi64ELi4ELi64ELi4ELi4ELi64ELc78ELc67EK16rocblas_bfloat16KffEEvlllT_PT11_llS6_llS4_PT12_llPT13_lli.has_indirect_call, 0
	.section	.AMDGPU.csdata,"",@progbits
; Kernel info:
; codeLenInByte = 2256
; TotalNumSgprs: 25
; NumVgprs: 58
; ScratchSize: 0
; MemoryBound: 0
; FloatMode: 240
; IeeeMode: 1
; LDSByteSize: 2048 bytes/workgroup (compile time only)
; SGPRBlocks: 0
; VGPRBlocks: 7
; NumSGPRsForWavesPerEU: 25
; NumVGPRsForWavesPerEU: 58
; Occupancy: 16
; WaveLimiterHint : 0
; COMPUTE_PGM_RSRC2:SCRATCH_EN: 0
; COMPUTE_PGM_RSRC2:USER_SGPR: 6
; COMPUTE_PGM_RSRC2:TRAP_HANDLER: 0
; COMPUTE_PGM_RSRC2:TGID_X_EN: 1
; COMPUTE_PGM_RSRC2:TGID_Y_EN: 1
; COMPUTE_PGM_RSRC2:TGID_Z_EN: 1
; COMPUTE_PGM_RSRC2:TIDIG_COMP_CNT: 1
	.section	.text._ZN12_GLOBAL__N_127rocblas_gemm_batched_kernelIfLi16ELi16ELi64ELi64ELi4ELi64ELi4ELi4ELi64ELc84ELc67EK16rocblas_bfloat16KffEEvlllT_PT11_llS6_llS4_PT12_llPT13_lli,"axG",@progbits,_ZN12_GLOBAL__N_127rocblas_gemm_batched_kernelIfLi16ELi16ELi64ELi64ELi4ELi64ELi4ELi4ELi64ELc84ELc67EK16rocblas_bfloat16KffEEvlllT_PT11_llS6_llS4_PT12_llPT13_lli,comdat
	.globl	_ZN12_GLOBAL__N_127rocblas_gemm_batched_kernelIfLi16ELi16ELi64ELi64ELi4ELi64ELi4ELi4ELi64ELc84ELc67EK16rocblas_bfloat16KffEEvlllT_PT11_llS6_llS4_PT12_llPT13_lli ; -- Begin function _ZN12_GLOBAL__N_127rocblas_gemm_batched_kernelIfLi16ELi16ELi64ELi64ELi4ELi64ELi4ELi4ELi64ELc84ELc67EK16rocblas_bfloat16KffEEvlllT_PT11_llS6_llS4_PT12_llPT13_lli
	.p2align	8
	.type	_ZN12_GLOBAL__N_127rocblas_gemm_batched_kernelIfLi16ELi16ELi64ELi64ELi4ELi64ELi4ELi4ELi64ELc84ELc67EK16rocblas_bfloat16KffEEvlllT_PT11_llS6_llS4_PT12_llPT13_lli,@function
_ZN12_GLOBAL__N_127rocblas_gemm_batched_kernelIfLi16ELi16ELi64ELi64ELi4ELi64ELi4ELi4ELi64ELc84ELc67EK16rocblas_bfloat16KffEEvlllT_PT11_llS6_llS4_PT12_llPT13_lli: ; @_ZN12_GLOBAL__N_127rocblas_gemm_batched_kernelIfLi16ELi16ELi64ELi64ELi4ELi64ELi4ELi4ELi64ELc84ELc67EK16rocblas_bfloat16KffEEvlllT_PT11_llS6_llS4_PT12_llPT13_lli
; %bb.0:
	s_load_dwordx2 s[20:21], s[4:5], 0x10
	s_mov_b32 s0, s7
	v_mov_b32_e32 v19, 0
	v_mov_b32_e32 v21, 0
	;; [unrolled: 1-line block ×16, first 2 shown]
	s_ashr_i32 s7, s6, 31
	s_ashr_i32 s1, s0, 31
	s_waitcnt lgkmcnt(0)
	v_cmp_lt_i64_e64 s2, s[20:21], 1
	s_lshl_b64 s[6:7], s[6:7], 6
	s_lshl_b64 s[10:11], s[0:1], 6
	s_and_b32 vcc_lo, exec_lo, s2
	s_cbranch_vccnz .LBB453_3
; %bb.1:
	v_lshlrev_b32_e32 v4, 4, v1
	s_clause 0x1
	s_load_dwordx4 s[0:3], s[4:5], 0x40
	s_load_dwordx8 s[12:19], s[4:5], 0x20
	v_and_b32_e32 v8, 3, v0
	v_mov_b32_e32 v3, 0
	v_add_nc_u32_e32 v5, v4, v0
	v_add_nc_u32_e32 v23, 0x400, v4
	v_lshlrev_b32_e32 v22, 2, v0
	v_lshlrev_b32_e32 v6, 2, v8
	v_mov_b32_e32 v13, v3
	v_and_b32_e32 v7, 63, v5
	v_lshrrev_b32_e32 v2, 2, v5
	v_lshrrev_b32_e32 v10, 6, v5
	v_mov_b32_e32 v14, v3
	v_mov_b32_e32 v15, v3
	v_lshlrev_b32_e32 v4, 2, v7
	v_lshl_or_b32 v9, v2, 4, v6
	v_add_co_u32 v6, s9, s6, v7
	v_add_co_ci_u32_e64 v7, null, s7, 0, s9
	v_lshl_or_b32 v24, v10, 8, v4
	s_waitcnt lgkmcnt(0)
	v_mad_u64_u32 v[4:5], null, s0, v8, v[2:3]
	v_mul_lo_u32 v11, s15, v6
	v_mul_lo_u32 v12, s14, v7
	v_mad_u64_u32 v[6:7], null, s14, v6, 0
	s_mul_i32 s3, s3, s8
	s_mul_hi_u32 s9, s2, s8
	v_mov_b32_e32 v2, v5
	s_mul_i32 s2, s2, s8
	s_add_i32 s3, s9, s3
	v_add_nc_u32_e32 v25, 0x400, v9
	v_add3_u32 v7, v7, v12, v11
	v_mad_u64_u32 v[8:9], null, s1, v8, v[2:3]
	s_lshl_b64 s[2:3], s[2:3], 1
	v_lshlrev_b32_e32 v2, 1, v10
	s_add_u32 s9, s18, s2
	s_addc_u32 s14, s19, s3
	s_mul_i32 s2, s17, s8
	s_mul_hi_u32 s3, s16, s8
	v_lshlrev_b64 v[5:6], 1, v[6:7]
	v_add_co_u32 v7, vcc_lo, v4, s10
	s_add_i32 s3, s3, s2
	s_mul_i32 s2, s16, s8
	v_add_co_ci_u32_e64 v8, null, s11, v8, vcc_lo
	s_lshl_b64 s[2:3], s[2:3], 1
	v_mov_b32_e32 v10, v3
	v_add_co_u32 v9, vcc_lo, v5, s2
	v_add_co_ci_u32_e64 v6, null, s3, v6, vcc_lo
	v_lshlrev_b64 v[4:5], 1, v[7:8]
	v_add_co_u32 v2, vcc_lo, v9, v2
	v_add_co_ci_u32_e64 v7, null, 0, v6, vcc_lo
	v_mov_b32_e32 v8, v3
	v_add_co_u32 v4, vcc_lo, s9, v4
	v_add_co_ci_u32_e64 v5, null, s14, v5, vcc_lo
	v_add_co_u32 v6, vcc_lo, s12, v2
	v_add_co_ci_u32_e64 v7, null, s13, v7, vcc_lo
	v_mov_b32_e32 v2, v3
	v_mov_b32_e32 v9, v3
	;; [unrolled: 1-line block ×10, first 2 shown]
	s_lshl_b64 s[0:1], s[0:1], 3
	s_mov_b64 s[2:3], 0
.LBB453_2:                              ; =>This Inner Loop Header: Depth=1
	global_load_ushort v26, v[6:7], off
	global_load_ushort v27, v[4:5], off
	s_add_u32 s2, s2, 4
	s_addc_u32 s3, s3, 0
	v_add_co_u32 v4, vcc_lo, v4, s0
	v_cmp_lt_i64_e64 s9, s[2:3], s[20:21]
	v_add_co_ci_u32_e64 v5, null, s1, v5, vcc_lo
	v_add_co_u32 v6, vcc_lo, v6, 8
	v_add_co_ci_u32_e64 v7, null, 0, v7, vcc_lo
	s_and_b32 vcc_lo, exec_lo, s9
	s_waitcnt vmcnt(1)
	v_lshlrev_b32_e32 v26, 16, v26
	s_waitcnt vmcnt(0)
	v_lshlrev_b32_e32 v27, 16, v27
	ds_write_b32 v24, v26
	ds_write_b32 v25, v27
	s_waitcnt lgkmcnt(0)
	s_barrier
	buffer_gl0_inv
	ds_read_b128 v[26:29], v23
	ds_read2_b32 v[42:43], v22 offset1:16
	ds_read2_b32 v[44:45], v22 offset0:32 offset1:48
	ds_read_b128 v[30:33], v23 offset:256
	ds_read_b128 v[34:37], v23 offset:512
	;; [unrolled: 1-line block ×3, first 2 shown]
	ds_read2_b32 v[46:47], v22 offset0:64 offset1:80
	ds_read2_b32 v[48:49], v22 offset0:96 offset1:112
	;; [unrolled: 1-line block ×6, first 2 shown]
	s_waitcnt lgkmcnt(0)
	s_barrier
	buffer_gl0_inv
	v_fmac_f32_e32 v19, v42, v26
	v_fmac_f32_e32 v21, v43, v26
	v_fmac_f32_e32 v20, v44, v26
	v_fmac_f32_e32 v18, v45, v26
	v_fmac_f32_e32 v17, v42, v30
	v_fmac_f32_e32 v16, v43, v30
	v_fmac_f32_e32 v15, v44, v30
	v_fmac_f32_e32 v14, v45, v30
	v_fmac_f32_e32 v13, v42, v34
	v_fmac_f32_e32 v12, v43, v34
	v_fmac_f32_e32 v11, v44, v34
	v_fmac_f32_e32 v10, v45, v34
	v_fmac_f32_e32 v9, v42, v38
	v_fmac_f32_e32 v8, v43, v38
	v_fmac_f32_e32 v2, v44, v38
	v_fmac_f32_e32 v3, v45, v38
	v_fmac_f32_e32 v19, v46, v27
	v_fmac_f32_e32 v21, v47, v27
	v_fmac_f32_e32 v20, v48, v27
	v_fmac_f32_e32 v18, v49, v27
	v_fmac_f32_e32 v17, v46, v31
	v_fmac_f32_e32 v16, v47, v31
	v_fmac_f32_e32 v15, v48, v31
	v_fmac_f32_e32 v14, v49, v31
	v_fmac_f32_e32 v13, v46, v35
	v_fmac_f32_e32 v12, v47, v35
	v_fmac_f32_e32 v11, v48, v35
	v_fmac_f32_e32 v10, v49, v35
	v_fmac_f32_e32 v9, v46, v39
	v_fmac_f32_e32 v8, v47, v39
	v_fmac_f32_e32 v2, v48, v39
	v_fmac_f32_e32 v3, v49, v39
	v_fmac_f32_e32 v19, v50, v28
	v_fmac_f32_e32 v21, v51, v28
	v_fmac_f32_e32 v20, v52, v28
	v_fmac_f32_e32 v18, v53, v28
	v_fmac_f32_e32 v17, v50, v32
	v_fmac_f32_e32 v16, v51, v32
	v_fmac_f32_e32 v15, v52, v32
	v_fmac_f32_e32 v14, v53, v32
	v_fmac_f32_e32 v13, v50, v36
	v_fmac_f32_e32 v12, v51, v36
	v_fmac_f32_e32 v11, v52, v36
	v_fmac_f32_e32 v10, v53, v36
	v_fmac_f32_e32 v9, v50, v40
	v_fmac_f32_e32 v8, v51, v40
	v_fmac_f32_e32 v2, v52, v40
	v_fmac_f32_e32 v3, v53, v40
	v_fmac_f32_e32 v19, v54, v29
	v_fmac_f32_e32 v21, v55, v29
	v_fmac_f32_e32 v20, v56, v29
	v_fmac_f32_e32 v18, v57, v29
	v_fmac_f32_e32 v17, v54, v33
	v_fmac_f32_e32 v16, v55, v33
	v_fmac_f32_e32 v15, v56, v33
	v_fmac_f32_e32 v14, v57, v33
	v_fmac_f32_e32 v13, v54, v37
	v_fmac_f32_e32 v12, v55, v37
	v_fmac_f32_e32 v11, v56, v37
	v_fmac_f32_e32 v10, v57, v37
	v_fmac_f32_e32 v9, v54, v41
	v_fmac_f32_e32 v8, v55, v41
	v_fmac_f32_e32 v2, v56, v41
	v_fmac_f32_e32 v3, v57, v41
	s_cbranch_vccnz .LBB453_2
.LBB453_3:
	s_clause 0x3
	s_load_dwordx4 s[0:3], s[4:5], 0x78
	s_load_dword s9, s[4:5], 0x50
	s_load_dwordx8 s[12:19], s[4:5], 0x58
	s_load_dword s4, s[4:5], 0x18
	v_add_co_u32 v5, s5, s6, v0
	v_add_co_ci_u32_e64 v6, null, s7, 0, s5
	v_add_co_u32 v4, s5, s10, v1
	v_add_co_ci_u32_e64 v7, null, s11, 0, s5
	v_lshlrev_b64 v[0:1], 2, v[5:6]
	s_waitcnt lgkmcnt(0)
	s_mul_i32 s3, s3, s8
	s_mul_hi_u32 s5, s2, s8
	v_mul_lo_u32 v5, v7, s0
	v_mul_lo_u32 v6, v4, s1
	s_mul_i32 s2, s2, s8
	v_cmp_neq_f32_e64 s6, s9, 0
	s_add_i32 s3, s5, s3
	s_mov_b32 s5, 0
	s_lshl_b64 s[2:3], s[2:3], 2
	s_add_u32 s2, s18, s2
	s_addc_u32 s3, s19, s3
	s_and_b32 vcc_lo, exec_lo, s6
	s_cbranch_vccnz .LBB453_7
; %bb.4:
	v_mad_u64_u32 v[22:23], null, v4, s0, 0
	s_lshl_b64 s[6:7], s[0:1], 6
	v_mul_f32_e32 v26, s4, v19
	v_mul_f32_e32 v27, s4, v21
	;; [unrolled: 1-line block ×5, first 2 shown]
	v_add3_u32 v23, v23, v6, v5
	v_mul_f32_e32 v31, s4, v16
	v_mul_f32_e32 v32, s4, v15
	;; [unrolled: 1-line block ×3, first 2 shown]
	v_lshlrev_b64 v[22:23], 2, v[22:23]
	v_add_co_u32 v22, vcc_lo, s2, v22
	v_add_co_ci_u32_e64 v23, null, s3, v23, vcc_lo
	v_add_co_u32 v34, vcc_lo, v22, s6
	v_add_co_ci_u32_e64 v35, null, s7, v23, vcc_lo
	;; [unrolled: 2-line block ×4, first 2 shown]
	global_store_dword v[22:23], v26, off
	global_store_dword v[22:23], v27, off offset:64
	global_store_dword v[22:23], v28, off offset:128
	;; [unrolled: 1-line block ×3, first 2 shown]
	global_store_dword v[24:25], v30, off
	global_store_dword v[24:25], v31, off offset:64
	v_add_co_u32 v26, vcc_lo, v34, s6
	v_add_co_ci_u32_e64 v27, null, s7, v35, vcc_lo
	v_mul_f32_e32 v28, s4, v13
	v_add_co_u32 v22, vcc_lo, v26, v0
	v_add_co_ci_u32_e64 v23, null, v27, v1, vcc_lo
	v_mul_f32_e32 v29, s4, v12
	v_mul_f32_e32 v30, s4, v11
	global_store_dword v[24:25], v32, off offset:128
	global_store_dword v[24:25], v33, off offset:192
	global_store_dword v[22:23], v28, off
	global_store_dword v[22:23], v29, off offset:64
	global_store_dword v[22:23], v30, off offset:128
	v_add_co_u32 v24, vcc_lo, v26, s6
	v_add_co_ci_u32_e64 v25, null, s7, v27, vcc_lo
	v_mul_f32_e32 v28, s4, v10
	v_add_co_u32 v24, vcc_lo, v24, v0
	v_mul_f32_e32 v26, s4, v9
	v_add_co_ci_u32_e64 v25, null, v25, v1, vcc_lo
	v_mul_f32_e32 v27, s4, v8
	v_mul_f32_e32 v29, s4, v2
	;; [unrolled: 1-line block ×3, first 2 shown]
	global_store_dword v[22:23], v28, off offset:192
	global_store_dword v[24:25], v26, off
	global_store_dword v[24:25], v27, off offset:64
	global_store_dword v[24:25], v29, off offset:128
	;; [unrolled: 1-line block ×3, first 2 shown]
	s_andn2_b32 vcc_lo, exec_lo, s5
	s_cbranch_vccnz .LBB453_6
.LBB453_5:
	v_mul_lo_u32 v7, v7, s14
	v_mul_lo_u32 v24, v4, s15
	v_mad_u64_u32 v[22:23], null, v4, s14, 0
	s_mul_i32 s5, s17, s8
	s_mul_hi_u32 s7, s16, s8
	s_mul_i32 s6, s16, s8
	s_add_i32 s7, s7, s5
	s_lshl_b64 s[6:7], s[6:7], 2
	v_add3_u32 v23, v23, v24, v7
	s_add_u32 s5, s12, s6
	s_addc_u32 s6, s13, s7
	v_mad_u64_u32 v[24:25], null, v4, s0, 0
	v_lshlrev_b64 v[22:23], 2, v[22:23]
	s_lshl_b64 s[0:1], s[0:1], 6
	v_add3_u32 v25, v25, v6, v5
	v_add_co_u32 v7, vcc_lo, s5, v22
	v_add_co_ci_u32_e64 v26, null, s6, v23, vcc_lo
	v_lshlrev_b64 v[4:5], 2, v[24:25]
	v_add_co_u32 v22, vcc_lo, v7, v0
	v_add_co_ci_u32_e64 v23, null, v26, v1, vcc_lo
	v_add_co_u32 v24, vcc_lo, s2, v4
	global_load_dword v27, v[22:23], off
	v_add_co_ci_u32_e64 v25, null, s3, v5, vcc_lo
	v_add_co_u32 v4, vcc_lo, v24, v0
	s_lshl_b64 s[2:3], s[14:15], 6
	v_add_co_ci_u32_e64 v5, null, v25, v1, vcc_lo
	s_waitcnt vmcnt(0)
	v_mul_f32_e32 v6, s9, v27
	v_fmac_f32_e32 v6, s4, v19
	global_store_dword v[4:5], v6, off
	global_load_dword v6, v[22:23], off offset:64
	s_waitcnt vmcnt(0)
	v_mul_f32_e32 v6, s9, v6
	v_fmac_f32_e32 v6, s4, v21
	global_store_dword v[4:5], v6, off offset:64
	global_load_dword v6, v[22:23], off offset:128
	s_waitcnt vmcnt(0)
	v_mul_f32_e32 v6, s9, v6
	v_fmac_f32_e32 v6, s4, v20
	v_add_co_u32 v20, vcc_lo, v7, s2
	v_add_co_ci_u32_e64 v21, null, s3, v26, vcc_lo
	global_store_dword v[4:5], v6, off offset:128
	global_load_dword v6, v[22:23], off offset:192
	s_waitcnt vmcnt(0)
	v_mul_f32_e32 v19, s9, v6
	v_add_co_u32 v6, vcc_lo, v20, v0
	v_add_co_ci_u32_e64 v7, null, v21, v1, vcc_lo
	v_fmac_f32_e32 v19, s4, v18
	v_add_co_u32 v18, vcc_lo, v24, s0
	global_store_dword v[4:5], v19, off offset:192
	global_load_dword v4, v[6:7], off
	v_add_co_ci_u32_e64 v19, null, s1, v25, vcc_lo
	s_waitcnt vmcnt(0)
	v_mul_f32_e32 v22, s9, v4
	v_add_co_u32 v4, vcc_lo, v18, v0
	v_add_co_ci_u32_e64 v5, null, v19, v1, vcc_lo
	v_fmac_f32_e32 v22, s4, v17
	global_store_dword v[4:5], v22, off
	global_load_dword v17, v[6:7], off offset:64
	s_waitcnt vmcnt(0)
	v_mul_f32_e32 v17, s9, v17
	v_fmac_f32_e32 v17, s4, v16
	global_store_dword v[4:5], v17, off offset:64
	global_load_dword v16, v[6:7], off offset:128
	s_waitcnt vmcnt(0)
	v_mul_f32_e32 v16, s9, v16
	v_fmac_f32_e32 v16, s4, v15
	global_store_dword v[4:5], v16, off offset:128
	global_load_dword v6, v[6:7], off offset:192
	v_add_co_u32 v16, vcc_lo, v20, s2
	v_add_co_ci_u32_e64 v17, null, s3, v21, vcc_lo
	s_waitcnt vmcnt(0)
	v_mul_f32_e32 v15, s9, v6
	v_add_co_u32 v6, vcc_lo, v16, v0
	v_add_co_ci_u32_e64 v7, null, v17, v1, vcc_lo
	v_fmac_f32_e32 v15, s4, v14
	v_add_co_u32 v14, vcc_lo, v18, s0
	global_store_dword v[4:5], v15, off offset:192
	global_load_dword v4, v[6:7], off
	v_add_co_ci_u32_e64 v15, null, s1, v19, vcc_lo
	s_waitcnt vmcnt(0)
	v_mul_f32_e32 v18, s9, v4
	v_add_co_u32 v4, vcc_lo, v14, v0
	v_add_co_ci_u32_e64 v5, null, v15, v1, vcc_lo
	v_fmac_f32_e32 v18, s4, v13
	global_store_dword v[4:5], v18, off
	global_load_dword v13, v[6:7], off offset:64
	s_waitcnt vmcnt(0)
	v_mul_f32_e32 v13, s9, v13
	v_fmac_f32_e32 v13, s4, v12
	global_store_dword v[4:5], v13, off offset:64
	global_load_dword v12, v[6:7], off offset:128
	s_waitcnt vmcnt(0)
	v_mul_f32_e32 v12, s9, v12
	v_fmac_f32_e32 v12, s4, v11
	global_store_dword v[4:5], v12, off offset:128
	global_load_dword v6, v[6:7], off offset:192
	s_waitcnt vmcnt(0)
	v_mul_f32_e32 v11, s9, v6
	v_add_co_u32 v6, vcc_lo, v16, s2
	v_add_co_ci_u32_e64 v7, null, s3, v17, vcc_lo
	v_fmac_f32_e32 v11, s4, v10
	v_add_co_u32 v6, vcc_lo, v6, v0
	v_add_co_ci_u32_e64 v7, null, v7, v1, vcc_lo
	global_store_dword v[4:5], v11, off offset:192
	v_add_co_u32 v5, vcc_lo, v14, s0
	global_load_dword v4, v[6:7], off
	v_add_co_ci_u32_e64 v10, null, s1, v15, vcc_lo
	v_add_co_u32 v0, vcc_lo, v5, v0
	v_add_co_ci_u32_e64 v1, null, v10, v1, vcc_lo
	s_waitcnt vmcnt(0)
	v_mul_f32_e32 v4, s9, v4
	v_fmac_f32_e32 v4, s4, v9
	global_store_dword v[0:1], v4, off
	global_load_dword v4, v[6:7], off offset:64
	s_waitcnt vmcnt(0)
	v_mul_f32_e32 v4, s9, v4
	v_fmac_f32_e32 v4, s4, v8
	global_store_dword v[0:1], v4, off offset:64
	global_load_dword v4, v[6:7], off offset:128
	s_waitcnt vmcnt(0)
	v_mul_f32_e32 v4, s9, v4
	v_fmac_f32_e32 v4, s4, v2
	global_store_dword v[0:1], v4, off offset:128
	global_load_dword v2, v[6:7], off offset:192
	s_waitcnt vmcnt(0)
	v_mul_f32_e32 v2, s9, v2
	v_fmac_f32_e32 v2, s4, v3
	global_store_dword v[0:1], v2, off offset:192
.LBB453_6:
	s_endpgm
.LBB453_7:
	s_branch .LBB453_5
	.section	.rodata,"a",@progbits
	.p2align	6, 0x0
	.amdhsa_kernel _ZN12_GLOBAL__N_127rocblas_gemm_batched_kernelIfLi16ELi16ELi64ELi64ELi4ELi64ELi4ELi4ELi64ELc84ELc67EK16rocblas_bfloat16KffEEvlllT_PT11_llS6_llS4_PT12_llPT13_lli
		.amdhsa_group_segment_fixed_size 2048
		.amdhsa_private_segment_fixed_size 0
		.amdhsa_kernarg_size 140
		.amdhsa_user_sgpr_count 6
		.amdhsa_user_sgpr_private_segment_buffer 1
		.amdhsa_user_sgpr_dispatch_ptr 0
		.amdhsa_user_sgpr_queue_ptr 0
		.amdhsa_user_sgpr_kernarg_segment_ptr 1
		.amdhsa_user_sgpr_dispatch_id 0
		.amdhsa_user_sgpr_flat_scratch_init 0
		.amdhsa_user_sgpr_private_segment_size 0
		.amdhsa_wavefront_size32 1
		.amdhsa_uses_dynamic_stack 0
		.amdhsa_system_sgpr_private_segment_wavefront_offset 0
		.amdhsa_system_sgpr_workgroup_id_x 1
		.amdhsa_system_sgpr_workgroup_id_y 1
		.amdhsa_system_sgpr_workgroup_id_z 1
		.amdhsa_system_sgpr_workgroup_info 0
		.amdhsa_system_vgpr_workitem_id 1
		.amdhsa_next_free_vgpr 58
		.amdhsa_next_free_sgpr 22
		.amdhsa_reserve_vcc 1
		.amdhsa_reserve_flat_scratch 0
		.amdhsa_float_round_mode_32 0
		.amdhsa_float_round_mode_16_64 0
		.amdhsa_float_denorm_mode_32 3
		.amdhsa_float_denorm_mode_16_64 3
		.amdhsa_dx10_clamp 1
		.amdhsa_ieee_mode 1
		.amdhsa_fp16_overflow 0
		.amdhsa_workgroup_processor_mode 1
		.amdhsa_memory_ordered 1
		.amdhsa_forward_progress 1
		.amdhsa_shared_vgpr_count 0
		.amdhsa_exception_fp_ieee_invalid_op 0
		.amdhsa_exception_fp_denorm_src 0
		.amdhsa_exception_fp_ieee_div_zero 0
		.amdhsa_exception_fp_ieee_overflow 0
		.amdhsa_exception_fp_ieee_underflow 0
		.amdhsa_exception_fp_ieee_inexact 0
		.amdhsa_exception_int_div_zero 0
	.end_amdhsa_kernel
	.section	.text._ZN12_GLOBAL__N_127rocblas_gemm_batched_kernelIfLi16ELi16ELi64ELi64ELi4ELi64ELi4ELi4ELi64ELc84ELc67EK16rocblas_bfloat16KffEEvlllT_PT11_llS6_llS4_PT12_llPT13_lli,"axG",@progbits,_ZN12_GLOBAL__N_127rocblas_gemm_batched_kernelIfLi16ELi16ELi64ELi64ELi4ELi64ELi4ELi4ELi64ELc84ELc67EK16rocblas_bfloat16KffEEvlllT_PT11_llS6_llS4_PT12_llPT13_lli,comdat
.Lfunc_end453:
	.size	_ZN12_GLOBAL__N_127rocblas_gemm_batched_kernelIfLi16ELi16ELi64ELi64ELi4ELi64ELi4ELi4ELi64ELc84ELc67EK16rocblas_bfloat16KffEEvlllT_PT11_llS6_llS4_PT12_llPT13_lli, .Lfunc_end453-_ZN12_GLOBAL__N_127rocblas_gemm_batched_kernelIfLi16ELi16ELi64ELi64ELi4ELi64ELi4ELi4ELi64ELc84ELc67EK16rocblas_bfloat16KffEEvlllT_PT11_llS6_llS4_PT12_llPT13_lli
                                        ; -- End function
	.set _ZN12_GLOBAL__N_127rocblas_gemm_batched_kernelIfLi16ELi16ELi64ELi64ELi4ELi64ELi4ELi4ELi64ELc84ELc67EK16rocblas_bfloat16KffEEvlllT_PT11_llS6_llS4_PT12_llPT13_lli.num_vgpr, 58
	.set _ZN12_GLOBAL__N_127rocblas_gemm_batched_kernelIfLi16ELi16ELi64ELi64ELi4ELi64ELi4ELi4ELi64ELc84ELc67EK16rocblas_bfloat16KffEEvlllT_PT11_llS6_llS4_PT12_llPT13_lli.num_agpr, 0
	.set _ZN12_GLOBAL__N_127rocblas_gemm_batched_kernelIfLi16ELi16ELi64ELi64ELi4ELi64ELi4ELi4ELi64ELc84ELc67EK16rocblas_bfloat16KffEEvlllT_PT11_llS6_llS4_PT12_llPT13_lli.numbered_sgpr, 22
	.set _ZN12_GLOBAL__N_127rocblas_gemm_batched_kernelIfLi16ELi16ELi64ELi64ELi4ELi64ELi4ELi4ELi64ELc84ELc67EK16rocblas_bfloat16KffEEvlllT_PT11_llS6_llS4_PT12_llPT13_lli.num_named_barrier, 0
	.set _ZN12_GLOBAL__N_127rocblas_gemm_batched_kernelIfLi16ELi16ELi64ELi64ELi4ELi64ELi4ELi4ELi64ELc84ELc67EK16rocblas_bfloat16KffEEvlllT_PT11_llS6_llS4_PT12_llPT13_lli.private_seg_size, 0
	.set _ZN12_GLOBAL__N_127rocblas_gemm_batched_kernelIfLi16ELi16ELi64ELi64ELi4ELi64ELi4ELi4ELi64ELc84ELc67EK16rocblas_bfloat16KffEEvlllT_PT11_llS6_llS4_PT12_llPT13_lli.uses_vcc, 1
	.set _ZN12_GLOBAL__N_127rocblas_gemm_batched_kernelIfLi16ELi16ELi64ELi64ELi4ELi64ELi4ELi4ELi64ELc84ELc67EK16rocblas_bfloat16KffEEvlllT_PT11_llS6_llS4_PT12_llPT13_lli.uses_flat_scratch, 0
	.set _ZN12_GLOBAL__N_127rocblas_gemm_batched_kernelIfLi16ELi16ELi64ELi64ELi4ELi64ELi4ELi4ELi64ELc84ELc67EK16rocblas_bfloat16KffEEvlllT_PT11_llS6_llS4_PT12_llPT13_lli.has_dyn_sized_stack, 0
	.set _ZN12_GLOBAL__N_127rocblas_gemm_batched_kernelIfLi16ELi16ELi64ELi64ELi4ELi64ELi4ELi4ELi64ELc84ELc67EK16rocblas_bfloat16KffEEvlllT_PT11_llS6_llS4_PT12_llPT13_lli.has_recursion, 0
	.set _ZN12_GLOBAL__N_127rocblas_gemm_batched_kernelIfLi16ELi16ELi64ELi64ELi4ELi64ELi4ELi4ELi64ELc84ELc67EK16rocblas_bfloat16KffEEvlllT_PT11_llS6_llS4_PT12_llPT13_lli.has_indirect_call, 0
	.section	.AMDGPU.csdata,"",@progbits
; Kernel info:
; codeLenInByte = 2292
; TotalNumSgprs: 24
; NumVgprs: 58
; ScratchSize: 0
; MemoryBound: 0
; FloatMode: 240
; IeeeMode: 1
; LDSByteSize: 2048 bytes/workgroup (compile time only)
; SGPRBlocks: 0
; VGPRBlocks: 7
; NumSGPRsForWavesPerEU: 24
; NumVGPRsForWavesPerEU: 58
; Occupancy: 16
; WaveLimiterHint : 0
; COMPUTE_PGM_RSRC2:SCRATCH_EN: 0
; COMPUTE_PGM_RSRC2:USER_SGPR: 6
; COMPUTE_PGM_RSRC2:TRAP_HANDLER: 0
; COMPUTE_PGM_RSRC2:TGID_X_EN: 1
; COMPUTE_PGM_RSRC2:TGID_Y_EN: 1
; COMPUTE_PGM_RSRC2:TGID_Z_EN: 1
; COMPUTE_PGM_RSRC2:TIDIG_COMP_CNT: 1
	.section	.text._ZN12_GLOBAL__N_127rocblas_gemm_batched_kernelIfLi16ELi16ELi32ELi32ELi8ELi32ELi8ELi8ELi32ELc78ELc78EK16rocblas_bfloat16KffEEvlllT_PT11_llS6_llS4_PT12_llPT13_lli,"axG",@progbits,_ZN12_GLOBAL__N_127rocblas_gemm_batched_kernelIfLi16ELi16ELi32ELi32ELi8ELi32ELi8ELi8ELi32ELc78ELc78EK16rocblas_bfloat16KffEEvlllT_PT11_llS6_llS4_PT12_llPT13_lli,comdat
	.globl	_ZN12_GLOBAL__N_127rocblas_gemm_batched_kernelIfLi16ELi16ELi32ELi32ELi8ELi32ELi8ELi8ELi32ELc78ELc78EK16rocblas_bfloat16KffEEvlllT_PT11_llS6_llS4_PT12_llPT13_lli ; -- Begin function _ZN12_GLOBAL__N_127rocblas_gemm_batched_kernelIfLi16ELi16ELi32ELi32ELi8ELi32ELi8ELi8ELi32ELc78ELc78EK16rocblas_bfloat16KffEEvlllT_PT11_llS6_llS4_PT12_llPT13_lli
	.p2align	8
	.type	_ZN12_GLOBAL__N_127rocblas_gemm_batched_kernelIfLi16ELi16ELi32ELi32ELi8ELi32ELi8ELi8ELi32ELc78ELc78EK16rocblas_bfloat16KffEEvlllT_PT11_llS6_llS4_PT12_llPT13_lli,@function
_ZN12_GLOBAL__N_127rocblas_gemm_batched_kernelIfLi16ELi16ELi32ELi32ELi8ELi32ELi8ELi8ELi32ELc78ELc78EK16rocblas_bfloat16KffEEvlllT_PT11_llS6_llS4_PT12_llPT13_lli: ; @_ZN12_GLOBAL__N_127rocblas_gemm_batched_kernelIfLi16ELi16ELi32ELi32ELi8ELi32ELi8ELi8ELi32ELc78ELc78EK16rocblas_bfloat16KffEEvlllT_PT11_llS6_llS4_PT12_llPT13_lli
; %bb.0:
	s_load_dwordx2 s[20:21], s[4:5], 0x10
	s_mov_b32 s0, s7
	v_mov_b32_e32 v9, 0
	v_mov_b32_e32 v8, 0
	;; [unrolled: 1-line block ×4, first 2 shown]
	s_ashr_i32 s7, s6, 31
	s_ashr_i32 s1, s0, 31
	s_lshl_b64 s[6:7], s[6:7], 5
	s_lshl_b64 s[10:11], s[0:1], 5
	s_waitcnt lgkmcnt(0)
	v_cmp_lt_i64_e64 s2, s[20:21], 1
	s_and_b32 vcc_lo, exec_lo, s2
	s_cbranch_vccnz .LBB454_3
; %bb.1:
	s_load_dwordx4 s[0:3], s[4:5], 0x40
	v_lshl_add_u32 v2, v1, 4, v0
	s_load_dwordx8 s[12:19], s[4:5], 0x20
	v_and_b32_e32 v9, 7, v0
	v_mov_b32_e32 v6, 0
	v_lshlrev_b32_e32 v10, 2, v0
	v_lshrrev_b32_e32 v4, 3, v2
	v_and_b32_e32 v14, 31, v2
	v_lshrrev_b32_e32 v7, 5, v2
	v_lshlrev_b32_e32 v8, 2, v9
	v_lshlrev_b32_e32 v9, 1, v9
	v_add_co_u32 v3, s9, v4, s10
	v_add_co_ci_u32_e64 v5, null, 0, s11, s9
	v_lshl_or_b32 v8, v4, 5, v8
	v_lshlrev_b32_e32 v12, 2, v14
	v_lshl_add_u32 v11, v1, 5, 0x400
	v_add_nc_u32_e32 v13, 0x400, v8
	s_waitcnt lgkmcnt(0)
	v_mul_lo_u32 v15, s1, v3
	v_mul_lo_u32 v16, s0, v5
	v_mad_u64_u32 v[2:3], null, s0, v3, 0
	v_mad_u64_u32 v[4:5], null, s14, v7, s[6:7]
	s_mul_i32 s1, s3, s8
	s_mul_hi_u32 s3, s2, s8
	v_lshl_or_b32 v12, v7, 7, v12
	s_mul_i32 s0, s2, s8
	v_add3_u32 v3, v3, v16, v15
	s_add_i32 s1, s3, s1
	v_mad_u64_u32 v[7:8], null, s15, v7, v[5:6]
	s_lshl_b64 s[0:1], s[0:1], 1
	v_lshlrev_b64 v[2:3], 1, v[2:3]
	s_mul_i32 s2, s17, s8
	v_add_co_u32 v5, vcc_lo, v2, s0
	v_add_co_ci_u32_e64 v8, null, s1, v3, vcc_lo
	v_add_co_u32 v2, vcc_lo, v4, v14
	v_add_co_ci_u32_e64 v3, null, 0, v7, vcc_lo
	s_mul_hi_u32 s0, s16, s8
	v_add_co_u32 v7, vcc_lo, v5, v9
	s_add_i32 s1, s0, s2
	s_mul_i32 s0, s16, s8
	v_lshlrev_b64 v[4:5], 1, v[2:3]
	v_add_co_ci_u32_e64 v8, null, 0, v8, vcc_lo
	s_lshl_b64 s[0:1], s[0:1], 1
	v_add_co_u32 v2, vcc_lo, s18, v7
	s_add_u32 s0, s12, s0
	v_add_co_ci_u32_e64 v3, null, s19, v8, vcc_lo
	s_addc_u32 s1, s13, s1
	v_add_co_u32 v4, vcc_lo, s0, v4
	v_add_co_ci_u32_e64 v5, null, s1, v5, vcc_lo
	v_mov_b32_e32 v7, 0
	v_mov_b32_e32 v8, 0
	;; [unrolled: 1-line block ×3, first 2 shown]
	s_lshl_b64 s[0:1], s[14:15], 4
	s_mov_b64 s[2:3], 0
.LBB454_2:                              ; =>This Inner Loop Header: Depth=1
	global_load_ushort v14, v[4:5], off
	global_load_ushort v15, v[2:3], off
	s_add_u32 s2, s2, 8
	s_addc_u32 s3, s3, 0
	v_add_co_u32 v2, vcc_lo, v2, 16
	v_cmp_lt_i64_e64 s9, s[2:3], s[20:21]
	v_add_co_ci_u32_e64 v3, null, 0, v3, vcc_lo
	v_add_co_u32 v4, vcc_lo, v4, s0
	v_add_co_ci_u32_e64 v5, null, s1, v5, vcc_lo
	s_and_b32 vcc_lo, exec_lo, s9
	s_waitcnt vmcnt(1)
	v_lshlrev_b32_e32 v14, 16, v14
	s_waitcnt vmcnt(0)
	v_lshlrev_b32_e32 v15, 16, v15
	ds_write_b32 v12, v14
	ds_write_b32 v13, v15
	s_waitcnt lgkmcnt(0)
	s_barrier
	buffer_gl0_inv
	ds_read_b128 v[14:17], v11
	ds_read2_b32 v[30:31], v10 offset1:16
	ds_read_b128 v[18:21], v11 offset:512
	ds_read2_b32 v[32:33], v10 offset0:32 offset1:48
	ds_read2_b32 v[34:35], v10 offset0:64 offset1:80
	ds_read_b128 v[22:25], v11 offset:16
	ds_read2_b32 v[36:37], v10 offset0:96 offset1:112
	ds_read2_b32 v[38:39], v10 offset0:128 offset1:144
	;; [unrolled: 3-line block ×3, first 2 shown]
	ds_read2_b32 v[44:45], v10 offset0:224 offset1:240
	s_waitcnt lgkmcnt(0)
	s_barrier
	buffer_gl0_inv
	v_fmac_f32_e32 v9, v30, v14
	v_fmac_f32_e32 v8, v31, v14
	;; [unrolled: 1-line block ×32, first 2 shown]
	s_cbranch_vccnz .LBB454_2
.LBB454_3:
	s_clause 0x3
	s_load_dwordx4 s[0:3], s[4:5], 0x78
	s_load_dword s9, s[4:5], 0x50
	s_load_dwordx8 s[12:19], s[4:5], 0x58
	s_load_dword s4, s[4:5], 0x18
	v_add_co_u32 v3, s5, s6, v0
	v_add_co_ci_u32_e64 v4, null, s7, 0, s5
	v_add_co_u32 v2, s5, s10, v1
	v_add_co_ci_u32_e64 v5, null, s11, 0, s5
	v_lshlrev_b64 v[0:1], 2, v[3:4]
	s_waitcnt lgkmcnt(0)
	s_mul_i32 s3, s3, s8
	s_mul_hi_u32 s5, s2, s8
	v_mul_lo_u32 v3, v5, s0
	v_mul_lo_u32 v4, v2, s1
	s_mul_i32 s2, s2, s8
	v_cmp_neq_f32_e64 s6, s9, 0
	s_add_i32 s3, s5, s3
	s_mov_b32 s5, 0
	s_lshl_b64 s[2:3], s[2:3], 2
	s_add_u32 s2, s18, s2
	s_addc_u32 s3, s19, s3
	s_and_b32 vcc_lo, exec_lo, s6
	s_cbranch_vccnz .LBB454_7
; %bb.4:
	v_mad_u64_u32 v[10:11], null, v2, s0, 0
	s_lshl_b64 s[6:7], s[0:1], 6
	v_mul_f32_e32 v14, s4, v9
	v_mul_f32_e32 v15, s4, v8
	v_mul_f32_e32 v16, s4, v7
	v_mul_f32_e32 v17, s4, v6
	v_add3_u32 v11, v11, v4, v3
	v_lshlrev_b64 v[10:11], 2, v[10:11]
	v_add_co_u32 v10, vcc_lo, s2, v10
	v_add_co_ci_u32_e64 v11, null, s3, v11, vcc_lo
	v_add_co_u32 v12, vcc_lo, v10, s6
	v_add_co_ci_u32_e64 v13, null, s7, v11, vcc_lo
	;; [unrolled: 2-line block ×4, first 2 shown]
	global_store_dword v[10:11], v14, off
	global_store_dword v[10:11], v15, off offset:64
	global_store_dword v[12:13], v16, off
	global_store_dword v[12:13], v17, off offset:64
	s_andn2_b32 vcc_lo, exec_lo, s5
	s_cbranch_vccnz .LBB454_6
.LBB454_5:
	v_mul_lo_u32 v5, v5, s14
	v_mul_lo_u32 v12, v2, s15
	v_mad_u64_u32 v[10:11], null, v2, s14, 0
	s_mul_i32 s5, s17, s8
	s_mul_hi_u32 s7, s16, s8
	s_mul_i32 s6, s16, s8
	s_add_i32 s7, s7, s5
	s_lshl_b64 s[6:7], s[6:7], 2
	v_add3_u32 v11, v11, v12, v5
	s_add_u32 s5, s12, s6
	s_addc_u32 s6, s13, s7
	v_mad_u64_u32 v[12:13], null, v2, s0, 0
	v_lshlrev_b64 v[10:11], 2, v[10:11]
	s_lshl_b64 s[0:1], s[0:1], 6
	v_add3_u32 v13, v13, v4, v3
	v_add_co_u32 v5, vcc_lo, s5, v10
	v_add_co_ci_u32_e64 v14, null, s6, v11, vcc_lo
	v_lshlrev_b64 v[2:3], 2, v[12:13]
	v_add_co_u32 v10, vcc_lo, v5, v0
	v_add_co_ci_u32_e64 v11, null, v14, v1, vcc_lo
	v_add_co_u32 v12, vcc_lo, s2, v2
	global_load_dword v15, v[10:11], off
	v_add_co_ci_u32_e64 v13, null, s3, v3, vcc_lo
	v_add_co_u32 v2, vcc_lo, v12, v0
	s_lshl_b64 s[2:3], s[14:15], 6
	v_add_co_ci_u32_e64 v3, null, v13, v1, vcc_lo
	s_waitcnt vmcnt(0)
	v_mul_f32_e32 v4, s9, v15
	v_fmac_f32_e32 v4, s4, v9
	global_store_dword v[2:3], v4, off
	global_load_dword v4, v[10:11], off offset:64
	s_waitcnt vmcnt(0)
	v_mul_f32_e32 v9, s9, v4
	v_add_co_u32 v4, vcc_lo, v5, s2
	v_add_co_ci_u32_e64 v5, null, s3, v14, vcc_lo
	v_fmac_f32_e32 v9, s4, v8
	v_add_co_u32 v4, vcc_lo, v4, v0
	v_add_co_ci_u32_e64 v5, null, v5, v1, vcc_lo
	global_store_dword v[2:3], v9, off offset:64
	v_add_co_u32 v3, vcc_lo, v12, s0
	global_load_dword v2, v[4:5], off
	v_add_co_ci_u32_e64 v8, null, s1, v13, vcc_lo
	v_add_co_u32 v0, vcc_lo, v3, v0
	v_add_co_ci_u32_e64 v1, null, v8, v1, vcc_lo
	s_waitcnt vmcnt(0)
	v_mul_f32_e32 v2, s9, v2
	v_fmac_f32_e32 v2, s4, v7
	global_store_dword v[0:1], v2, off
	global_load_dword v2, v[4:5], off offset:64
	s_waitcnt vmcnt(0)
	v_mul_f32_e32 v2, s9, v2
	v_fmac_f32_e32 v2, s4, v6
	global_store_dword v[0:1], v2, off offset:64
.LBB454_6:
	s_endpgm
.LBB454_7:
	s_branch .LBB454_5
	.section	.rodata,"a",@progbits
	.p2align	6, 0x0
	.amdhsa_kernel _ZN12_GLOBAL__N_127rocblas_gemm_batched_kernelIfLi16ELi16ELi32ELi32ELi8ELi32ELi8ELi8ELi32ELc78ELc78EK16rocblas_bfloat16KffEEvlllT_PT11_llS6_llS4_PT12_llPT13_lli
		.amdhsa_group_segment_fixed_size 2048
		.amdhsa_private_segment_fixed_size 0
		.amdhsa_kernarg_size 140
		.amdhsa_user_sgpr_count 6
		.amdhsa_user_sgpr_private_segment_buffer 1
		.amdhsa_user_sgpr_dispatch_ptr 0
		.amdhsa_user_sgpr_queue_ptr 0
		.amdhsa_user_sgpr_kernarg_segment_ptr 1
		.amdhsa_user_sgpr_dispatch_id 0
		.amdhsa_user_sgpr_flat_scratch_init 0
		.amdhsa_user_sgpr_private_segment_size 0
		.amdhsa_wavefront_size32 1
		.amdhsa_uses_dynamic_stack 0
		.amdhsa_system_sgpr_private_segment_wavefront_offset 0
		.amdhsa_system_sgpr_workgroup_id_x 1
		.amdhsa_system_sgpr_workgroup_id_y 1
		.amdhsa_system_sgpr_workgroup_id_z 1
		.amdhsa_system_sgpr_workgroup_info 0
		.amdhsa_system_vgpr_workitem_id 1
		.amdhsa_next_free_vgpr 46
		.amdhsa_next_free_sgpr 22
		.amdhsa_reserve_vcc 1
		.amdhsa_reserve_flat_scratch 0
		.amdhsa_float_round_mode_32 0
		.amdhsa_float_round_mode_16_64 0
		.amdhsa_float_denorm_mode_32 3
		.amdhsa_float_denorm_mode_16_64 3
		.amdhsa_dx10_clamp 1
		.amdhsa_ieee_mode 1
		.amdhsa_fp16_overflow 0
		.amdhsa_workgroup_processor_mode 1
		.amdhsa_memory_ordered 1
		.amdhsa_forward_progress 1
		.amdhsa_shared_vgpr_count 0
		.amdhsa_exception_fp_ieee_invalid_op 0
		.amdhsa_exception_fp_denorm_src 0
		.amdhsa_exception_fp_ieee_div_zero 0
		.amdhsa_exception_fp_ieee_overflow 0
		.amdhsa_exception_fp_ieee_underflow 0
		.amdhsa_exception_fp_ieee_inexact 0
		.amdhsa_exception_int_div_zero 0
	.end_amdhsa_kernel
	.section	.text._ZN12_GLOBAL__N_127rocblas_gemm_batched_kernelIfLi16ELi16ELi32ELi32ELi8ELi32ELi8ELi8ELi32ELc78ELc78EK16rocblas_bfloat16KffEEvlllT_PT11_llS6_llS4_PT12_llPT13_lli,"axG",@progbits,_ZN12_GLOBAL__N_127rocblas_gemm_batched_kernelIfLi16ELi16ELi32ELi32ELi8ELi32ELi8ELi8ELi32ELc78ELc78EK16rocblas_bfloat16KffEEvlllT_PT11_llS6_llS4_PT12_llPT13_lli,comdat
.Lfunc_end454:
	.size	_ZN12_GLOBAL__N_127rocblas_gemm_batched_kernelIfLi16ELi16ELi32ELi32ELi8ELi32ELi8ELi8ELi32ELc78ELc78EK16rocblas_bfloat16KffEEvlllT_PT11_llS6_llS4_PT12_llPT13_lli, .Lfunc_end454-_ZN12_GLOBAL__N_127rocblas_gemm_batched_kernelIfLi16ELi16ELi32ELi32ELi8ELi32ELi8ELi8ELi32ELc78ELc78EK16rocblas_bfloat16KffEEvlllT_PT11_llS6_llS4_PT12_llPT13_lli
                                        ; -- End function
	.set _ZN12_GLOBAL__N_127rocblas_gemm_batched_kernelIfLi16ELi16ELi32ELi32ELi8ELi32ELi8ELi8ELi32ELc78ELc78EK16rocblas_bfloat16KffEEvlllT_PT11_llS6_llS4_PT12_llPT13_lli.num_vgpr, 46
	.set _ZN12_GLOBAL__N_127rocblas_gemm_batched_kernelIfLi16ELi16ELi32ELi32ELi8ELi32ELi8ELi8ELi32ELc78ELc78EK16rocblas_bfloat16KffEEvlllT_PT11_llS6_llS4_PT12_llPT13_lli.num_agpr, 0
	.set _ZN12_GLOBAL__N_127rocblas_gemm_batched_kernelIfLi16ELi16ELi32ELi32ELi8ELi32ELi8ELi8ELi32ELc78ELc78EK16rocblas_bfloat16KffEEvlllT_PT11_llS6_llS4_PT12_llPT13_lli.numbered_sgpr, 22
	.set _ZN12_GLOBAL__N_127rocblas_gemm_batched_kernelIfLi16ELi16ELi32ELi32ELi8ELi32ELi8ELi8ELi32ELc78ELc78EK16rocblas_bfloat16KffEEvlllT_PT11_llS6_llS4_PT12_llPT13_lli.num_named_barrier, 0
	.set _ZN12_GLOBAL__N_127rocblas_gemm_batched_kernelIfLi16ELi16ELi32ELi32ELi8ELi32ELi8ELi8ELi32ELc78ELc78EK16rocblas_bfloat16KffEEvlllT_PT11_llS6_llS4_PT12_llPT13_lli.private_seg_size, 0
	.set _ZN12_GLOBAL__N_127rocblas_gemm_batched_kernelIfLi16ELi16ELi32ELi32ELi8ELi32ELi8ELi8ELi32ELc78ELc78EK16rocblas_bfloat16KffEEvlllT_PT11_llS6_llS4_PT12_llPT13_lli.uses_vcc, 1
	.set _ZN12_GLOBAL__N_127rocblas_gemm_batched_kernelIfLi16ELi16ELi32ELi32ELi8ELi32ELi8ELi8ELi32ELc78ELc78EK16rocblas_bfloat16KffEEvlllT_PT11_llS6_llS4_PT12_llPT13_lli.uses_flat_scratch, 0
	.set _ZN12_GLOBAL__N_127rocblas_gemm_batched_kernelIfLi16ELi16ELi32ELi32ELi8ELi32ELi8ELi8ELi32ELc78ELc78EK16rocblas_bfloat16KffEEvlllT_PT11_llS6_llS4_PT12_llPT13_lli.has_dyn_sized_stack, 0
	.set _ZN12_GLOBAL__N_127rocblas_gemm_batched_kernelIfLi16ELi16ELi32ELi32ELi8ELi32ELi8ELi8ELi32ELc78ELc78EK16rocblas_bfloat16KffEEvlllT_PT11_llS6_llS4_PT12_llPT13_lli.has_recursion, 0
	.set _ZN12_GLOBAL__N_127rocblas_gemm_batched_kernelIfLi16ELi16ELi32ELi32ELi8ELi32ELi8ELi8ELi32ELc78ELc78EK16rocblas_bfloat16KffEEvlllT_PT11_llS6_llS4_PT12_llPT13_lli.has_indirect_call, 0
	.section	.AMDGPU.csdata,"",@progbits
; Kernel info:
; codeLenInByte = 1392
; TotalNumSgprs: 24
; NumVgprs: 46
; ScratchSize: 0
; MemoryBound: 0
; FloatMode: 240
; IeeeMode: 1
; LDSByteSize: 2048 bytes/workgroup (compile time only)
; SGPRBlocks: 0
; VGPRBlocks: 5
; NumSGPRsForWavesPerEU: 24
; NumVGPRsForWavesPerEU: 46
; Occupancy: 16
; WaveLimiterHint : 0
; COMPUTE_PGM_RSRC2:SCRATCH_EN: 0
; COMPUTE_PGM_RSRC2:USER_SGPR: 6
; COMPUTE_PGM_RSRC2:TRAP_HANDLER: 0
; COMPUTE_PGM_RSRC2:TGID_X_EN: 1
; COMPUTE_PGM_RSRC2:TGID_Y_EN: 1
; COMPUTE_PGM_RSRC2:TGID_Z_EN: 1
; COMPUTE_PGM_RSRC2:TIDIG_COMP_CNT: 1
	.section	.text._ZN12_GLOBAL__N_127rocblas_gemm_batched_kernelIfLi16ELi16ELi32ELi32ELi8ELi32ELi8ELi8ELi32ELc84ELc78EK16rocblas_bfloat16KffEEvlllT_PT11_llS6_llS4_PT12_llPT13_lli,"axG",@progbits,_ZN12_GLOBAL__N_127rocblas_gemm_batched_kernelIfLi16ELi16ELi32ELi32ELi8ELi32ELi8ELi8ELi32ELc84ELc78EK16rocblas_bfloat16KffEEvlllT_PT11_llS6_llS4_PT12_llPT13_lli,comdat
	.globl	_ZN12_GLOBAL__N_127rocblas_gemm_batched_kernelIfLi16ELi16ELi32ELi32ELi8ELi32ELi8ELi8ELi32ELc84ELc78EK16rocblas_bfloat16KffEEvlllT_PT11_llS6_llS4_PT12_llPT13_lli ; -- Begin function _ZN12_GLOBAL__N_127rocblas_gemm_batched_kernelIfLi16ELi16ELi32ELi32ELi8ELi32ELi8ELi8ELi32ELc84ELc78EK16rocblas_bfloat16KffEEvlllT_PT11_llS6_llS4_PT12_llPT13_lli
	.p2align	8
	.type	_ZN12_GLOBAL__N_127rocblas_gemm_batched_kernelIfLi16ELi16ELi32ELi32ELi8ELi32ELi8ELi8ELi32ELc84ELc78EK16rocblas_bfloat16KffEEvlllT_PT11_llS6_llS4_PT12_llPT13_lli,@function
_ZN12_GLOBAL__N_127rocblas_gemm_batched_kernelIfLi16ELi16ELi32ELi32ELi8ELi32ELi8ELi8ELi32ELc84ELc78EK16rocblas_bfloat16KffEEvlllT_PT11_llS6_llS4_PT12_llPT13_lli: ; @_ZN12_GLOBAL__N_127rocblas_gemm_batched_kernelIfLi16ELi16ELi32ELi32ELi8ELi32ELi8ELi8ELi32ELc84ELc78EK16rocblas_bfloat16KffEEvlllT_PT11_llS6_llS4_PT12_llPT13_lli
; %bb.0:
	s_load_dwordx2 s[20:21], s[4:5], 0x10
	s_mov_b32 s0, s7
	v_mov_b32_e32 v9, 0
	v_mov_b32_e32 v8, 0
	;; [unrolled: 1-line block ×4, first 2 shown]
	s_ashr_i32 s7, s6, 31
	s_ashr_i32 s1, s0, 31
	s_lshl_b64 s[6:7], s[6:7], 5
	s_lshl_b64 s[10:11], s[0:1], 5
	s_waitcnt lgkmcnt(0)
	v_cmp_lt_i64_e64 s2, s[20:21], 1
	s_and_b32 vcc_lo, exec_lo, s2
	s_cbranch_vccnz .LBB455_3
; %bb.1:
	s_load_dwordx4 s[0:3], s[4:5], 0x40
	v_lshl_add_u32 v2, v1, 4, v0
	s_load_dwordx8 s[12:19], s[4:5], 0x20
	v_and_b32_e32 v7, 7, v0
	v_mov_b32_e32 v6, 0
	v_lshlrev_b32_e32 v10, 2, v0
	v_lshrrev_b32_e32 v3, 3, v2
	v_and_b32_e32 v4, 31, v2
	v_lshlrev_b32_e32 v5, 2, v7
	v_lshrrev_b32_e32 v14, 5, v2
	v_add_co_u32 v8, s9, v3, s10
	v_add_co_ci_u32_e64 v9, null, 0, s11, s9
	v_lshl_or_b32 v5, v3, 5, v5
	v_lshlrev_b32_e32 v11, 2, v4
	v_add_nc_u32_e32 v12, 0x400, v5
	s_waitcnt lgkmcnt(0)
	v_mul_lo_u32 v13, s1, v8
	v_mul_lo_u32 v9, s0, v9
	v_mad_u64_u32 v[2:3], null, s0, v8, 0
	v_add_co_u32 v4, s0, s6, v4
	v_add_co_ci_u32_e64 v8, null, s7, 0, s0
	s_mul_i32 s0, s3, s8
	v_mul_lo_u32 v15, s15, v4
	v_add3_u32 v3, v3, v9, v13
	v_mul_lo_u32 v8, s14, v8
	v_mad_u64_u32 v[4:5], null, s14, v4, 0
	s_mul_hi_u32 s1, s2, s8
	v_lshlrev_b64 v[2:3], 1, v[2:3]
	s_add_i32 s1, s1, s0
	s_mul_i32 s0, s2, s8
	v_lshl_or_b32 v11, v14, 7, v11
	s_lshl_b64 s[0:1], s[0:1], 1
	v_add3_u32 v5, v5, v8, v15
	v_add_co_u32 v8, vcc_lo, v2, s0
	v_add_co_ci_u32_e64 v9, null, s1, v3, vcc_lo
	s_mul_i32 s0, s17, s8
	s_mul_hi_u32 s1, s16, s8
	v_lshlrev_b64 v[2:3], 1, v[4:5]
	s_add_i32 s1, s1, s0
	s_mul_i32 s0, s16, s8
	v_lshlrev_b32_e32 v4, 1, v7
	s_lshl_b64 s[0:1], s[0:1], 1
	v_lshlrev_b32_e32 v5, 1, v14
	v_add_co_u32 v2, vcc_lo, v2, s0
	v_add_co_ci_u32_e64 v3, null, s1, v3, vcc_lo
	v_add_co_u32 v4, vcc_lo, v8, v4
	v_add_co_ci_u32_e64 v7, null, 0, v9, vcc_lo
	;; [unrolled: 2-line block ×4, first 2 shown]
	v_add_co_u32 v4, vcc_lo, s12, v5
	v_lshl_add_u32 v13, v1, 5, 0x400
	v_add_co_ci_u32_e64 v5, null, s13, v8, vcc_lo
	v_mov_b32_e32 v7, 0
	v_mov_b32_e32 v8, 0
	;; [unrolled: 1-line block ×3, first 2 shown]
	s_mov_b64 s[0:1], 0
.LBB455_2:                              ; =>This Inner Loop Header: Depth=1
	global_load_ushort v14, v[4:5], off
	global_load_ushort v15, v[2:3], off
	s_add_u32 s0, s0, 8
	s_addc_u32 s1, s1, 0
	v_add_co_u32 v2, vcc_lo, v2, 16
	v_cmp_lt_i64_e64 s2, s[0:1], s[20:21]
	v_add_co_ci_u32_e64 v3, null, 0, v3, vcc_lo
	v_add_co_u32 v4, vcc_lo, v4, 16
	v_add_co_ci_u32_e64 v5, null, 0, v5, vcc_lo
	s_and_b32 vcc_lo, exec_lo, s2
	s_waitcnt vmcnt(1)
	v_lshlrev_b32_e32 v14, 16, v14
	s_waitcnt vmcnt(0)
	v_lshlrev_b32_e32 v15, 16, v15
	ds_write_b32 v11, v14
	ds_write_b32 v12, v15
	s_waitcnt lgkmcnt(0)
	s_barrier
	buffer_gl0_inv
	ds_read_b128 v[14:17], v13
	ds_read2_b32 v[30:31], v10 offset1:16
	ds_read_b128 v[18:21], v13 offset:512
	ds_read2_b32 v[32:33], v10 offset0:32 offset1:48
	ds_read2_b32 v[34:35], v10 offset0:64 offset1:80
	ds_read_b128 v[22:25], v13 offset:16
	ds_read2_b32 v[36:37], v10 offset0:96 offset1:112
	ds_read2_b32 v[38:39], v10 offset0:128 offset1:144
	;; [unrolled: 3-line block ×3, first 2 shown]
	ds_read2_b32 v[44:45], v10 offset0:224 offset1:240
	s_waitcnt lgkmcnt(0)
	s_barrier
	buffer_gl0_inv
	v_fmac_f32_e32 v9, v30, v14
	v_fmac_f32_e32 v8, v31, v14
	v_fmac_f32_e32 v7, v30, v18
	v_fmac_f32_e32 v6, v31, v18
	v_fmac_f32_e32 v9, v32, v15
	v_fmac_f32_e32 v8, v33, v15
	v_fmac_f32_e32 v7, v32, v19
	v_fmac_f32_e32 v6, v33, v19
	v_fmac_f32_e32 v9, v34, v16
	v_fmac_f32_e32 v8, v35, v16
	v_fmac_f32_e32 v7, v34, v20
	v_fmac_f32_e32 v6, v35, v20
	v_fmac_f32_e32 v9, v36, v17
	v_fmac_f32_e32 v8, v37, v17
	v_fmac_f32_e32 v7, v36, v21
	v_fmac_f32_e32 v6, v37, v21
	v_fmac_f32_e32 v9, v38, v22
	v_fmac_f32_e32 v8, v39, v22
	v_fmac_f32_e32 v7, v38, v26
	v_fmac_f32_e32 v6, v39, v26
	v_fmac_f32_e32 v9, v40, v23
	v_fmac_f32_e32 v8, v41, v23
	v_fmac_f32_e32 v7, v40, v27
	v_fmac_f32_e32 v6, v41, v27
	v_fmac_f32_e32 v9, v42, v24
	v_fmac_f32_e32 v8, v43, v24
	v_fmac_f32_e32 v7, v42, v28
	v_fmac_f32_e32 v6, v43, v28
	v_fmac_f32_e32 v9, v44, v25
	v_fmac_f32_e32 v8, v45, v25
	v_fmac_f32_e32 v7, v44, v29
	v_fmac_f32_e32 v6, v45, v29
	s_cbranch_vccnz .LBB455_2
.LBB455_3:
	s_clause 0x3
	s_load_dwordx4 s[0:3], s[4:5], 0x78
	s_load_dword s9, s[4:5], 0x50
	s_load_dwordx8 s[12:19], s[4:5], 0x58
	s_load_dword s4, s[4:5], 0x18
	v_add_co_u32 v3, s5, s6, v0
	v_add_co_ci_u32_e64 v4, null, s7, 0, s5
	v_add_co_u32 v2, s5, s10, v1
	v_add_co_ci_u32_e64 v5, null, s11, 0, s5
	v_lshlrev_b64 v[0:1], 2, v[3:4]
	s_waitcnt lgkmcnt(0)
	s_mul_i32 s3, s3, s8
	s_mul_hi_u32 s5, s2, s8
	v_mul_lo_u32 v3, v5, s0
	v_mul_lo_u32 v4, v2, s1
	s_mul_i32 s2, s2, s8
	v_cmp_neq_f32_e64 s6, s9, 0
	s_add_i32 s3, s5, s3
	s_mov_b32 s5, 0
	s_lshl_b64 s[2:3], s[2:3], 2
	s_add_u32 s2, s18, s2
	s_addc_u32 s3, s19, s3
	s_and_b32 vcc_lo, exec_lo, s6
	s_cbranch_vccnz .LBB455_7
; %bb.4:
	v_mad_u64_u32 v[10:11], null, v2, s0, 0
	s_lshl_b64 s[6:7], s[0:1], 6
	v_mul_f32_e32 v14, s4, v9
	v_mul_f32_e32 v15, s4, v8
	;; [unrolled: 1-line block ×4, first 2 shown]
	v_add3_u32 v11, v11, v4, v3
	v_lshlrev_b64 v[10:11], 2, v[10:11]
	v_add_co_u32 v10, vcc_lo, s2, v10
	v_add_co_ci_u32_e64 v11, null, s3, v11, vcc_lo
	v_add_co_u32 v12, vcc_lo, v10, s6
	v_add_co_ci_u32_e64 v13, null, s7, v11, vcc_lo
	;; [unrolled: 2-line block ×4, first 2 shown]
	global_store_dword v[10:11], v14, off
	global_store_dword v[10:11], v15, off offset:64
	global_store_dword v[12:13], v16, off
	global_store_dword v[12:13], v17, off offset:64
	s_andn2_b32 vcc_lo, exec_lo, s5
	s_cbranch_vccnz .LBB455_6
.LBB455_5:
	v_mul_lo_u32 v5, v5, s14
	v_mul_lo_u32 v12, v2, s15
	v_mad_u64_u32 v[10:11], null, v2, s14, 0
	s_mul_i32 s5, s17, s8
	s_mul_hi_u32 s7, s16, s8
	s_mul_i32 s6, s16, s8
	s_add_i32 s7, s7, s5
	s_lshl_b64 s[6:7], s[6:7], 2
	v_add3_u32 v11, v11, v12, v5
	s_add_u32 s5, s12, s6
	s_addc_u32 s6, s13, s7
	v_mad_u64_u32 v[12:13], null, v2, s0, 0
	v_lshlrev_b64 v[10:11], 2, v[10:11]
	s_lshl_b64 s[0:1], s[0:1], 6
	v_add3_u32 v13, v13, v4, v3
	v_add_co_u32 v5, vcc_lo, s5, v10
	v_add_co_ci_u32_e64 v14, null, s6, v11, vcc_lo
	v_lshlrev_b64 v[2:3], 2, v[12:13]
	v_add_co_u32 v10, vcc_lo, v5, v0
	v_add_co_ci_u32_e64 v11, null, v14, v1, vcc_lo
	v_add_co_u32 v12, vcc_lo, s2, v2
	global_load_dword v15, v[10:11], off
	v_add_co_ci_u32_e64 v13, null, s3, v3, vcc_lo
	v_add_co_u32 v2, vcc_lo, v12, v0
	s_lshl_b64 s[2:3], s[14:15], 6
	v_add_co_ci_u32_e64 v3, null, v13, v1, vcc_lo
	s_waitcnt vmcnt(0)
	v_mul_f32_e32 v4, s9, v15
	v_fmac_f32_e32 v4, s4, v9
	global_store_dword v[2:3], v4, off
	global_load_dword v4, v[10:11], off offset:64
	s_waitcnt vmcnt(0)
	v_mul_f32_e32 v9, s9, v4
	v_add_co_u32 v4, vcc_lo, v5, s2
	v_add_co_ci_u32_e64 v5, null, s3, v14, vcc_lo
	v_fmac_f32_e32 v9, s4, v8
	v_add_co_u32 v4, vcc_lo, v4, v0
	v_add_co_ci_u32_e64 v5, null, v5, v1, vcc_lo
	global_store_dword v[2:3], v9, off offset:64
	v_add_co_u32 v3, vcc_lo, v12, s0
	global_load_dword v2, v[4:5], off
	v_add_co_ci_u32_e64 v8, null, s1, v13, vcc_lo
	v_add_co_u32 v0, vcc_lo, v3, v0
	v_add_co_ci_u32_e64 v1, null, v8, v1, vcc_lo
	s_waitcnt vmcnt(0)
	v_mul_f32_e32 v2, s9, v2
	v_fmac_f32_e32 v2, s4, v7
	global_store_dword v[0:1], v2, off
	global_load_dword v2, v[4:5], off offset:64
	s_waitcnt vmcnt(0)
	v_mul_f32_e32 v2, s9, v2
	v_fmac_f32_e32 v2, s4, v6
	global_store_dword v[0:1], v2, off offset:64
.LBB455_6:
	s_endpgm
.LBB455_7:
	s_branch .LBB455_5
	.section	.rodata,"a",@progbits
	.p2align	6, 0x0
	.amdhsa_kernel _ZN12_GLOBAL__N_127rocblas_gemm_batched_kernelIfLi16ELi16ELi32ELi32ELi8ELi32ELi8ELi8ELi32ELc84ELc78EK16rocblas_bfloat16KffEEvlllT_PT11_llS6_llS4_PT12_llPT13_lli
		.amdhsa_group_segment_fixed_size 2048
		.amdhsa_private_segment_fixed_size 0
		.amdhsa_kernarg_size 140
		.amdhsa_user_sgpr_count 6
		.amdhsa_user_sgpr_private_segment_buffer 1
		.amdhsa_user_sgpr_dispatch_ptr 0
		.amdhsa_user_sgpr_queue_ptr 0
		.amdhsa_user_sgpr_kernarg_segment_ptr 1
		.amdhsa_user_sgpr_dispatch_id 0
		.amdhsa_user_sgpr_flat_scratch_init 0
		.amdhsa_user_sgpr_private_segment_size 0
		.amdhsa_wavefront_size32 1
		.amdhsa_uses_dynamic_stack 0
		.amdhsa_system_sgpr_private_segment_wavefront_offset 0
		.amdhsa_system_sgpr_workgroup_id_x 1
		.amdhsa_system_sgpr_workgroup_id_y 1
		.amdhsa_system_sgpr_workgroup_id_z 1
		.amdhsa_system_sgpr_workgroup_info 0
		.amdhsa_system_vgpr_workitem_id 1
		.amdhsa_next_free_vgpr 46
		.amdhsa_next_free_sgpr 22
		.amdhsa_reserve_vcc 1
		.amdhsa_reserve_flat_scratch 0
		.amdhsa_float_round_mode_32 0
		.amdhsa_float_round_mode_16_64 0
		.amdhsa_float_denorm_mode_32 3
		.amdhsa_float_denorm_mode_16_64 3
		.amdhsa_dx10_clamp 1
		.amdhsa_ieee_mode 1
		.amdhsa_fp16_overflow 0
		.amdhsa_workgroup_processor_mode 1
		.amdhsa_memory_ordered 1
		.amdhsa_forward_progress 1
		.amdhsa_shared_vgpr_count 0
		.amdhsa_exception_fp_ieee_invalid_op 0
		.amdhsa_exception_fp_denorm_src 0
		.amdhsa_exception_fp_ieee_div_zero 0
		.amdhsa_exception_fp_ieee_overflow 0
		.amdhsa_exception_fp_ieee_underflow 0
		.amdhsa_exception_fp_ieee_inexact 0
		.amdhsa_exception_int_div_zero 0
	.end_amdhsa_kernel
	.section	.text._ZN12_GLOBAL__N_127rocblas_gemm_batched_kernelIfLi16ELi16ELi32ELi32ELi8ELi32ELi8ELi8ELi32ELc84ELc78EK16rocblas_bfloat16KffEEvlllT_PT11_llS6_llS4_PT12_llPT13_lli,"axG",@progbits,_ZN12_GLOBAL__N_127rocblas_gemm_batched_kernelIfLi16ELi16ELi32ELi32ELi8ELi32ELi8ELi8ELi32ELc84ELc78EK16rocblas_bfloat16KffEEvlllT_PT11_llS6_llS4_PT12_llPT13_lli,comdat
.Lfunc_end455:
	.size	_ZN12_GLOBAL__N_127rocblas_gemm_batched_kernelIfLi16ELi16ELi32ELi32ELi8ELi32ELi8ELi8ELi32ELc84ELc78EK16rocblas_bfloat16KffEEvlllT_PT11_llS6_llS4_PT12_llPT13_lli, .Lfunc_end455-_ZN12_GLOBAL__N_127rocblas_gemm_batched_kernelIfLi16ELi16ELi32ELi32ELi8ELi32ELi8ELi8ELi32ELc84ELc78EK16rocblas_bfloat16KffEEvlllT_PT11_llS6_llS4_PT12_llPT13_lli
                                        ; -- End function
	.set _ZN12_GLOBAL__N_127rocblas_gemm_batched_kernelIfLi16ELi16ELi32ELi32ELi8ELi32ELi8ELi8ELi32ELc84ELc78EK16rocblas_bfloat16KffEEvlllT_PT11_llS6_llS4_PT12_llPT13_lli.num_vgpr, 46
	.set _ZN12_GLOBAL__N_127rocblas_gemm_batched_kernelIfLi16ELi16ELi32ELi32ELi8ELi32ELi8ELi8ELi32ELc84ELc78EK16rocblas_bfloat16KffEEvlllT_PT11_llS6_llS4_PT12_llPT13_lli.num_agpr, 0
	.set _ZN12_GLOBAL__N_127rocblas_gemm_batched_kernelIfLi16ELi16ELi32ELi32ELi8ELi32ELi8ELi8ELi32ELc84ELc78EK16rocblas_bfloat16KffEEvlllT_PT11_llS6_llS4_PT12_llPT13_lli.numbered_sgpr, 22
	.set _ZN12_GLOBAL__N_127rocblas_gemm_batched_kernelIfLi16ELi16ELi32ELi32ELi8ELi32ELi8ELi8ELi32ELc84ELc78EK16rocblas_bfloat16KffEEvlllT_PT11_llS6_llS4_PT12_llPT13_lli.num_named_barrier, 0
	.set _ZN12_GLOBAL__N_127rocblas_gemm_batched_kernelIfLi16ELi16ELi32ELi32ELi8ELi32ELi8ELi8ELi32ELc84ELc78EK16rocblas_bfloat16KffEEvlllT_PT11_llS6_llS4_PT12_llPT13_lli.private_seg_size, 0
	.set _ZN12_GLOBAL__N_127rocblas_gemm_batched_kernelIfLi16ELi16ELi32ELi32ELi8ELi32ELi8ELi8ELi32ELc84ELc78EK16rocblas_bfloat16KffEEvlllT_PT11_llS6_llS4_PT12_llPT13_lli.uses_vcc, 1
	.set _ZN12_GLOBAL__N_127rocblas_gemm_batched_kernelIfLi16ELi16ELi32ELi32ELi8ELi32ELi8ELi8ELi32ELc84ELc78EK16rocblas_bfloat16KffEEvlllT_PT11_llS6_llS4_PT12_llPT13_lli.uses_flat_scratch, 0
	.set _ZN12_GLOBAL__N_127rocblas_gemm_batched_kernelIfLi16ELi16ELi32ELi32ELi8ELi32ELi8ELi8ELi32ELc84ELc78EK16rocblas_bfloat16KffEEvlllT_PT11_llS6_llS4_PT12_llPT13_lli.has_dyn_sized_stack, 0
	.set _ZN12_GLOBAL__N_127rocblas_gemm_batched_kernelIfLi16ELi16ELi32ELi32ELi8ELi32ELi8ELi8ELi32ELc84ELc78EK16rocblas_bfloat16KffEEvlllT_PT11_llS6_llS4_PT12_llPT13_lli.has_recursion, 0
	.set _ZN12_GLOBAL__N_127rocblas_gemm_batched_kernelIfLi16ELi16ELi32ELi32ELi8ELi32ELi8ELi8ELi32ELc84ELc78EK16rocblas_bfloat16KffEEvlllT_PT11_llS6_llS4_PT12_llPT13_lli.has_indirect_call, 0
	.section	.AMDGPU.csdata,"",@progbits
; Kernel info:
; codeLenInByte = 1432
; TotalNumSgprs: 24
; NumVgprs: 46
; ScratchSize: 0
; MemoryBound: 0
; FloatMode: 240
; IeeeMode: 1
; LDSByteSize: 2048 bytes/workgroup (compile time only)
; SGPRBlocks: 0
; VGPRBlocks: 5
; NumSGPRsForWavesPerEU: 24
; NumVGPRsForWavesPerEU: 46
; Occupancy: 16
; WaveLimiterHint : 0
; COMPUTE_PGM_RSRC2:SCRATCH_EN: 0
; COMPUTE_PGM_RSRC2:USER_SGPR: 6
; COMPUTE_PGM_RSRC2:TRAP_HANDLER: 0
; COMPUTE_PGM_RSRC2:TGID_X_EN: 1
; COMPUTE_PGM_RSRC2:TGID_Y_EN: 1
; COMPUTE_PGM_RSRC2:TGID_Z_EN: 1
; COMPUTE_PGM_RSRC2:TIDIG_COMP_CNT: 1
	.section	.text._ZN12_GLOBAL__N_127rocblas_gemm_batched_kernelIfLi16ELi16ELi32ELi32ELi8ELi32ELi8ELi8ELi32ELc78ELc84EK16rocblas_bfloat16KffEEvlllT_PT11_llS6_llS4_PT12_llPT13_lli,"axG",@progbits,_ZN12_GLOBAL__N_127rocblas_gemm_batched_kernelIfLi16ELi16ELi32ELi32ELi8ELi32ELi8ELi8ELi32ELc78ELc84EK16rocblas_bfloat16KffEEvlllT_PT11_llS6_llS4_PT12_llPT13_lli,comdat
	.globl	_ZN12_GLOBAL__N_127rocblas_gemm_batched_kernelIfLi16ELi16ELi32ELi32ELi8ELi32ELi8ELi8ELi32ELc78ELc84EK16rocblas_bfloat16KffEEvlllT_PT11_llS6_llS4_PT12_llPT13_lli ; -- Begin function _ZN12_GLOBAL__N_127rocblas_gemm_batched_kernelIfLi16ELi16ELi32ELi32ELi8ELi32ELi8ELi8ELi32ELc78ELc84EK16rocblas_bfloat16KffEEvlllT_PT11_llS6_llS4_PT12_llPT13_lli
	.p2align	8
	.type	_ZN12_GLOBAL__N_127rocblas_gemm_batched_kernelIfLi16ELi16ELi32ELi32ELi8ELi32ELi8ELi8ELi32ELc78ELc84EK16rocblas_bfloat16KffEEvlllT_PT11_llS6_llS4_PT12_llPT13_lli,@function
_ZN12_GLOBAL__N_127rocblas_gemm_batched_kernelIfLi16ELi16ELi32ELi32ELi8ELi32ELi8ELi8ELi32ELc78ELc84EK16rocblas_bfloat16KffEEvlllT_PT11_llS6_llS4_PT12_llPT13_lli: ; @_ZN12_GLOBAL__N_127rocblas_gemm_batched_kernelIfLi16ELi16ELi32ELi32ELi8ELi32ELi8ELi8ELi32ELc78ELc84EK16rocblas_bfloat16KffEEvlllT_PT11_llS6_llS4_PT12_llPT13_lli
; %bb.0:
	s_load_dwordx2 s[20:21], s[4:5], 0x10
	s_mov_b32 s0, s7
	v_mov_b32_e32 v9, 0
	v_mov_b32_e32 v8, 0
	;; [unrolled: 1-line block ×4, first 2 shown]
	s_ashr_i32 s7, s6, 31
	s_ashr_i32 s1, s0, 31
	s_lshl_b64 s[6:7], s[6:7], 5
	s_lshl_b64 s[10:11], s[0:1], 5
	s_waitcnt lgkmcnt(0)
	v_cmp_lt_i64_e64 s2, s[20:21], 1
	s_and_b32 vcc_lo, exec_lo, s2
	s_cbranch_vccnz .LBB456_3
; %bb.1:
	s_clause 0x1
	s_load_dwordx4 s[0:3], s[4:5], 0x40
	s_load_dwordx8 s[12:19], s[4:5], 0x20
	v_lshl_add_u32 v3, v1, 4, v0
	v_and_b32_e32 v8, 7, v0
	v_lshlrev_b32_e32 v10, 2, v0
	v_lshl_add_u32 v11, v1, 5, 0x400
	v_lshrrev_b32_e32 v2, 3, v3
	v_and_b32_e32 v14, 31, v3
	v_lshlrev_b32_e32 v4, 2, v8
	v_lshrrev_b32_e32 v9, 5, v3
	v_mov_b32_e32 v3, 0
	v_lshlrev_b32_e32 v5, 2, v14
	v_lshl_or_b32 v4, v2, 5, v4
	v_lshl_or_b32 v12, v9, 7, v5
	v_add_nc_u32_e32 v13, 0x400, v4
	s_waitcnt lgkmcnt(0)
	v_mad_u64_u32 v[4:5], null, s0, v8, v[2:3]
	v_mad_u64_u32 v[6:7], null, s14, v9, s[6:7]
	s_mul_i32 s3, s3, s8
	s_mul_hi_u32 s9, s2, s8
	s_mul_i32 s2, s2, s8
	s_add_i32 s3, s9, s3
	v_mov_b32_e32 v2, v5
	v_add_co_u32 v4, vcc_lo, v4, s10
	v_mov_b32_e32 v5, v7
	s_lshl_b64 s[2:3], s[2:3], 1
	v_mad_u64_u32 v[7:8], null, s1, v8, v[2:3]
	s_mul_i32 s17, s17, s8
	v_mad_u64_u32 v[8:9], null, s15, v9, v[5:6]
	s_mul_hi_u32 s9, s16, s8
	s_add_u32 s18, s18, s2
	s_mul_i32 s16, s16, s8
	v_add_co_ci_u32_e64 v5, null, s11, v7, vcc_lo
	v_add_co_u32 v6, vcc_lo, v6, v14
	v_add_co_ci_u32_e64 v7, null, 0, v8, vcc_lo
	v_lshlrev_b64 v[4:5], 1, v[4:5]
	s_addc_u32 s19, s19, s3
	s_add_i32 s17, s9, s17
	v_lshlrev_b64 v[6:7], 1, v[6:7]
	s_lshl_b64 s[2:3], s[16:17], 1
	s_lshl_b64 s[0:1], s[0:1], 4
	s_add_u32 s2, s12, s2
	v_add_co_u32 v4, vcc_lo, s18, v4
	v_add_co_ci_u32_e64 v5, null, s19, v5, vcc_lo
	s_addc_u32 s3, s13, s3
	v_add_co_u32 v6, vcc_lo, s2, v6
	v_add_co_ci_u32_e64 v7, null, s3, v7, vcc_lo
	v_mov_b32_e32 v2, v3
	v_mov_b32_e32 v8, v3
	;; [unrolled: 1-line block ×3, first 2 shown]
	s_lshl_b64 s[2:3], s[14:15], 4
	s_mov_b64 s[12:13], 0
.LBB456_2:                              ; =>This Inner Loop Header: Depth=1
	global_load_ushort v14, v[6:7], off
	global_load_ushort v15, v[4:5], off
	s_add_u32 s12, s12, 8
	s_addc_u32 s13, s13, 0
	v_add_co_u32 v4, vcc_lo, v4, s0
	v_cmp_lt_i64_e64 s9, s[12:13], s[20:21]
	v_add_co_ci_u32_e64 v5, null, s1, v5, vcc_lo
	v_add_co_u32 v6, vcc_lo, v6, s2
	v_add_co_ci_u32_e64 v7, null, s3, v7, vcc_lo
	s_and_b32 vcc_lo, exec_lo, s9
	s_waitcnt vmcnt(1)
	v_lshlrev_b32_e32 v14, 16, v14
	s_waitcnt vmcnt(0)
	v_lshlrev_b32_e32 v15, 16, v15
	ds_write_b32 v12, v14
	ds_write_b32 v13, v15
	s_waitcnt lgkmcnt(0)
	s_barrier
	buffer_gl0_inv
	ds_read_b128 v[14:17], v11
	ds_read2_b32 v[30:31], v10 offset1:16
	ds_read_b128 v[18:21], v11 offset:512
	ds_read2_b32 v[32:33], v10 offset0:32 offset1:48
	ds_read2_b32 v[34:35], v10 offset0:64 offset1:80
	ds_read_b128 v[22:25], v11 offset:16
	ds_read2_b32 v[36:37], v10 offset0:96 offset1:112
	ds_read2_b32 v[38:39], v10 offset0:128 offset1:144
	;; [unrolled: 3-line block ×3, first 2 shown]
	ds_read2_b32 v[44:45], v10 offset0:224 offset1:240
	s_waitcnt lgkmcnt(0)
	s_barrier
	buffer_gl0_inv
	v_fmac_f32_e32 v9, v30, v14
	v_fmac_f32_e32 v8, v31, v14
	;; [unrolled: 1-line block ×32, first 2 shown]
	s_cbranch_vccnz .LBB456_2
.LBB456_3:
	s_clause 0x3
	s_load_dwordx4 s[0:3], s[4:5], 0x78
	s_load_dword s9, s[4:5], 0x50
	s_load_dwordx8 s[12:19], s[4:5], 0x58
	s_load_dword s4, s[4:5], 0x18
	v_add_co_u32 v5, s5, s6, v0
	v_add_co_ci_u32_e64 v6, null, s7, 0, s5
	v_add_co_u32 v4, s5, s10, v1
	v_add_co_ci_u32_e64 v7, null, s11, 0, s5
	v_lshlrev_b64 v[0:1], 2, v[5:6]
	s_waitcnt lgkmcnt(0)
	s_mul_i32 s3, s3, s8
	s_mul_hi_u32 s5, s2, s8
	v_mul_lo_u32 v5, v7, s0
	v_mul_lo_u32 v6, v4, s1
	s_mul_i32 s2, s2, s8
	v_cmp_neq_f32_e64 s6, s9, 0
	s_add_i32 s3, s5, s3
	s_mov_b32 s5, 0
	s_lshl_b64 s[2:3], s[2:3], 2
	s_add_u32 s2, s18, s2
	s_addc_u32 s3, s19, s3
	s_and_b32 vcc_lo, exec_lo, s6
	s_cbranch_vccnz .LBB456_7
; %bb.4:
	v_mad_u64_u32 v[10:11], null, v4, s0, 0
	s_lshl_b64 s[6:7], s[0:1], 6
	v_mul_f32_e32 v14, s4, v9
	v_mul_f32_e32 v15, s4, v8
	;; [unrolled: 1-line block ×4, first 2 shown]
	v_add3_u32 v11, v11, v6, v5
	v_lshlrev_b64 v[10:11], 2, v[10:11]
	v_add_co_u32 v10, vcc_lo, s2, v10
	v_add_co_ci_u32_e64 v11, null, s3, v11, vcc_lo
	v_add_co_u32 v12, vcc_lo, v10, s6
	v_add_co_ci_u32_e64 v13, null, s7, v11, vcc_lo
	v_add_co_u32 v10, vcc_lo, v10, v0
	v_add_co_ci_u32_e64 v11, null, v11, v1, vcc_lo
	v_add_co_u32 v12, vcc_lo, v12, v0
	v_add_co_ci_u32_e64 v13, null, v13, v1, vcc_lo
	global_store_dword v[10:11], v14, off
	global_store_dword v[10:11], v15, off offset:64
	global_store_dword v[12:13], v16, off
	global_store_dword v[12:13], v17, off offset:64
	s_andn2_b32 vcc_lo, exec_lo, s5
	s_cbranch_vccnz .LBB456_6
.LBB456_5:
	v_mul_lo_u32 v7, v7, s14
	v_mul_lo_u32 v12, v4, s15
	v_mad_u64_u32 v[10:11], null, v4, s14, 0
	s_mul_i32 s5, s17, s8
	s_mul_hi_u32 s7, s16, s8
	s_mul_i32 s6, s16, s8
	s_add_i32 s7, s7, s5
	s_lshl_b64 s[6:7], s[6:7], 2
	v_add3_u32 v11, v11, v12, v7
	s_add_u32 s5, s12, s6
	s_addc_u32 s6, s13, s7
	v_mad_u64_u32 v[12:13], null, v4, s0, 0
	v_lshlrev_b64 v[10:11], 2, v[10:11]
	s_lshl_b64 s[0:1], s[0:1], 6
	v_add3_u32 v13, v13, v6, v5
	v_add_co_u32 v7, vcc_lo, s5, v10
	v_add_co_ci_u32_e64 v14, null, s6, v11, vcc_lo
	v_lshlrev_b64 v[4:5], 2, v[12:13]
	v_add_co_u32 v10, vcc_lo, v7, v0
	v_add_co_ci_u32_e64 v11, null, v14, v1, vcc_lo
	v_add_co_u32 v12, vcc_lo, s2, v4
	global_load_dword v15, v[10:11], off
	v_add_co_ci_u32_e64 v13, null, s3, v5, vcc_lo
	v_add_co_u32 v4, vcc_lo, v12, v0
	s_lshl_b64 s[2:3], s[14:15], 6
	v_add_co_ci_u32_e64 v5, null, v13, v1, vcc_lo
	s_waitcnt vmcnt(0)
	v_mul_f32_e32 v6, s9, v15
	v_fmac_f32_e32 v6, s4, v9
	global_store_dword v[4:5], v6, off
	global_load_dword v6, v[10:11], off offset:64
	s_waitcnt vmcnt(0)
	v_mul_f32_e32 v9, s9, v6
	v_add_co_u32 v6, vcc_lo, v7, s2
	v_add_co_ci_u32_e64 v7, null, s3, v14, vcc_lo
	v_fmac_f32_e32 v9, s4, v8
	v_add_co_u32 v6, vcc_lo, v6, v0
	v_add_co_ci_u32_e64 v7, null, v7, v1, vcc_lo
	global_store_dword v[4:5], v9, off offset:64
	v_add_co_u32 v5, vcc_lo, v12, s0
	global_load_dword v4, v[6:7], off
	v_add_co_ci_u32_e64 v8, null, s1, v13, vcc_lo
	v_add_co_u32 v0, vcc_lo, v5, v0
	v_add_co_ci_u32_e64 v1, null, v8, v1, vcc_lo
	s_waitcnt vmcnt(0)
	v_mul_f32_e32 v4, s9, v4
	v_fmac_f32_e32 v4, s4, v2
	global_store_dword v[0:1], v4, off
	global_load_dword v2, v[6:7], off offset:64
	s_waitcnt vmcnt(0)
	v_mul_f32_e32 v2, s9, v2
	v_fmac_f32_e32 v2, s4, v3
	global_store_dword v[0:1], v2, off offset:64
.LBB456_6:
	s_endpgm
.LBB456_7:
	s_branch .LBB456_5
	.section	.rodata,"a",@progbits
	.p2align	6, 0x0
	.amdhsa_kernel _ZN12_GLOBAL__N_127rocblas_gemm_batched_kernelIfLi16ELi16ELi32ELi32ELi8ELi32ELi8ELi8ELi32ELc78ELc84EK16rocblas_bfloat16KffEEvlllT_PT11_llS6_llS4_PT12_llPT13_lli
		.amdhsa_group_segment_fixed_size 2048
		.amdhsa_private_segment_fixed_size 0
		.amdhsa_kernarg_size 140
		.amdhsa_user_sgpr_count 6
		.amdhsa_user_sgpr_private_segment_buffer 1
		.amdhsa_user_sgpr_dispatch_ptr 0
		.amdhsa_user_sgpr_queue_ptr 0
		.amdhsa_user_sgpr_kernarg_segment_ptr 1
		.amdhsa_user_sgpr_dispatch_id 0
		.amdhsa_user_sgpr_flat_scratch_init 0
		.amdhsa_user_sgpr_private_segment_size 0
		.amdhsa_wavefront_size32 1
		.amdhsa_uses_dynamic_stack 0
		.amdhsa_system_sgpr_private_segment_wavefront_offset 0
		.amdhsa_system_sgpr_workgroup_id_x 1
		.amdhsa_system_sgpr_workgroup_id_y 1
		.amdhsa_system_sgpr_workgroup_id_z 1
		.amdhsa_system_sgpr_workgroup_info 0
		.amdhsa_system_vgpr_workitem_id 1
		.amdhsa_next_free_vgpr 46
		.amdhsa_next_free_sgpr 22
		.amdhsa_reserve_vcc 1
		.amdhsa_reserve_flat_scratch 0
		.amdhsa_float_round_mode_32 0
		.amdhsa_float_round_mode_16_64 0
		.amdhsa_float_denorm_mode_32 3
		.amdhsa_float_denorm_mode_16_64 3
		.amdhsa_dx10_clamp 1
		.amdhsa_ieee_mode 1
		.amdhsa_fp16_overflow 0
		.amdhsa_workgroup_processor_mode 1
		.amdhsa_memory_ordered 1
		.amdhsa_forward_progress 1
		.amdhsa_shared_vgpr_count 0
		.amdhsa_exception_fp_ieee_invalid_op 0
		.amdhsa_exception_fp_denorm_src 0
		.amdhsa_exception_fp_ieee_div_zero 0
		.amdhsa_exception_fp_ieee_overflow 0
		.amdhsa_exception_fp_ieee_underflow 0
		.amdhsa_exception_fp_ieee_inexact 0
		.amdhsa_exception_int_div_zero 0
	.end_amdhsa_kernel
	.section	.text._ZN12_GLOBAL__N_127rocblas_gemm_batched_kernelIfLi16ELi16ELi32ELi32ELi8ELi32ELi8ELi8ELi32ELc78ELc84EK16rocblas_bfloat16KffEEvlllT_PT11_llS6_llS4_PT12_llPT13_lli,"axG",@progbits,_ZN12_GLOBAL__N_127rocblas_gemm_batched_kernelIfLi16ELi16ELi32ELi32ELi8ELi32ELi8ELi8ELi32ELc78ELc84EK16rocblas_bfloat16KffEEvlllT_PT11_llS6_llS4_PT12_llPT13_lli,comdat
.Lfunc_end456:
	.size	_ZN12_GLOBAL__N_127rocblas_gemm_batched_kernelIfLi16ELi16ELi32ELi32ELi8ELi32ELi8ELi8ELi32ELc78ELc84EK16rocblas_bfloat16KffEEvlllT_PT11_llS6_llS4_PT12_llPT13_lli, .Lfunc_end456-_ZN12_GLOBAL__N_127rocblas_gemm_batched_kernelIfLi16ELi16ELi32ELi32ELi8ELi32ELi8ELi8ELi32ELc78ELc84EK16rocblas_bfloat16KffEEvlllT_PT11_llS6_llS4_PT12_llPT13_lli
                                        ; -- End function
	.set _ZN12_GLOBAL__N_127rocblas_gemm_batched_kernelIfLi16ELi16ELi32ELi32ELi8ELi32ELi8ELi8ELi32ELc78ELc84EK16rocblas_bfloat16KffEEvlllT_PT11_llS6_llS4_PT12_llPT13_lli.num_vgpr, 46
	.set _ZN12_GLOBAL__N_127rocblas_gemm_batched_kernelIfLi16ELi16ELi32ELi32ELi8ELi32ELi8ELi8ELi32ELc78ELc84EK16rocblas_bfloat16KffEEvlllT_PT11_llS6_llS4_PT12_llPT13_lli.num_agpr, 0
	.set _ZN12_GLOBAL__N_127rocblas_gemm_batched_kernelIfLi16ELi16ELi32ELi32ELi8ELi32ELi8ELi8ELi32ELc78ELc84EK16rocblas_bfloat16KffEEvlllT_PT11_llS6_llS4_PT12_llPT13_lli.numbered_sgpr, 22
	.set _ZN12_GLOBAL__N_127rocblas_gemm_batched_kernelIfLi16ELi16ELi32ELi32ELi8ELi32ELi8ELi8ELi32ELc78ELc84EK16rocblas_bfloat16KffEEvlllT_PT11_llS6_llS4_PT12_llPT13_lli.num_named_barrier, 0
	.set _ZN12_GLOBAL__N_127rocblas_gemm_batched_kernelIfLi16ELi16ELi32ELi32ELi8ELi32ELi8ELi8ELi32ELc78ELc84EK16rocblas_bfloat16KffEEvlllT_PT11_llS6_llS4_PT12_llPT13_lli.private_seg_size, 0
	.set _ZN12_GLOBAL__N_127rocblas_gemm_batched_kernelIfLi16ELi16ELi32ELi32ELi8ELi32ELi8ELi8ELi32ELc78ELc84EK16rocblas_bfloat16KffEEvlllT_PT11_llS6_llS4_PT12_llPT13_lli.uses_vcc, 1
	.set _ZN12_GLOBAL__N_127rocblas_gemm_batched_kernelIfLi16ELi16ELi32ELi32ELi8ELi32ELi8ELi8ELi32ELc78ELc84EK16rocblas_bfloat16KffEEvlllT_PT11_llS6_llS4_PT12_llPT13_lli.uses_flat_scratch, 0
	.set _ZN12_GLOBAL__N_127rocblas_gemm_batched_kernelIfLi16ELi16ELi32ELi32ELi8ELi32ELi8ELi8ELi32ELc78ELc84EK16rocblas_bfloat16KffEEvlllT_PT11_llS6_llS4_PT12_llPT13_lli.has_dyn_sized_stack, 0
	.set _ZN12_GLOBAL__N_127rocblas_gemm_batched_kernelIfLi16ELi16ELi32ELi32ELi8ELi32ELi8ELi8ELi32ELc78ELc84EK16rocblas_bfloat16KffEEvlllT_PT11_llS6_llS4_PT12_llPT13_lli.has_recursion, 0
	.set _ZN12_GLOBAL__N_127rocblas_gemm_batched_kernelIfLi16ELi16ELi32ELi32ELi8ELi32ELi8ELi8ELi32ELc78ELc84EK16rocblas_bfloat16KffEEvlllT_PT11_llS6_llS4_PT12_llPT13_lli.has_indirect_call, 0
	.section	.AMDGPU.csdata,"",@progbits
; Kernel info:
; codeLenInByte = 1364
; TotalNumSgprs: 24
; NumVgprs: 46
; ScratchSize: 0
; MemoryBound: 0
; FloatMode: 240
; IeeeMode: 1
; LDSByteSize: 2048 bytes/workgroup (compile time only)
; SGPRBlocks: 0
; VGPRBlocks: 5
; NumSGPRsForWavesPerEU: 24
; NumVGPRsForWavesPerEU: 46
; Occupancy: 16
; WaveLimiterHint : 0
; COMPUTE_PGM_RSRC2:SCRATCH_EN: 0
; COMPUTE_PGM_RSRC2:USER_SGPR: 6
; COMPUTE_PGM_RSRC2:TRAP_HANDLER: 0
; COMPUTE_PGM_RSRC2:TGID_X_EN: 1
; COMPUTE_PGM_RSRC2:TGID_Y_EN: 1
; COMPUTE_PGM_RSRC2:TGID_Z_EN: 1
; COMPUTE_PGM_RSRC2:TIDIG_COMP_CNT: 1
	.section	.text._ZN12_GLOBAL__N_127rocblas_gemm_batched_kernelIfLi16ELi16ELi32ELi32ELi8ELi32ELi8ELi8ELi32ELc84ELc84EK16rocblas_bfloat16KffEEvlllT_PT11_llS6_llS4_PT12_llPT13_lli,"axG",@progbits,_ZN12_GLOBAL__N_127rocblas_gemm_batched_kernelIfLi16ELi16ELi32ELi32ELi8ELi32ELi8ELi8ELi32ELc84ELc84EK16rocblas_bfloat16KffEEvlllT_PT11_llS6_llS4_PT12_llPT13_lli,comdat
	.globl	_ZN12_GLOBAL__N_127rocblas_gemm_batched_kernelIfLi16ELi16ELi32ELi32ELi8ELi32ELi8ELi8ELi32ELc84ELc84EK16rocblas_bfloat16KffEEvlllT_PT11_llS6_llS4_PT12_llPT13_lli ; -- Begin function _ZN12_GLOBAL__N_127rocblas_gemm_batched_kernelIfLi16ELi16ELi32ELi32ELi8ELi32ELi8ELi8ELi32ELc84ELc84EK16rocblas_bfloat16KffEEvlllT_PT11_llS6_llS4_PT12_llPT13_lli
	.p2align	8
	.type	_ZN12_GLOBAL__N_127rocblas_gemm_batched_kernelIfLi16ELi16ELi32ELi32ELi8ELi32ELi8ELi8ELi32ELc84ELc84EK16rocblas_bfloat16KffEEvlllT_PT11_llS6_llS4_PT12_llPT13_lli,@function
_ZN12_GLOBAL__N_127rocblas_gemm_batched_kernelIfLi16ELi16ELi32ELi32ELi8ELi32ELi8ELi8ELi32ELc84ELc84EK16rocblas_bfloat16KffEEvlllT_PT11_llS6_llS4_PT12_llPT13_lli: ; @_ZN12_GLOBAL__N_127rocblas_gemm_batched_kernelIfLi16ELi16ELi32ELi32ELi8ELi32ELi8ELi8ELi32ELc84ELc84EK16rocblas_bfloat16KffEEvlllT_PT11_llS6_llS4_PT12_llPT13_lli
; %bb.0:
	s_load_dwordx2 s[20:21], s[4:5], 0x10
	s_mov_b32 s0, s7
	v_mov_b32_e32 v9, 0
	v_mov_b32_e32 v8, 0
	;; [unrolled: 1-line block ×4, first 2 shown]
	s_ashr_i32 s7, s6, 31
	s_ashr_i32 s1, s0, 31
	s_lshl_b64 s[6:7], s[6:7], 5
	s_lshl_b64 s[10:11], s[0:1], 5
	s_waitcnt lgkmcnt(0)
	v_cmp_lt_i64_e64 s2, s[20:21], 1
	s_and_b32 vcc_lo, exec_lo, s2
	s_cbranch_vccnz .LBB457_3
; %bb.1:
	s_clause 0x1
	s_load_dwordx8 s[12:19], s[4:5], 0x20
	s_load_dwordx4 s[0:3], s[4:5], 0x40
	v_lshl_add_u32 v4, v1, 4, v0
	v_and_b32_e32 v8, 7, v0
	v_mov_b32_e32 v3, 0
	v_lshlrev_b32_e32 v10, 2, v0
	v_lshl_add_u32 v11, v1, 5, 0x400
	v_and_b32_e32 v5, 31, v4
	v_lshrrev_b32_e32 v2, 3, v4
	v_lshlrev_b32_e32 v6, 2, v8
	v_lshrrev_b32_e32 v14, 5, v4
	v_lshlrev_b32_e32 v4, 2, v5
	v_lshl_or_b32 v9, v2, 5, v6
	v_add_co_u32 v6, s9, s6, v5
	v_add_co_ci_u32_e64 v7, null, s7, 0, s9
	v_lshl_or_b32 v12, v14, 7, v4
	s_waitcnt lgkmcnt(0)
	v_mul_lo_u32 v15, s15, v6
	v_mad_u64_u32 v[4:5], null, s0, v8, v[2:3]
	v_mul_lo_u32 v16, s14, v7
	v_mad_u64_u32 v[6:7], null, s14, v6, 0
	s_mul_i32 s3, s3, s8
	s_mul_hi_u32 s9, s2, s8
	s_mul_i32 s2, s2, s8
	v_mov_b32_e32 v2, v5
	s_add_i32 s3, s9, s3
	v_add_nc_u32_e32 v13, 0x400, v9
	v_add3_u32 v7, v7, v16, v15
	s_lshl_b64 s[2:3], s[2:3], 1
	v_mad_u64_u32 v[8:9], null, s1, v8, v[2:3]
	s_add_u32 s9, s18, s2
	s_addc_u32 s14, s19, s3
	s_mul_i32 s2, s17, s8
	s_mul_hi_u32 s3, s16, s8
	v_lshlrev_b64 v[5:6], 1, v[6:7]
	v_add_co_u32 v7, vcc_lo, v4, s10
	s_add_i32 s3, s3, s2
	s_mul_i32 s2, s16, s8
	v_add_co_ci_u32_e64 v8, null, s11, v8, vcc_lo
	s_lshl_b64 s[2:3], s[2:3], 1
	v_lshlrev_b32_e32 v2, 1, v14
	v_add_co_u32 v9, vcc_lo, v5, s2
	v_add_co_ci_u32_e64 v6, null, s3, v6, vcc_lo
	v_lshlrev_b64 v[4:5], 1, v[7:8]
	v_add_co_u32 v2, vcc_lo, v9, v2
	v_add_co_ci_u32_e64 v7, null, 0, v6, vcc_lo
	v_mov_b32_e32 v8, v3
	v_add_co_u32 v4, vcc_lo, s9, v4
	v_add_co_ci_u32_e64 v5, null, s14, v5, vcc_lo
	v_add_co_u32 v6, vcc_lo, s12, v2
	v_add_co_ci_u32_e64 v7, null, s13, v7, vcc_lo
	v_mov_b32_e32 v2, v3
	v_mov_b32_e32 v9, v3
	s_lshl_b64 s[0:1], s[0:1], 4
	s_mov_b64 s[2:3], 0
.LBB457_2:                              ; =>This Inner Loop Header: Depth=1
	global_load_ushort v14, v[6:7], off
	global_load_ushort v15, v[4:5], off
	s_add_u32 s2, s2, 8
	s_addc_u32 s3, s3, 0
	v_add_co_u32 v4, vcc_lo, v4, s0
	v_cmp_lt_i64_e64 s9, s[2:3], s[20:21]
	v_add_co_ci_u32_e64 v5, null, s1, v5, vcc_lo
	v_add_co_u32 v6, vcc_lo, v6, 16
	v_add_co_ci_u32_e64 v7, null, 0, v7, vcc_lo
	s_and_b32 vcc_lo, exec_lo, s9
	s_waitcnt vmcnt(1)
	v_lshlrev_b32_e32 v14, 16, v14
	s_waitcnt vmcnt(0)
	v_lshlrev_b32_e32 v15, 16, v15
	ds_write_b32 v12, v14
	ds_write_b32 v13, v15
	s_waitcnt lgkmcnt(0)
	s_barrier
	buffer_gl0_inv
	ds_read_b128 v[14:17], v11
	ds_read2_b32 v[30:31], v10 offset1:16
	ds_read_b128 v[18:21], v11 offset:512
	ds_read2_b32 v[32:33], v10 offset0:32 offset1:48
	ds_read2_b32 v[34:35], v10 offset0:64 offset1:80
	ds_read_b128 v[22:25], v11 offset:16
	ds_read2_b32 v[36:37], v10 offset0:96 offset1:112
	ds_read2_b32 v[38:39], v10 offset0:128 offset1:144
	;; [unrolled: 3-line block ×3, first 2 shown]
	ds_read2_b32 v[44:45], v10 offset0:224 offset1:240
	s_waitcnt lgkmcnt(0)
	s_barrier
	buffer_gl0_inv
	v_fmac_f32_e32 v9, v30, v14
	v_fmac_f32_e32 v8, v31, v14
	;; [unrolled: 1-line block ×32, first 2 shown]
	s_cbranch_vccnz .LBB457_2
.LBB457_3:
	s_clause 0x3
	s_load_dwordx4 s[0:3], s[4:5], 0x78
	s_load_dword s9, s[4:5], 0x50
	s_load_dwordx8 s[12:19], s[4:5], 0x58
	s_load_dword s4, s[4:5], 0x18
	v_add_co_u32 v5, s5, s6, v0
	v_add_co_ci_u32_e64 v6, null, s7, 0, s5
	v_add_co_u32 v4, s5, s10, v1
	v_add_co_ci_u32_e64 v7, null, s11, 0, s5
	v_lshlrev_b64 v[0:1], 2, v[5:6]
	s_waitcnt lgkmcnt(0)
	s_mul_i32 s3, s3, s8
	s_mul_hi_u32 s5, s2, s8
	v_mul_lo_u32 v5, v7, s0
	v_mul_lo_u32 v6, v4, s1
	s_mul_i32 s2, s2, s8
	v_cmp_neq_f32_e64 s6, s9, 0
	s_add_i32 s3, s5, s3
	s_mov_b32 s5, 0
	s_lshl_b64 s[2:3], s[2:3], 2
	s_add_u32 s2, s18, s2
	s_addc_u32 s3, s19, s3
	s_and_b32 vcc_lo, exec_lo, s6
	s_cbranch_vccnz .LBB457_7
; %bb.4:
	v_mad_u64_u32 v[10:11], null, v4, s0, 0
	s_lshl_b64 s[6:7], s[0:1], 6
	v_mul_f32_e32 v14, s4, v9
	v_mul_f32_e32 v15, s4, v8
	;; [unrolled: 1-line block ×4, first 2 shown]
	v_add3_u32 v11, v11, v6, v5
	v_lshlrev_b64 v[10:11], 2, v[10:11]
	v_add_co_u32 v10, vcc_lo, s2, v10
	v_add_co_ci_u32_e64 v11, null, s3, v11, vcc_lo
	v_add_co_u32 v12, vcc_lo, v10, s6
	v_add_co_ci_u32_e64 v13, null, s7, v11, vcc_lo
	;; [unrolled: 2-line block ×4, first 2 shown]
	global_store_dword v[10:11], v14, off
	global_store_dword v[10:11], v15, off offset:64
	global_store_dword v[12:13], v16, off
	global_store_dword v[12:13], v17, off offset:64
	s_andn2_b32 vcc_lo, exec_lo, s5
	s_cbranch_vccnz .LBB457_6
.LBB457_5:
	v_mul_lo_u32 v7, v7, s14
	v_mul_lo_u32 v12, v4, s15
	v_mad_u64_u32 v[10:11], null, v4, s14, 0
	s_mul_i32 s5, s17, s8
	s_mul_hi_u32 s7, s16, s8
	s_mul_i32 s6, s16, s8
	s_add_i32 s7, s7, s5
	s_lshl_b64 s[6:7], s[6:7], 2
	v_add3_u32 v11, v11, v12, v7
	s_add_u32 s5, s12, s6
	s_addc_u32 s6, s13, s7
	v_mad_u64_u32 v[12:13], null, v4, s0, 0
	v_lshlrev_b64 v[10:11], 2, v[10:11]
	s_lshl_b64 s[0:1], s[0:1], 6
	v_add3_u32 v13, v13, v6, v5
	v_add_co_u32 v7, vcc_lo, s5, v10
	v_add_co_ci_u32_e64 v14, null, s6, v11, vcc_lo
	v_lshlrev_b64 v[4:5], 2, v[12:13]
	v_add_co_u32 v10, vcc_lo, v7, v0
	v_add_co_ci_u32_e64 v11, null, v14, v1, vcc_lo
	v_add_co_u32 v12, vcc_lo, s2, v4
	global_load_dword v15, v[10:11], off
	v_add_co_ci_u32_e64 v13, null, s3, v5, vcc_lo
	v_add_co_u32 v4, vcc_lo, v12, v0
	s_lshl_b64 s[2:3], s[14:15], 6
	v_add_co_ci_u32_e64 v5, null, v13, v1, vcc_lo
	s_waitcnt vmcnt(0)
	v_mul_f32_e32 v6, s9, v15
	v_fmac_f32_e32 v6, s4, v9
	global_store_dword v[4:5], v6, off
	global_load_dword v6, v[10:11], off offset:64
	s_waitcnt vmcnt(0)
	v_mul_f32_e32 v9, s9, v6
	v_add_co_u32 v6, vcc_lo, v7, s2
	v_add_co_ci_u32_e64 v7, null, s3, v14, vcc_lo
	v_fmac_f32_e32 v9, s4, v8
	v_add_co_u32 v6, vcc_lo, v6, v0
	v_add_co_ci_u32_e64 v7, null, v7, v1, vcc_lo
	global_store_dword v[4:5], v9, off offset:64
	v_add_co_u32 v5, vcc_lo, v12, s0
	global_load_dword v4, v[6:7], off
	v_add_co_ci_u32_e64 v8, null, s1, v13, vcc_lo
	v_add_co_u32 v0, vcc_lo, v5, v0
	v_add_co_ci_u32_e64 v1, null, v8, v1, vcc_lo
	s_waitcnt vmcnt(0)
	v_mul_f32_e32 v4, s9, v4
	v_fmac_f32_e32 v4, s4, v2
	global_store_dword v[0:1], v4, off
	global_load_dword v2, v[6:7], off offset:64
	s_waitcnt vmcnt(0)
	v_mul_f32_e32 v2, s9, v2
	v_fmac_f32_e32 v2, s4, v3
	global_store_dword v[0:1], v2, off offset:64
.LBB457_6:
	s_endpgm
.LBB457_7:
	s_branch .LBB457_5
	.section	.rodata,"a",@progbits
	.p2align	6, 0x0
	.amdhsa_kernel _ZN12_GLOBAL__N_127rocblas_gemm_batched_kernelIfLi16ELi16ELi32ELi32ELi8ELi32ELi8ELi8ELi32ELc84ELc84EK16rocblas_bfloat16KffEEvlllT_PT11_llS6_llS4_PT12_llPT13_lli
		.amdhsa_group_segment_fixed_size 2048
		.amdhsa_private_segment_fixed_size 0
		.amdhsa_kernarg_size 140
		.amdhsa_user_sgpr_count 6
		.amdhsa_user_sgpr_private_segment_buffer 1
		.amdhsa_user_sgpr_dispatch_ptr 0
		.amdhsa_user_sgpr_queue_ptr 0
		.amdhsa_user_sgpr_kernarg_segment_ptr 1
		.amdhsa_user_sgpr_dispatch_id 0
		.amdhsa_user_sgpr_flat_scratch_init 0
		.amdhsa_user_sgpr_private_segment_size 0
		.amdhsa_wavefront_size32 1
		.amdhsa_uses_dynamic_stack 0
		.amdhsa_system_sgpr_private_segment_wavefront_offset 0
		.amdhsa_system_sgpr_workgroup_id_x 1
		.amdhsa_system_sgpr_workgroup_id_y 1
		.amdhsa_system_sgpr_workgroup_id_z 1
		.amdhsa_system_sgpr_workgroup_info 0
		.amdhsa_system_vgpr_workitem_id 1
		.amdhsa_next_free_vgpr 46
		.amdhsa_next_free_sgpr 22
		.amdhsa_reserve_vcc 1
		.amdhsa_reserve_flat_scratch 0
		.amdhsa_float_round_mode_32 0
		.amdhsa_float_round_mode_16_64 0
		.amdhsa_float_denorm_mode_32 3
		.amdhsa_float_denorm_mode_16_64 3
		.amdhsa_dx10_clamp 1
		.amdhsa_ieee_mode 1
		.amdhsa_fp16_overflow 0
		.amdhsa_workgroup_processor_mode 1
		.amdhsa_memory_ordered 1
		.amdhsa_forward_progress 1
		.amdhsa_shared_vgpr_count 0
		.amdhsa_exception_fp_ieee_invalid_op 0
		.amdhsa_exception_fp_denorm_src 0
		.amdhsa_exception_fp_ieee_div_zero 0
		.amdhsa_exception_fp_ieee_overflow 0
		.amdhsa_exception_fp_ieee_underflow 0
		.amdhsa_exception_fp_ieee_inexact 0
		.amdhsa_exception_int_div_zero 0
	.end_amdhsa_kernel
	.section	.text._ZN12_GLOBAL__N_127rocblas_gemm_batched_kernelIfLi16ELi16ELi32ELi32ELi8ELi32ELi8ELi8ELi32ELc84ELc84EK16rocblas_bfloat16KffEEvlllT_PT11_llS6_llS4_PT12_llPT13_lli,"axG",@progbits,_ZN12_GLOBAL__N_127rocblas_gemm_batched_kernelIfLi16ELi16ELi32ELi32ELi8ELi32ELi8ELi8ELi32ELc84ELc84EK16rocblas_bfloat16KffEEvlllT_PT11_llS6_llS4_PT12_llPT13_lli,comdat
.Lfunc_end457:
	.size	_ZN12_GLOBAL__N_127rocblas_gemm_batched_kernelIfLi16ELi16ELi32ELi32ELi8ELi32ELi8ELi8ELi32ELc84ELc84EK16rocblas_bfloat16KffEEvlllT_PT11_llS6_llS4_PT12_llPT13_lli, .Lfunc_end457-_ZN12_GLOBAL__N_127rocblas_gemm_batched_kernelIfLi16ELi16ELi32ELi32ELi8ELi32ELi8ELi8ELi32ELc84ELc84EK16rocblas_bfloat16KffEEvlllT_PT11_llS6_llS4_PT12_llPT13_lli
                                        ; -- End function
	.set _ZN12_GLOBAL__N_127rocblas_gemm_batched_kernelIfLi16ELi16ELi32ELi32ELi8ELi32ELi8ELi8ELi32ELc84ELc84EK16rocblas_bfloat16KffEEvlllT_PT11_llS6_llS4_PT12_llPT13_lli.num_vgpr, 46
	.set _ZN12_GLOBAL__N_127rocblas_gemm_batched_kernelIfLi16ELi16ELi32ELi32ELi8ELi32ELi8ELi8ELi32ELc84ELc84EK16rocblas_bfloat16KffEEvlllT_PT11_llS6_llS4_PT12_llPT13_lli.num_agpr, 0
	.set _ZN12_GLOBAL__N_127rocblas_gemm_batched_kernelIfLi16ELi16ELi32ELi32ELi8ELi32ELi8ELi8ELi32ELc84ELc84EK16rocblas_bfloat16KffEEvlllT_PT11_llS6_llS4_PT12_llPT13_lli.numbered_sgpr, 22
	.set _ZN12_GLOBAL__N_127rocblas_gemm_batched_kernelIfLi16ELi16ELi32ELi32ELi8ELi32ELi8ELi8ELi32ELc84ELc84EK16rocblas_bfloat16KffEEvlllT_PT11_llS6_llS4_PT12_llPT13_lli.num_named_barrier, 0
	.set _ZN12_GLOBAL__N_127rocblas_gemm_batched_kernelIfLi16ELi16ELi32ELi32ELi8ELi32ELi8ELi8ELi32ELc84ELc84EK16rocblas_bfloat16KffEEvlllT_PT11_llS6_llS4_PT12_llPT13_lli.private_seg_size, 0
	.set _ZN12_GLOBAL__N_127rocblas_gemm_batched_kernelIfLi16ELi16ELi32ELi32ELi8ELi32ELi8ELi8ELi32ELc84ELc84EK16rocblas_bfloat16KffEEvlllT_PT11_llS6_llS4_PT12_llPT13_lli.uses_vcc, 1
	.set _ZN12_GLOBAL__N_127rocblas_gemm_batched_kernelIfLi16ELi16ELi32ELi32ELi8ELi32ELi8ELi8ELi32ELc84ELc84EK16rocblas_bfloat16KffEEvlllT_PT11_llS6_llS4_PT12_llPT13_lli.uses_flat_scratch, 0
	.set _ZN12_GLOBAL__N_127rocblas_gemm_batched_kernelIfLi16ELi16ELi32ELi32ELi8ELi32ELi8ELi8ELi32ELc84ELc84EK16rocblas_bfloat16KffEEvlllT_PT11_llS6_llS4_PT12_llPT13_lli.has_dyn_sized_stack, 0
	.set _ZN12_GLOBAL__N_127rocblas_gemm_batched_kernelIfLi16ELi16ELi32ELi32ELi8ELi32ELi8ELi8ELi32ELc84ELc84EK16rocblas_bfloat16KffEEvlllT_PT11_llS6_llS4_PT12_llPT13_lli.has_recursion, 0
	.set _ZN12_GLOBAL__N_127rocblas_gemm_batched_kernelIfLi16ELi16ELi32ELi32ELi8ELi32ELi8ELi8ELi32ELc84ELc84EK16rocblas_bfloat16KffEEvlllT_PT11_llS6_llS4_PT12_llPT13_lli.has_indirect_call, 0
	.section	.AMDGPU.csdata,"",@progbits
; Kernel info:
; codeLenInByte = 1400
; TotalNumSgprs: 24
; NumVgprs: 46
; ScratchSize: 0
; MemoryBound: 0
; FloatMode: 240
; IeeeMode: 1
; LDSByteSize: 2048 bytes/workgroup (compile time only)
; SGPRBlocks: 0
; VGPRBlocks: 5
; NumSGPRsForWavesPerEU: 24
; NumVGPRsForWavesPerEU: 46
; Occupancy: 16
; WaveLimiterHint : 0
; COMPUTE_PGM_RSRC2:SCRATCH_EN: 0
; COMPUTE_PGM_RSRC2:USER_SGPR: 6
; COMPUTE_PGM_RSRC2:TRAP_HANDLER: 0
; COMPUTE_PGM_RSRC2:TGID_X_EN: 1
; COMPUTE_PGM_RSRC2:TGID_Y_EN: 1
; COMPUTE_PGM_RSRC2:TGID_Z_EN: 1
; COMPUTE_PGM_RSRC2:TIDIG_COMP_CNT: 1
	.section	.text._ZN12_GLOBAL__N_127rocblas_gemm_batched_kernelIfLi16ELi16ELi32ELi32ELi8ELi32ELi8ELi8ELi32ELc67ELc67EK16rocblas_bfloat16KffEEvlllT_PT11_llS6_llS4_PT12_llPT13_lli,"axG",@progbits,_ZN12_GLOBAL__N_127rocblas_gemm_batched_kernelIfLi16ELi16ELi32ELi32ELi8ELi32ELi8ELi8ELi32ELc67ELc67EK16rocblas_bfloat16KffEEvlllT_PT11_llS6_llS4_PT12_llPT13_lli,comdat
	.globl	_ZN12_GLOBAL__N_127rocblas_gemm_batched_kernelIfLi16ELi16ELi32ELi32ELi8ELi32ELi8ELi8ELi32ELc67ELc67EK16rocblas_bfloat16KffEEvlllT_PT11_llS6_llS4_PT12_llPT13_lli ; -- Begin function _ZN12_GLOBAL__N_127rocblas_gemm_batched_kernelIfLi16ELi16ELi32ELi32ELi8ELi32ELi8ELi8ELi32ELc67ELc67EK16rocblas_bfloat16KffEEvlllT_PT11_llS6_llS4_PT12_llPT13_lli
	.p2align	8
	.type	_ZN12_GLOBAL__N_127rocblas_gemm_batched_kernelIfLi16ELi16ELi32ELi32ELi8ELi32ELi8ELi8ELi32ELc67ELc67EK16rocblas_bfloat16KffEEvlllT_PT11_llS6_llS4_PT12_llPT13_lli,@function
_ZN12_GLOBAL__N_127rocblas_gemm_batched_kernelIfLi16ELi16ELi32ELi32ELi8ELi32ELi8ELi8ELi32ELc67ELc67EK16rocblas_bfloat16KffEEvlllT_PT11_llS6_llS4_PT12_llPT13_lli: ; @_ZN12_GLOBAL__N_127rocblas_gemm_batched_kernelIfLi16ELi16ELi32ELi32ELi8ELi32ELi8ELi8ELi32ELc67ELc67EK16rocblas_bfloat16KffEEvlllT_PT11_llS6_llS4_PT12_llPT13_lli
; %bb.0:
	s_load_dwordx2 s[20:21], s[4:5], 0x10
	s_mov_b32 s0, s7
	v_mov_b32_e32 v9, 0
	v_mov_b32_e32 v8, 0
	;; [unrolled: 1-line block ×4, first 2 shown]
	s_ashr_i32 s7, s6, 31
	s_ashr_i32 s1, s0, 31
	s_lshl_b64 s[6:7], s[6:7], 5
	s_lshl_b64 s[10:11], s[0:1], 5
	s_waitcnt lgkmcnt(0)
	v_cmp_lt_i64_e64 s2, s[20:21], 1
	s_and_b32 vcc_lo, exec_lo, s2
	s_cbranch_vccnz .LBB458_3
; %bb.1:
	s_clause 0x1
	s_load_dwordx8 s[12:19], s[4:5], 0x20
	s_load_dwordx4 s[0:3], s[4:5], 0x40
	v_lshl_add_u32 v4, v1, 4, v0
	v_and_b32_e32 v8, 7, v0
	v_mov_b32_e32 v3, 0
	v_lshlrev_b32_e32 v10, 2, v0
	v_lshl_add_u32 v11, v1, 5, 0x400
	v_and_b32_e32 v5, 31, v4
	v_lshrrev_b32_e32 v2, 3, v4
	v_lshlrev_b32_e32 v6, 2, v8
	v_lshrrev_b32_e32 v14, 5, v4
	v_lshlrev_b32_e32 v4, 2, v5
	v_lshl_or_b32 v9, v2, 5, v6
	v_add_co_u32 v6, s9, s6, v5
	v_add_co_ci_u32_e64 v7, null, s7, 0, s9
	v_lshl_or_b32 v12, v14, 7, v4
	s_waitcnt lgkmcnt(0)
	v_mul_lo_u32 v15, s15, v6
	v_mad_u64_u32 v[4:5], null, s0, v8, v[2:3]
	v_mul_lo_u32 v16, s14, v7
	v_mad_u64_u32 v[6:7], null, s14, v6, 0
	s_mul_i32 s3, s3, s8
	s_mul_hi_u32 s9, s2, s8
	s_mul_i32 s2, s2, s8
	v_mov_b32_e32 v2, v5
	s_add_i32 s3, s9, s3
	v_add_nc_u32_e32 v13, 0x400, v9
	v_add3_u32 v7, v7, v16, v15
	s_lshl_b64 s[2:3], s[2:3], 1
	v_mad_u64_u32 v[8:9], null, s1, v8, v[2:3]
	s_add_u32 s9, s18, s2
	s_addc_u32 s14, s19, s3
	s_mul_i32 s2, s17, s8
	s_mul_hi_u32 s3, s16, s8
	v_lshlrev_b64 v[5:6], 1, v[6:7]
	v_add_co_u32 v7, vcc_lo, v4, s10
	s_add_i32 s3, s3, s2
	s_mul_i32 s2, s16, s8
	v_add_co_ci_u32_e64 v8, null, s11, v8, vcc_lo
	s_lshl_b64 s[2:3], s[2:3], 1
	v_lshlrev_b32_e32 v2, 1, v14
	v_add_co_u32 v9, vcc_lo, v5, s2
	v_add_co_ci_u32_e64 v6, null, s3, v6, vcc_lo
	v_lshlrev_b64 v[4:5], 1, v[7:8]
	v_add_co_u32 v2, vcc_lo, v9, v2
	v_add_co_ci_u32_e64 v7, null, 0, v6, vcc_lo
	v_mov_b32_e32 v8, v3
	v_add_co_u32 v4, vcc_lo, s9, v4
	v_add_co_ci_u32_e64 v5, null, s14, v5, vcc_lo
	v_add_co_u32 v6, vcc_lo, s12, v2
	v_add_co_ci_u32_e64 v7, null, s13, v7, vcc_lo
	v_mov_b32_e32 v2, v3
	v_mov_b32_e32 v9, v3
	s_lshl_b64 s[0:1], s[0:1], 4
	s_mov_b64 s[2:3], 0
.LBB458_2:                              ; =>This Inner Loop Header: Depth=1
	global_load_ushort v14, v[6:7], off
	global_load_ushort v15, v[4:5], off
	s_add_u32 s2, s2, 8
	s_addc_u32 s3, s3, 0
	v_add_co_u32 v4, vcc_lo, v4, s0
	v_cmp_lt_i64_e64 s9, s[2:3], s[20:21]
	v_add_co_ci_u32_e64 v5, null, s1, v5, vcc_lo
	v_add_co_u32 v6, vcc_lo, v6, 16
	v_add_co_ci_u32_e64 v7, null, 0, v7, vcc_lo
	s_and_b32 vcc_lo, exec_lo, s9
	s_waitcnt vmcnt(1)
	v_lshlrev_b32_e32 v14, 16, v14
	s_waitcnt vmcnt(0)
	v_lshlrev_b32_e32 v15, 16, v15
	ds_write_b32 v12, v14
	ds_write_b32 v13, v15
	s_waitcnt lgkmcnt(0)
	s_barrier
	buffer_gl0_inv
	ds_read_b128 v[14:17], v11
	ds_read2_b32 v[30:31], v10 offset1:16
	ds_read_b128 v[18:21], v11 offset:512
	ds_read2_b32 v[32:33], v10 offset0:32 offset1:48
	ds_read2_b32 v[34:35], v10 offset0:64 offset1:80
	ds_read_b128 v[22:25], v11 offset:16
	ds_read2_b32 v[36:37], v10 offset0:96 offset1:112
	ds_read2_b32 v[38:39], v10 offset0:128 offset1:144
	;; [unrolled: 3-line block ×3, first 2 shown]
	ds_read2_b32 v[44:45], v10 offset0:224 offset1:240
	s_waitcnt lgkmcnt(0)
	s_barrier
	buffer_gl0_inv
	v_fmac_f32_e32 v9, v30, v14
	v_fmac_f32_e32 v8, v31, v14
	;; [unrolled: 1-line block ×32, first 2 shown]
	s_cbranch_vccnz .LBB458_2
.LBB458_3:
	s_clause 0x3
	s_load_dwordx4 s[0:3], s[4:5], 0x78
	s_load_dword s9, s[4:5], 0x50
	s_load_dwordx8 s[12:19], s[4:5], 0x58
	s_load_dword s4, s[4:5], 0x18
	v_add_co_u32 v5, s5, s6, v0
	v_add_co_ci_u32_e64 v6, null, s7, 0, s5
	v_add_co_u32 v4, s5, s10, v1
	v_add_co_ci_u32_e64 v7, null, s11, 0, s5
	v_lshlrev_b64 v[0:1], 2, v[5:6]
	s_waitcnt lgkmcnt(0)
	s_mul_i32 s3, s3, s8
	s_mul_hi_u32 s5, s2, s8
	v_mul_lo_u32 v5, v7, s0
	v_mul_lo_u32 v6, v4, s1
	s_mul_i32 s2, s2, s8
	v_cmp_neq_f32_e64 s6, s9, 0
	s_add_i32 s3, s5, s3
	s_mov_b32 s5, 0
	s_lshl_b64 s[2:3], s[2:3], 2
	s_add_u32 s2, s18, s2
	s_addc_u32 s3, s19, s3
	s_and_b32 vcc_lo, exec_lo, s6
	s_cbranch_vccnz .LBB458_7
; %bb.4:
	v_mad_u64_u32 v[10:11], null, v4, s0, 0
	s_lshl_b64 s[6:7], s[0:1], 6
	v_mul_f32_e32 v14, s4, v9
	v_mul_f32_e32 v15, s4, v8
	;; [unrolled: 1-line block ×4, first 2 shown]
	v_add3_u32 v11, v11, v6, v5
	v_lshlrev_b64 v[10:11], 2, v[10:11]
	v_add_co_u32 v10, vcc_lo, s2, v10
	v_add_co_ci_u32_e64 v11, null, s3, v11, vcc_lo
	v_add_co_u32 v12, vcc_lo, v10, s6
	v_add_co_ci_u32_e64 v13, null, s7, v11, vcc_lo
	v_add_co_u32 v10, vcc_lo, v10, v0
	v_add_co_ci_u32_e64 v11, null, v11, v1, vcc_lo
	v_add_co_u32 v12, vcc_lo, v12, v0
	v_add_co_ci_u32_e64 v13, null, v13, v1, vcc_lo
	global_store_dword v[10:11], v14, off
	global_store_dword v[10:11], v15, off offset:64
	global_store_dword v[12:13], v16, off
	global_store_dword v[12:13], v17, off offset:64
	s_andn2_b32 vcc_lo, exec_lo, s5
	s_cbranch_vccnz .LBB458_6
.LBB458_5:
	v_mul_lo_u32 v7, v7, s14
	v_mul_lo_u32 v12, v4, s15
	v_mad_u64_u32 v[10:11], null, v4, s14, 0
	s_mul_i32 s5, s17, s8
	s_mul_hi_u32 s7, s16, s8
	s_mul_i32 s6, s16, s8
	s_add_i32 s7, s7, s5
	s_lshl_b64 s[6:7], s[6:7], 2
	v_add3_u32 v11, v11, v12, v7
	s_add_u32 s5, s12, s6
	s_addc_u32 s6, s13, s7
	v_mad_u64_u32 v[12:13], null, v4, s0, 0
	v_lshlrev_b64 v[10:11], 2, v[10:11]
	s_lshl_b64 s[0:1], s[0:1], 6
	v_add3_u32 v13, v13, v6, v5
	v_add_co_u32 v7, vcc_lo, s5, v10
	v_add_co_ci_u32_e64 v14, null, s6, v11, vcc_lo
	v_lshlrev_b64 v[4:5], 2, v[12:13]
	v_add_co_u32 v10, vcc_lo, v7, v0
	v_add_co_ci_u32_e64 v11, null, v14, v1, vcc_lo
	v_add_co_u32 v12, vcc_lo, s2, v4
	global_load_dword v15, v[10:11], off
	v_add_co_ci_u32_e64 v13, null, s3, v5, vcc_lo
	v_add_co_u32 v4, vcc_lo, v12, v0
	s_lshl_b64 s[2:3], s[14:15], 6
	v_add_co_ci_u32_e64 v5, null, v13, v1, vcc_lo
	s_waitcnt vmcnt(0)
	v_mul_f32_e32 v6, s9, v15
	v_fmac_f32_e32 v6, s4, v9
	global_store_dword v[4:5], v6, off
	global_load_dword v6, v[10:11], off offset:64
	s_waitcnt vmcnt(0)
	v_mul_f32_e32 v9, s9, v6
	v_add_co_u32 v6, vcc_lo, v7, s2
	v_add_co_ci_u32_e64 v7, null, s3, v14, vcc_lo
	v_fmac_f32_e32 v9, s4, v8
	v_add_co_u32 v6, vcc_lo, v6, v0
	v_add_co_ci_u32_e64 v7, null, v7, v1, vcc_lo
	global_store_dword v[4:5], v9, off offset:64
	v_add_co_u32 v5, vcc_lo, v12, s0
	global_load_dword v4, v[6:7], off
	v_add_co_ci_u32_e64 v8, null, s1, v13, vcc_lo
	v_add_co_u32 v0, vcc_lo, v5, v0
	v_add_co_ci_u32_e64 v1, null, v8, v1, vcc_lo
	s_waitcnt vmcnt(0)
	v_mul_f32_e32 v4, s9, v4
	v_fmac_f32_e32 v4, s4, v2
	global_store_dword v[0:1], v4, off
	global_load_dword v2, v[6:7], off offset:64
	s_waitcnt vmcnt(0)
	v_mul_f32_e32 v2, s9, v2
	v_fmac_f32_e32 v2, s4, v3
	global_store_dword v[0:1], v2, off offset:64
.LBB458_6:
	s_endpgm
.LBB458_7:
	s_branch .LBB458_5
	.section	.rodata,"a",@progbits
	.p2align	6, 0x0
	.amdhsa_kernel _ZN12_GLOBAL__N_127rocblas_gemm_batched_kernelIfLi16ELi16ELi32ELi32ELi8ELi32ELi8ELi8ELi32ELc67ELc67EK16rocblas_bfloat16KffEEvlllT_PT11_llS6_llS4_PT12_llPT13_lli
		.amdhsa_group_segment_fixed_size 2048
		.amdhsa_private_segment_fixed_size 0
		.amdhsa_kernarg_size 140
		.amdhsa_user_sgpr_count 6
		.amdhsa_user_sgpr_private_segment_buffer 1
		.amdhsa_user_sgpr_dispatch_ptr 0
		.amdhsa_user_sgpr_queue_ptr 0
		.amdhsa_user_sgpr_kernarg_segment_ptr 1
		.amdhsa_user_sgpr_dispatch_id 0
		.amdhsa_user_sgpr_flat_scratch_init 0
		.amdhsa_user_sgpr_private_segment_size 0
		.amdhsa_wavefront_size32 1
		.amdhsa_uses_dynamic_stack 0
		.amdhsa_system_sgpr_private_segment_wavefront_offset 0
		.amdhsa_system_sgpr_workgroup_id_x 1
		.amdhsa_system_sgpr_workgroup_id_y 1
		.amdhsa_system_sgpr_workgroup_id_z 1
		.amdhsa_system_sgpr_workgroup_info 0
		.amdhsa_system_vgpr_workitem_id 1
		.amdhsa_next_free_vgpr 46
		.amdhsa_next_free_sgpr 22
		.amdhsa_reserve_vcc 1
		.amdhsa_reserve_flat_scratch 0
		.amdhsa_float_round_mode_32 0
		.amdhsa_float_round_mode_16_64 0
		.amdhsa_float_denorm_mode_32 3
		.amdhsa_float_denorm_mode_16_64 3
		.amdhsa_dx10_clamp 1
		.amdhsa_ieee_mode 1
		.amdhsa_fp16_overflow 0
		.amdhsa_workgroup_processor_mode 1
		.amdhsa_memory_ordered 1
		.amdhsa_forward_progress 1
		.amdhsa_shared_vgpr_count 0
		.amdhsa_exception_fp_ieee_invalid_op 0
		.amdhsa_exception_fp_denorm_src 0
		.amdhsa_exception_fp_ieee_div_zero 0
		.amdhsa_exception_fp_ieee_overflow 0
		.amdhsa_exception_fp_ieee_underflow 0
		.amdhsa_exception_fp_ieee_inexact 0
		.amdhsa_exception_int_div_zero 0
	.end_amdhsa_kernel
	.section	.text._ZN12_GLOBAL__N_127rocblas_gemm_batched_kernelIfLi16ELi16ELi32ELi32ELi8ELi32ELi8ELi8ELi32ELc67ELc67EK16rocblas_bfloat16KffEEvlllT_PT11_llS6_llS4_PT12_llPT13_lli,"axG",@progbits,_ZN12_GLOBAL__N_127rocblas_gemm_batched_kernelIfLi16ELi16ELi32ELi32ELi8ELi32ELi8ELi8ELi32ELc67ELc67EK16rocblas_bfloat16KffEEvlllT_PT11_llS6_llS4_PT12_llPT13_lli,comdat
.Lfunc_end458:
	.size	_ZN12_GLOBAL__N_127rocblas_gemm_batched_kernelIfLi16ELi16ELi32ELi32ELi8ELi32ELi8ELi8ELi32ELc67ELc67EK16rocblas_bfloat16KffEEvlllT_PT11_llS6_llS4_PT12_llPT13_lli, .Lfunc_end458-_ZN12_GLOBAL__N_127rocblas_gemm_batched_kernelIfLi16ELi16ELi32ELi32ELi8ELi32ELi8ELi8ELi32ELc67ELc67EK16rocblas_bfloat16KffEEvlllT_PT11_llS6_llS4_PT12_llPT13_lli
                                        ; -- End function
	.set _ZN12_GLOBAL__N_127rocblas_gemm_batched_kernelIfLi16ELi16ELi32ELi32ELi8ELi32ELi8ELi8ELi32ELc67ELc67EK16rocblas_bfloat16KffEEvlllT_PT11_llS6_llS4_PT12_llPT13_lli.num_vgpr, 46
	.set _ZN12_GLOBAL__N_127rocblas_gemm_batched_kernelIfLi16ELi16ELi32ELi32ELi8ELi32ELi8ELi8ELi32ELc67ELc67EK16rocblas_bfloat16KffEEvlllT_PT11_llS6_llS4_PT12_llPT13_lli.num_agpr, 0
	.set _ZN12_GLOBAL__N_127rocblas_gemm_batched_kernelIfLi16ELi16ELi32ELi32ELi8ELi32ELi8ELi8ELi32ELc67ELc67EK16rocblas_bfloat16KffEEvlllT_PT11_llS6_llS4_PT12_llPT13_lli.numbered_sgpr, 22
	.set _ZN12_GLOBAL__N_127rocblas_gemm_batched_kernelIfLi16ELi16ELi32ELi32ELi8ELi32ELi8ELi8ELi32ELc67ELc67EK16rocblas_bfloat16KffEEvlllT_PT11_llS6_llS4_PT12_llPT13_lli.num_named_barrier, 0
	.set _ZN12_GLOBAL__N_127rocblas_gemm_batched_kernelIfLi16ELi16ELi32ELi32ELi8ELi32ELi8ELi8ELi32ELc67ELc67EK16rocblas_bfloat16KffEEvlllT_PT11_llS6_llS4_PT12_llPT13_lli.private_seg_size, 0
	.set _ZN12_GLOBAL__N_127rocblas_gemm_batched_kernelIfLi16ELi16ELi32ELi32ELi8ELi32ELi8ELi8ELi32ELc67ELc67EK16rocblas_bfloat16KffEEvlllT_PT11_llS6_llS4_PT12_llPT13_lli.uses_vcc, 1
	.set _ZN12_GLOBAL__N_127rocblas_gemm_batched_kernelIfLi16ELi16ELi32ELi32ELi8ELi32ELi8ELi8ELi32ELc67ELc67EK16rocblas_bfloat16KffEEvlllT_PT11_llS6_llS4_PT12_llPT13_lli.uses_flat_scratch, 0
	.set _ZN12_GLOBAL__N_127rocblas_gemm_batched_kernelIfLi16ELi16ELi32ELi32ELi8ELi32ELi8ELi8ELi32ELc67ELc67EK16rocblas_bfloat16KffEEvlllT_PT11_llS6_llS4_PT12_llPT13_lli.has_dyn_sized_stack, 0
	.set _ZN12_GLOBAL__N_127rocblas_gemm_batched_kernelIfLi16ELi16ELi32ELi32ELi8ELi32ELi8ELi8ELi32ELc67ELc67EK16rocblas_bfloat16KffEEvlllT_PT11_llS6_llS4_PT12_llPT13_lli.has_recursion, 0
	.set _ZN12_GLOBAL__N_127rocblas_gemm_batched_kernelIfLi16ELi16ELi32ELi32ELi8ELi32ELi8ELi8ELi32ELc67ELc67EK16rocblas_bfloat16KffEEvlllT_PT11_llS6_llS4_PT12_llPT13_lli.has_indirect_call, 0
	.section	.AMDGPU.csdata,"",@progbits
; Kernel info:
; codeLenInByte = 1400
; TotalNumSgprs: 24
; NumVgprs: 46
; ScratchSize: 0
; MemoryBound: 0
; FloatMode: 240
; IeeeMode: 1
; LDSByteSize: 2048 bytes/workgroup (compile time only)
; SGPRBlocks: 0
; VGPRBlocks: 5
; NumSGPRsForWavesPerEU: 24
; NumVGPRsForWavesPerEU: 46
; Occupancy: 16
; WaveLimiterHint : 0
; COMPUTE_PGM_RSRC2:SCRATCH_EN: 0
; COMPUTE_PGM_RSRC2:USER_SGPR: 6
; COMPUTE_PGM_RSRC2:TRAP_HANDLER: 0
; COMPUTE_PGM_RSRC2:TGID_X_EN: 1
; COMPUTE_PGM_RSRC2:TGID_Y_EN: 1
; COMPUTE_PGM_RSRC2:TGID_Z_EN: 1
; COMPUTE_PGM_RSRC2:TIDIG_COMP_CNT: 1
	.section	.text._ZN12_GLOBAL__N_127rocblas_gemm_batched_kernelIfLi16ELi16ELi32ELi32ELi8ELi32ELi8ELi8ELi32ELc67ELc78EK16rocblas_bfloat16KffEEvlllT_PT11_llS6_llS4_PT12_llPT13_lli,"axG",@progbits,_ZN12_GLOBAL__N_127rocblas_gemm_batched_kernelIfLi16ELi16ELi32ELi32ELi8ELi32ELi8ELi8ELi32ELc67ELc78EK16rocblas_bfloat16KffEEvlllT_PT11_llS6_llS4_PT12_llPT13_lli,comdat
	.globl	_ZN12_GLOBAL__N_127rocblas_gemm_batched_kernelIfLi16ELi16ELi32ELi32ELi8ELi32ELi8ELi8ELi32ELc67ELc78EK16rocblas_bfloat16KffEEvlllT_PT11_llS6_llS4_PT12_llPT13_lli ; -- Begin function _ZN12_GLOBAL__N_127rocblas_gemm_batched_kernelIfLi16ELi16ELi32ELi32ELi8ELi32ELi8ELi8ELi32ELc67ELc78EK16rocblas_bfloat16KffEEvlllT_PT11_llS6_llS4_PT12_llPT13_lli
	.p2align	8
	.type	_ZN12_GLOBAL__N_127rocblas_gemm_batched_kernelIfLi16ELi16ELi32ELi32ELi8ELi32ELi8ELi8ELi32ELc67ELc78EK16rocblas_bfloat16KffEEvlllT_PT11_llS6_llS4_PT12_llPT13_lli,@function
_ZN12_GLOBAL__N_127rocblas_gemm_batched_kernelIfLi16ELi16ELi32ELi32ELi8ELi32ELi8ELi8ELi32ELc67ELc78EK16rocblas_bfloat16KffEEvlllT_PT11_llS6_llS4_PT12_llPT13_lli: ; @_ZN12_GLOBAL__N_127rocblas_gemm_batched_kernelIfLi16ELi16ELi32ELi32ELi8ELi32ELi8ELi8ELi32ELc67ELc78EK16rocblas_bfloat16KffEEvlllT_PT11_llS6_llS4_PT12_llPT13_lli
; %bb.0:
	s_load_dwordx2 s[20:21], s[4:5], 0x10
	s_mov_b32 s0, s7
	v_mov_b32_e32 v9, 0
	v_mov_b32_e32 v8, 0
	;; [unrolled: 1-line block ×4, first 2 shown]
	s_ashr_i32 s7, s6, 31
	s_ashr_i32 s1, s0, 31
	s_lshl_b64 s[6:7], s[6:7], 5
	s_lshl_b64 s[10:11], s[0:1], 5
	s_waitcnt lgkmcnt(0)
	v_cmp_lt_i64_e64 s2, s[20:21], 1
	s_and_b32 vcc_lo, exec_lo, s2
	s_cbranch_vccnz .LBB459_3
; %bb.1:
	s_load_dwordx4 s[0:3], s[4:5], 0x40
	v_lshl_add_u32 v2, v1, 4, v0
	s_load_dwordx8 s[12:19], s[4:5], 0x20
	v_and_b32_e32 v7, 7, v0
	v_mov_b32_e32 v6, 0
	v_lshlrev_b32_e32 v10, 2, v0
	v_lshrrev_b32_e32 v3, 3, v2
	v_and_b32_e32 v4, 31, v2
	v_lshlrev_b32_e32 v5, 2, v7
	v_lshrrev_b32_e32 v14, 5, v2
	v_add_co_u32 v8, s9, v3, s10
	v_add_co_ci_u32_e64 v9, null, 0, s11, s9
	v_lshl_or_b32 v5, v3, 5, v5
	v_lshlrev_b32_e32 v11, 2, v4
	v_add_nc_u32_e32 v12, 0x400, v5
	s_waitcnt lgkmcnt(0)
	v_mul_lo_u32 v13, s1, v8
	v_mul_lo_u32 v9, s0, v9
	v_mad_u64_u32 v[2:3], null, s0, v8, 0
	v_add_co_u32 v4, s0, s6, v4
	v_add_co_ci_u32_e64 v8, null, s7, 0, s0
	s_mul_i32 s0, s3, s8
	v_mul_lo_u32 v15, s15, v4
	v_add3_u32 v3, v3, v9, v13
	v_mul_lo_u32 v8, s14, v8
	v_mad_u64_u32 v[4:5], null, s14, v4, 0
	s_mul_hi_u32 s1, s2, s8
	v_lshlrev_b64 v[2:3], 1, v[2:3]
	s_add_i32 s1, s1, s0
	s_mul_i32 s0, s2, s8
	v_lshl_or_b32 v11, v14, 7, v11
	s_lshl_b64 s[0:1], s[0:1], 1
	v_add3_u32 v5, v5, v8, v15
	v_add_co_u32 v8, vcc_lo, v2, s0
	v_add_co_ci_u32_e64 v9, null, s1, v3, vcc_lo
	s_mul_i32 s0, s17, s8
	s_mul_hi_u32 s1, s16, s8
	v_lshlrev_b64 v[2:3], 1, v[4:5]
	s_add_i32 s1, s1, s0
	s_mul_i32 s0, s16, s8
	v_lshlrev_b32_e32 v4, 1, v7
	s_lshl_b64 s[0:1], s[0:1], 1
	v_lshlrev_b32_e32 v5, 1, v14
	v_add_co_u32 v2, vcc_lo, v2, s0
	v_add_co_ci_u32_e64 v3, null, s1, v3, vcc_lo
	v_add_co_u32 v4, vcc_lo, v8, v4
	v_add_co_ci_u32_e64 v7, null, 0, v9, vcc_lo
	;; [unrolled: 2-line block ×4, first 2 shown]
	v_add_co_u32 v4, vcc_lo, s12, v5
	v_lshl_add_u32 v13, v1, 5, 0x400
	v_add_co_ci_u32_e64 v5, null, s13, v8, vcc_lo
	v_mov_b32_e32 v7, 0
	v_mov_b32_e32 v8, 0
	v_mov_b32_e32 v9, 0
	s_mov_b64 s[0:1], 0
.LBB459_2:                              ; =>This Inner Loop Header: Depth=1
	global_load_ushort v14, v[4:5], off
	global_load_ushort v15, v[2:3], off
	s_add_u32 s0, s0, 8
	s_addc_u32 s1, s1, 0
	v_add_co_u32 v2, vcc_lo, v2, 16
	v_cmp_lt_i64_e64 s2, s[0:1], s[20:21]
	v_add_co_ci_u32_e64 v3, null, 0, v3, vcc_lo
	v_add_co_u32 v4, vcc_lo, v4, 16
	v_add_co_ci_u32_e64 v5, null, 0, v5, vcc_lo
	s_and_b32 vcc_lo, exec_lo, s2
	s_waitcnt vmcnt(1)
	v_lshlrev_b32_e32 v14, 16, v14
	s_waitcnt vmcnt(0)
	v_lshlrev_b32_e32 v15, 16, v15
	ds_write_b32 v11, v14
	ds_write_b32 v12, v15
	s_waitcnt lgkmcnt(0)
	s_barrier
	buffer_gl0_inv
	ds_read_b128 v[14:17], v13
	ds_read2_b32 v[30:31], v10 offset1:16
	ds_read_b128 v[18:21], v13 offset:512
	ds_read2_b32 v[32:33], v10 offset0:32 offset1:48
	ds_read2_b32 v[34:35], v10 offset0:64 offset1:80
	ds_read_b128 v[22:25], v13 offset:16
	ds_read2_b32 v[36:37], v10 offset0:96 offset1:112
	ds_read2_b32 v[38:39], v10 offset0:128 offset1:144
	;; [unrolled: 3-line block ×3, first 2 shown]
	ds_read2_b32 v[44:45], v10 offset0:224 offset1:240
	s_waitcnt lgkmcnt(0)
	s_barrier
	buffer_gl0_inv
	v_fmac_f32_e32 v9, v30, v14
	v_fmac_f32_e32 v8, v31, v14
	;; [unrolled: 1-line block ×32, first 2 shown]
	s_cbranch_vccnz .LBB459_2
.LBB459_3:
	s_clause 0x3
	s_load_dwordx4 s[0:3], s[4:5], 0x78
	s_load_dword s9, s[4:5], 0x50
	s_load_dwordx8 s[12:19], s[4:5], 0x58
	s_load_dword s4, s[4:5], 0x18
	v_add_co_u32 v3, s5, s6, v0
	v_add_co_ci_u32_e64 v4, null, s7, 0, s5
	v_add_co_u32 v2, s5, s10, v1
	v_add_co_ci_u32_e64 v5, null, s11, 0, s5
	v_lshlrev_b64 v[0:1], 2, v[3:4]
	s_waitcnt lgkmcnt(0)
	s_mul_i32 s3, s3, s8
	s_mul_hi_u32 s5, s2, s8
	v_mul_lo_u32 v3, v5, s0
	v_mul_lo_u32 v4, v2, s1
	s_mul_i32 s2, s2, s8
	v_cmp_neq_f32_e64 s6, s9, 0
	s_add_i32 s3, s5, s3
	s_mov_b32 s5, 0
	s_lshl_b64 s[2:3], s[2:3], 2
	s_add_u32 s2, s18, s2
	s_addc_u32 s3, s19, s3
	s_and_b32 vcc_lo, exec_lo, s6
	s_cbranch_vccnz .LBB459_7
; %bb.4:
	v_mad_u64_u32 v[10:11], null, v2, s0, 0
	s_lshl_b64 s[6:7], s[0:1], 6
	v_mul_f32_e32 v14, s4, v9
	v_mul_f32_e32 v15, s4, v8
	;; [unrolled: 1-line block ×4, first 2 shown]
	v_add3_u32 v11, v11, v4, v3
	v_lshlrev_b64 v[10:11], 2, v[10:11]
	v_add_co_u32 v10, vcc_lo, s2, v10
	v_add_co_ci_u32_e64 v11, null, s3, v11, vcc_lo
	v_add_co_u32 v12, vcc_lo, v10, s6
	v_add_co_ci_u32_e64 v13, null, s7, v11, vcc_lo
	;; [unrolled: 2-line block ×4, first 2 shown]
	global_store_dword v[10:11], v14, off
	global_store_dword v[10:11], v15, off offset:64
	global_store_dword v[12:13], v16, off
	global_store_dword v[12:13], v17, off offset:64
	s_andn2_b32 vcc_lo, exec_lo, s5
	s_cbranch_vccnz .LBB459_6
.LBB459_5:
	v_mul_lo_u32 v5, v5, s14
	v_mul_lo_u32 v12, v2, s15
	v_mad_u64_u32 v[10:11], null, v2, s14, 0
	s_mul_i32 s5, s17, s8
	s_mul_hi_u32 s7, s16, s8
	s_mul_i32 s6, s16, s8
	s_add_i32 s7, s7, s5
	s_lshl_b64 s[6:7], s[6:7], 2
	v_add3_u32 v11, v11, v12, v5
	s_add_u32 s5, s12, s6
	s_addc_u32 s6, s13, s7
	v_mad_u64_u32 v[12:13], null, v2, s0, 0
	v_lshlrev_b64 v[10:11], 2, v[10:11]
	s_lshl_b64 s[0:1], s[0:1], 6
	v_add3_u32 v13, v13, v4, v3
	v_add_co_u32 v5, vcc_lo, s5, v10
	v_add_co_ci_u32_e64 v14, null, s6, v11, vcc_lo
	v_lshlrev_b64 v[2:3], 2, v[12:13]
	v_add_co_u32 v10, vcc_lo, v5, v0
	v_add_co_ci_u32_e64 v11, null, v14, v1, vcc_lo
	v_add_co_u32 v12, vcc_lo, s2, v2
	global_load_dword v15, v[10:11], off
	v_add_co_ci_u32_e64 v13, null, s3, v3, vcc_lo
	v_add_co_u32 v2, vcc_lo, v12, v0
	s_lshl_b64 s[2:3], s[14:15], 6
	v_add_co_ci_u32_e64 v3, null, v13, v1, vcc_lo
	s_waitcnt vmcnt(0)
	v_mul_f32_e32 v4, s9, v15
	v_fmac_f32_e32 v4, s4, v9
	global_store_dword v[2:3], v4, off
	global_load_dword v4, v[10:11], off offset:64
	s_waitcnt vmcnt(0)
	v_mul_f32_e32 v9, s9, v4
	v_add_co_u32 v4, vcc_lo, v5, s2
	v_add_co_ci_u32_e64 v5, null, s3, v14, vcc_lo
	v_fmac_f32_e32 v9, s4, v8
	v_add_co_u32 v4, vcc_lo, v4, v0
	v_add_co_ci_u32_e64 v5, null, v5, v1, vcc_lo
	global_store_dword v[2:3], v9, off offset:64
	v_add_co_u32 v3, vcc_lo, v12, s0
	global_load_dword v2, v[4:5], off
	v_add_co_ci_u32_e64 v8, null, s1, v13, vcc_lo
	v_add_co_u32 v0, vcc_lo, v3, v0
	v_add_co_ci_u32_e64 v1, null, v8, v1, vcc_lo
	s_waitcnt vmcnt(0)
	v_mul_f32_e32 v2, s9, v2
	v_fmac_f32_e32 v2, s4, v7
	global_store_dword v[0:1], v2, off
	global_load_dword v2, v[4:5], off offset:64
	s_waitcnt vmcnt(0)
	v_mul_f32_e32 v2, s9, v2
	v_fmac_f32_e32 v2, s4, v6
	global_store_dword v[0:1], v2, off offset:64
.LBB459_6:
	s_endpgm
.LBB459_7:
	s_branch .LBB459_5
	.section	.rodata,"a",@progbits
	.p2align	6, 0x0
	.amdhsa_kernel _ZN12_GLOBAL__N_127rocblas_gemm_batched_kernelIfLi16ELi16ELi32ELi32ELi8ELi32ELi8ELi8ELi32ELc67ELc78EK16rocblas_bfloat16KffEEvlllT_PT11_llS6_llS4_PT12_llPT13_lli
		.amdhsa_group_segment_fixed_size 2048
		.amdhsa_private_segment_fixed_size 0
		.amdhsa_kernarg_size 140
		.amdhsa_user_sgpr_count 6
		.amdhsa_user_sgpr_private_segment_buffer 1
		.amdhsa_user_sgpr_dispatch_ptr 0
		.amdhsa_user_sgpr_queue_ptr 0
		.amdhsa_user_sgpr_kernarg_segment_ptr 1
		.amdhsa_user_sgpr_dispatch_id 0
		.amdhsa_user_sgpr_flat_scratch_init 0
		.amdhsa_user_sgpr_private_segment_size 0
		.amdhsa_wavefront_size32 1
		.amdhsa_uses_dynamic_stack 0
		.amdhsa_system_sgpr_private_segment_wavefront_offset 0
		.amdhsa_system_sgpr_workgroup_id_x 1
		.amdhsa_system_sgpr_workgroup_id_y 1
		.amdhsa_system_sgpr_workgroup_id_z 1
		.amdhsa_system_sgpr_workgroup_info 0
		.amdhsa_system_vgpr_workitem_id 1
		.amdhsa_next_free_vgpr 46
		.amdhsa_next_free_sgpr 22
		.amdhsa_reserve_vcc 1
		.amdhsa_reserve_flat_scratch 0
		.amdhsa_float_round_mode_32 0
		.amdhsa_float_round_mode_16_64 0
		.amdhsa_float_denorm_mode_32 3
		.amdhsa_float_denorm_mode_16_64 3
		.amdhsa_dx10_clamp 1
		.amdhsa_ieee_mode 1
		.amdhsa_fp16_overflow 0
		.amdhsa_workgroup_processor_mode 1
		.amdhsa_memory_ordered 1
		.amdhsa_forward_progress 1
		.amdhsa_shared_vgpr_count 0
		.amdhsa_exception_fp_ieee_invalid_op 0
		.amdhsa_exception_fp_denorm_src 0
		.amdhsa_exception_fp_ieee_div_zero 0
		.amdhsa_exception_fp_ieee_overflow 0
		.amdhsa_exception_fp_ieee_underflow 0
		.amdhsa_exception_fp_ieee_inexact 0
		.amdhsa_exception_int_div_zero 0
	.end_amdhsa_kernel
	.section	.text._ZN12_GLOBAL__N_127rocblas_gemm_batched_kernelIfLi16ELi16ELi32ELi32ELi8ELi32ELi8ELi8ELi32ELc67ELc78EK16rocblas_bfloat16KffEEvlllT_PT11_llS6_llS4_PT12_llPT13_lli,"axG",@progbits,_ZN12_GLOBAL__N_127rocblas_gemm_batched_kernelIfLi16ELi16ELi32ELi32ELi8ELi32ELi8ELi8ELi32ELc67ELc78EK16rocblas_bfloat16KffEEvlllT_PT11_llS6_llS4_PT12_llPT13_lli,comdat
.Lfunc_end459:
	.size	_ZN12_GLOBAL__N_127rocblas_gemm_batched_kernelIfLi16ELi16ELi32ELi32ELi8ELi32ELi8ELi8ELi32ELc67ELc78EK16rocblas_bfloat16KffEEvlllT_PT11_llS6_llS4_PT12_llPT13_lli, .Lfunc_end459-_ZN12_GLOBAL__N_127rocblas_gemm_batched_kernelIfLi16ELi16ELi32ELi32ELi8ELi32ELi8ELi8ELi32ELc67ELc78EK16rocblas_bfloat16KffEEvlllT_PT11_llS6_llS4_PT12_llPT13_lli
                                        ; -- End function
	.set _ZN12_GLOBAL__N_127rocblas_gemm_batched_kernelIfLi16ELi16ELi32ELi32ELi8ELi32ELi8ELi8ELi32ELc67ELc78EK16rocblas_bfloat16KffEEvlllT_PT11_llS6_llS4_PT12_llPT13_lli.num_vgpr, 46
	.set _ZN12_GLOBAL__N_127rocblas_gemm_batched_kernelIfLi16ELi16ELi32ELi32ELi8ELi32ELi8ELi8ELi32ELc67ELc78EK16rocblas_bfloat16KffEEvlllT_PT11_llS6_llS4_PT12_llPT13_lli.num_agpr, 0
	.set _ZN12_GLOBAL__N_127rocblas_gemm_batched_kernelIfLi16ELi16ELi32ELi32ELi8ELi32ELi8ELi8ELi32ELc67ELc78EK16rocblas_bfloat16KffEEvlllT_PT11_llS6_llS4_PT12_llPT13_lli.numbered_sgpr, 22
	.set _ZN12_GLOBAL__N_127rocblas_gemm_batched_kernelIfLi16ELi16ELi32ELi32ELi8ELi32ELi8ELi8ELi32ELc67ELc78EK16rocblas_bfloat16KffEEvlllT_PT11_llS6_llS4_PT12_llPT13_lli.num_named_barrier, 0
	.set _ZN12_GLOBAL__N_127rocblas_gemm_batched_kernelIfLi16ELi16ELi32ELi32ELi8ELi32ELi8ELi8ELi32ELc67ELc78EK16rocblas_bfloat16KffEEvlllT_PT11_llS6_llS4_PT12_llPT13_lli.private_seg_size, 0
	.set _ZN12_GLOBAL__N_127rocblas_gemm_batched_kernelIfLi16ELi16ELi32ELi32ELi8ELi32ELi8ELi8ELi32ELc67ELc78EK16rocblas_bfloat16KffEEvlllT_PT11_llS6_llS4_PT12_llPT13_lli.uses_vcc, 1
	.set _ZN12_GLOBAL__N_127rocblas_gemm_batched_kernelIfLi16ELi16ELi32ELi32ELi8ELi32ELi8ELi8ELi32ELc67ELc78EK16rocblas_bfloat16KffEEvlllT_PT11_llS6_llS4_PT12_llPT13_lli.uses_flat_scratch, 0
	.set _ZN12_GLOBAL__N_127rocblas_gemm_batched_kernelIfLi16ELi16ELi32ELi32ELi8ELi32ELi8ELi8ELi32ELc67ELc78EK16rocblas_bfloat16KffEEvlllT_PT11_llS6_llS4_PT12_llPT13_lli.has_dyn_sized_stack, 0
	.set _ZN12_GLOBAL__N_127rocblas_gemm_batched_kernelIfLi16ELi16ELi32ELi32ELi8ELi32ELi8ELi8ELi32ELc67ELc78EK16rocblas_bfloat16KffEEvlllT_PT11_llS6_llS4_PT12_llPT13_lli.has_recursion, 0
	.set _ZN12_GLOBAL__N_127rocblas_gemm_batched_kernelIfLi16ELi16ELi32ELi32ELi8ELi32ELi8ELi8ELi32ELc67ELc78EK16rocblas_bfloat16KffEEvlllT_PT11_llS6_llS4_PT12_llPT13_lli.has_indirect_call, 0
	.section	.AMDGPU.csdata,"",@progbits
; Kernel info:
; codeLenInByte = 1432
; TotalNumSgprs: 24
; NumVgprs: 46
; ScratchSize: 0
; MemoryBound: 0
; FloatMode: 240
; IeeeMode: 1
; LDSByteSize: 2048 bytes/workgroup (compile time only)
; SGPRBlocks: 0
; VGPRBlocks: 5
; NumSGPRsForWavesPerEU: 24
; NumVGPRsForWavesPerEU: 46
; Occupancy: 16
; WaveLimiterHint : 0
; COMPUTE_PGM_RSRC2:SCRATCH_EN: 0
; COMPUTE_PGM_RSRC2:USER_SGPR: 6
; COMPUTE_PGM_RSRC2:TRAP_HANDLER: 0
; COMPUTE_PGM_RSRC2:TGID_X_EN: 1
; COMPUTE_PGM_RSRC2:TGID_Y_EN: 1
; COMPUTE_PGM_RSRC2:TGID_Z_EN: 1
; COMPUTE_PGM_RSRC2:TIDIG_COMP_CNT: 1
	.section	.text._ZN12_GLOBAL__N_127rocblas_gemm_batched_kernelIfLi16ELi16ELi32ELi32ELi8ELi32ELi8ELi8ELi32ELc67ELc84EK16rocblas_bfloat16KffEEvlllT_PT11_llS6_llS4_PT12_llPT13_lli,"axG",@progbits,_ZN12_GLOBAL__N_127rocblas_gemm_batched_kernelIfLi16ELi16ELi32ELi32ELi8ELi32ELi8ELi8ELi32ELc67ELc84EK16rocblas_bfloat16KffEEvlllT_PT11_llS6_llS4_PT12_llPT13_lli,comdat
	.globl	_ZN12_GLOBAL__N_127rocblas_gemm_batched_kernelIfLi16ELi16ELi32ELi32ELi8ELi32ELi8ELi8ELi32ELc67ELc84EK16rocblas_bfloat16KffEEvlllT_PT11_llS6_llS4_PT12_llPT13_lli ; -- Begin function _ZN12_GLOBAL__N_127rocblas_gemm_batched_kernelIfLi16ELi16ELi32ELi32ELi8ELi32ELi8ELi8ELi32ELc67ELc84EK16rocblas_bfloat16KffEEvlllT_PT11_llS6_llS4_PT12_llPT13_lli
	.p2align	8
	.type	_ZN12_GLOBAL__N_127rocblas_gemm_batched_kernelIfLi16ELi16ELi32ELi32ELi8ELi32ELi8ELi8ELi32ELc67ELc84EK16rocblas_bfloat16KffEEvlllT_PT11_llS6_llS4_PT12_llPT13_lli,@function
_ZN12_GLOBAL__N_127rocblas_gemm_batched_kernelIfLi16ELi16ELi32ELi32ELi8ELi32ELi8ELi8ELi32ELc67ELc84EK16rocblas_bfloat16KffEEvlllT_PT11_llS6_llS4_PT12_llPT13_lli: ; @_ZN12_GLOBAL__N_127rocblas_gemm_batched_kernelIfLi16ELi16ELi32ELi32ELi8ELi32ELi8ELi8ELi32ELc67ELc84EK16rocblas_bfloat16KffEEvlllT_PT11_llS6_llS4_PT12_llPT13_lli
; %bb.0:
	s_load_dwordx2 s[20:21], s[4:5], 0x10
	s_mov_b32 s0, s7
	v_mov_b32_e32 v9, 0
	v_mov_b32_e32 v8, 0
	;; [unrolled: 1-line block ×4, first 2 shown]
	s_ashr_i32 s7, s6, 31
	s_ashr_i32 s1, s0, 31
	s_lshl_b64 s[6:7], s[6:7], 5
	s_lshl_b64 s[10:11], s[0:1], 5
	s_waitcnt lgkmcnt(0)
	v_cmp_lt_i64_e64 s2, s[20:21], 1
	s_and_b32 vcc_lo, exec_lo, s2
	s_cbranch_vccnz .LBB460_3
; %bb.1:
	s_clause 0x1
	s_load_dwordx8 s[12:19], s[4:5], 0x20
	s_load_dwordx4 s[0:3], s[4:5], 0x40
	v_lshl_add_u32 v4, v1, 4, v0
	v_and_b32_e32 v8, 7, v0
	v_mov_b32_e32 v3, 0
	v_lshlrev_b32_e32 v10, 2, v0
	v_lshl_add_u32 v11, v1, 5, 0x400
	v_and_b32_e32 v5, 31, v4
	v_lshrrev_b32_e32 v2, 3, v4
	v_lshlrev_b32_e32 v6, 2, v8
	v_lshrrev_b32_e32 v14, 5, v4
	v_lshlrev_b32_e32 v4, 2, v5
	v_lshl_or_b32 v9, v2, 5, v6
	v_add_co_u32 v6, s9, s6, v5
	v_add_co_ci_u32_e64 v7, null, s7, 0, s9
	v_lshl_or_b32 v12, v14, 7, v4
	s_waitcnt lgkmcnt(0)
	v_mul_lo_u32 v15, s15, v6
	v_mad_u64_u32 v[4:5], null, s0, v8, v[2:3]
	v_mul_lo_u32 v16, s14, v7
	v_mad_u64_u32 v[6:7], null, s14, v6, 0
	s_mul_i32 s3, s3, s8
	s_mul_hi_u32 s9, s2, s8
	s_mul_i32 s2, s2, s8
	v_mov_b32_e32 v2, v5
	s_add_i32 s3, s9, s3
	v_add_nc_u32_e32 v13, 0x400, v9
	v_add3_u32 v7, v7, v16, v15
	s_lshl_b64 s[2:3], s[2:3], 1
	v_mad_u64_u32 v[8:9], null, s1, v8, v[2:3]
	s_add_u32 s9, s18, s2
	s_addc_u32 s14, s19, s3
	s_mul_i32 s2, s17, s8
	s_mul_hi_u32 s3, s16, s8
	v_lshlrev_b64 v[5:6], 1, v[6:7]
	v_add_co_u32 v7, vcc_lo, v4, s10
	s_add_i32 s3, s3, s2
	s_mul_i32 s2, s16, s8
	v_add_co_ci_u32_e64 v8, null, s11, v8, vcc_lo
	s_lshl_b64 s[2:3], s[2:3], 1
	v_lshlrev_b32_e32 v2, 1, v14
	v_add_co_u32 v9, vcc_lo, v5, s2
	v_add_co_ci_u32_e64 v6, null, s3, v6, vcc_lo
	v_lshlrev_b64 v[4:5], 1, v[7:8]
	v_add_co_u32 v2, vcc_lo, v9, v2
	v_add_co_ci_u32_e64 v7, null, 0, v6, vcc_lo
	v_mov_b32_e32 v8, v3
	v_add_co_u32 v4, vcc_lo, s9, v4
	v_add_co_ci_u32_e64 v5, null, s14, v5, vcc_lo
	v_add_co_u32 v6, vcc_lo, s12, v2
	v_add_co_ci_u32_e64 v7, null, s13, v7, vcc_lo
	v_mov_b32_e32 v2, v3
	v_mov_b32_e32 v9, v3
	s_lshl_b64 s[0:1], s[0:1], 4
	s_mov_b64 s[2:3], 0
.LBB460_2:                              ; =>This Inner Loop Header: Depth=1
	global_load_ushort v14, v[6:7], off
	global_load_ushort v15, v[4:5], off
	s_add_u32 s2, s2, 8
	s_addc_u32 s3, s3, 0
	v_add_co_u32 v4, vcc_lo, v4, s0
	v_cmp_lt_i64_e64 s9, s[2:3], s[20:21]
	v_add_co_ci_u32_e64 v5, null, s1, v5, vcc_lo
	v_add_co_u32 v6, vcc_lo, v6, 16
	v_add_co_ci_u32_e64 v7, null, 0, v7, vcc_lo
	s_and_b32 vcc_lo, exec_lo, s9
	s_waitcnt vmcnt(1)
	v_lshlrev_b32_e32 v14, 16, v14
	s_waitcnt vmcnt(0)
	v_lshlrev_b32_e32 v15, 16, v15
	ds_write_b32 v12, v14
	ds_write_b32 v13, v15
	s_waitcnt lgkmcnt(0)
	s_barrier
	buffer_gl0_inv
	ds_read_b128 v[14:17], v11
	ds_read2_b32 v[30:31], v10 offset1:16
	ds_read_b128 v[18:21], v11 offset:512
	ds_read2_b32 v[32:33], v10 offset0:32 offset1:48
	ds_read2_b32 v[34:35], v10 offset0:64 offset1:80
	ds_read_b128 v[22:25], v11 offset:16
	ds_read2_b32 v[36:37], v10 offset0:96 offset1:112
	ds_read2_b32 v[38:39], v10 offset0:128 offset1:144
	;; [unrolled: 3-line block ×3, first 2 shown]
	ds_read2_b32 v[44:45], v10 offset0:224 offset1:240
	s_waitcnt lgkmcnt(0)
	s_barrier
	buffer_gl0_inv
	v_fmac_f32_e32 v9, v30, v14
	v_fmac_f32_e32 v8, v31, v14
	;; [unrolled: 1-line block ×32, first 2 shown]
	s_cbranch_vccnz .LBB460_2
.LBB460_3:
	s_clause 0x3
	s_load_dwordx4 s[0:3], s[4:5], 0x78
	s_load_dword s9, s[4:5], 0x50
	s_load_dwordx8 s[12:19], s[4:5], 0x58
	s_load_dword s4, s[4:5], 0x18
	v_add_co_u32 v5, s5, s6, v0
	v_add_co_ci_u32_e64 v6, null, s7, 0, s5
	v_add_co_u32 v4, s5, s10, v1
	v_add_co_ci_u32_e64 v7, null, s11, 0, s5
	v_lshlrev_b64 v[0:1], 2, v[5:6]
	s_waitcnt lgkmcnt(0)
	s_mul_i32 s3, s3, s8
	s_mul_hi_u32 s5, s2, s8
	v_mul_lo_u32 v5, v7, s0
	v_mul_lo_u32 v6, v4, s1
	s_mul_i32 s2, s2, s8
	v_cmp_neq_f32_e64 s6, s9, 0
	s_add_i32 s3, s5, s3
	s_mov_b32 s5, 0
	s_lshl_b64 s[2:3], s[2:3], 2
	s_add_u32 s2, s18, s2
	s_addc_u32 s3, s19, s3
	s_and_b32 vcc_lo, exec_lo, s6
	s_cbranch_vccnz .LBB460_7
; %bb.4:
	v_mad_u64_u32 v[10:11], null, v4, s0, 0
	s_lshl_b64 s[6:7], s[0:1], 6
	v_mul_f32_e32 v14, s4, v9
	v_mul_f32_e32 v15, s4, v8
	;; [unrolled: 1-line block ×4, first 2 shown]
	v_add3_u32 v11, v11, v6, v5
	v_lshlrev_b64 v[10:11], 2, v[10:11]
	v_add_co_u32 v10, vcc_lo, s2, v10
	v_add_co_ci_u32_e64 v11, null, s3, v11, vcc_lo
	v_add_co_u32 v12, vcc_lo, v10, s6
	v_add_co_ci_u32_e64 v13, null, s7, v11, vcc_lo
	v_add_co_u32 v10, vcc_lo, v10, v0
	v_add_co_ci_u32_e64 v11, null, v11, v1, vcc_lo
	v_add_co_u32 v12, vcc_lo, v12, v0
	v_add_co_ci_u32_e64 v13, null, v13, v1, vcc_lo
	global_store_dword v[10:11], v14, off
	global_store_dword v[10:11], v15, off offset:64
	global_store_dword v[12:13], v16, off
	global_store_dword v[12:13], v17, off offset:64
	s_andn2_b32 vcc_lo, exec_lo, s5
	s_cbranch_vccnz .LBB460_6
.LBB460_5:
	v_mul_lo_u32 v7, v7, s14
	v_mul_lo_u32 v12, v4, s15
	v_mad_u64_u32 v[10:11], null, v4, s14, 0
	s_mul_i32 s5, s17, s8
	s_mul_hi_u32 s7, s16, s8
	s_mul_i32 s6, s16, s8
	s_add_i32 s7, s7, s5
	s_lshl_b64 s[6:7], s[6:7], 2
	v_add3_u32 v11, v11, v12, v7
	s_add_u32 s5, s12, s6
	s_addc_u32 s6, s13, s7
	v_mad_u64_u32 v[12:13], null, v4, s0, 0
	v_lshlrev_b64 v[10:11], 2, v[10:11]
	s_lshl_b64 s[0:1], s[0:1], 6
	v_add3_u32 v13, v13, v6, v5
	v_add_co_u32 v7, vcc_lo, s5, v10
	v_add_co_ci_u32_e64 v14, null, s6, v11, vcc_lo
	v_lshlrev_b64 v[4:5], 2, v[12:13]
	v_add_co_u32 v10, vcc_lo, v7, v0
	v_add_co_ci_u32_e64 v11, null, v14, v1, vcc_lo
	v_add_co_u32 v12, vcc_lo, s2, v4
	global_load_dword v15, v[10:11], off
	v_add_co_ci_u32_e64 v13, null, s3, v5, vcc_lo
	v_add_co_u32 v4, vcc_lo, v12, v0
	s_lshl_b64 s[2:3], s[14:15], 6
	v_add_co_ci_u32_e64 v5, null, v13, v1, vcc_lo
	s_waitcnt vmcnt(0)
	v_mul_f32_e32 v6, s9, v15
	v_fmac_f32_e32 v6, s4, v9
	global_store_dword v[4:5], v6, off
	global_load_dword v6, v[10:11], off offset:64
	s_waitcnt vmcnt(0)
	v_mul_f32_e32 v9, s9, v6
	v_add_co_u32 v6, vcc_lo, v7, s2
	v_add_co_ci_u32_e64 v7, null, s3, v14, vcc_lo
	v_fmac_f32_e32 v9, s4, v8
	v_add_co_u32 v6, vcc_lo, v6, v0
	v_add_co_ci_u32_e64 v7, null, v7, v1, vcc_lo
	global_store_dword v[4:5], v9, off offset:64
	v_add_co_u32 v5, vcc_lo, v12, s0
	global_load_dword v4, v[6:7], off
	v_add_co_ci_u32_e64 v8, null, s1, v13, vcc_lo
	v_add_co_u32 v0, vcc_lo, v5, v0
	v_add_co_ci_u32_e64 v1, null, v8, v1, vcc_lo
	s_waitcnt vmcnt(0)
	v_mul_f32_e32 v4, s9, v4
	v_fmac_f32_e32 v4, s4, v2
	global_store_dword v[0:1], v4, off
	global_load_dword v2, v[6:7], off offset:64
	s_waitcnt vmcnt(0)
	v_mul_f32_e32 v2, s9, v2
	v_fmac_f32_e32 v2, s4, v3
	global_store_dword v[0:1], v2, off offset:64
.LBB460_6:
	s_endpgm
.LBB460_7:
	s_branch .LBB460_5
	.section	.rodata,"a",@progbits
	.p2align	6, 0x0
	.amdhsa_kernel _ZN12_GLOBAL__N_127rocblas_gemm_batched_kernelIfLi16ELi16ELi32ELi32ELi8ELi32ELi8ELi8ELi32ELc67ELc84EK16rocblas_bfloat16KffEEvlllT_PT11_llS6_llS4_PT12_llPT13_lli
		.amdhsa_group_segment_fixed_size 2048
		.amdhsa_private_segment_fixed_size 0
		.amdhsa_kernarg_size 140
		.amdhsa_user_sgpr_count 6
		.amdhsa_user_sgpr_private_segment_buffer 1
		.amdhsa_user_sgpr_dispatch_ptr 0
		.amdhsa_user_sgpr_queue_ptr 0
		.amdhsa_user_sgpr_kernarg_segment_ptr 1
		.amdhsa_user_sgpr_dispatch_id 0
		.amdhsa_user_sgpr_flat_scratch_init 0
		.amdhsa_user_sgpr_private_segment_size 0
		.amdhsa_wavefront_size32 1
		.amdhsa_uses_dynamic_stack 0
		.amdhsa_system_sgpr_private_segment_wavefront_offset 0
		.amdhsa_system_sgpr_workgroup_id_x 1
		.amdhsa_system_sgpr_workgroup_id_y 1
		.amdhsa_system_sgpr_workgroup_id_z 1
		.amdhsa_system_sgpr_workgroup_info 0
		.amdhsa_system_vgpr_workitem_id 1
		.amdhsa_next_free_vgpr 46
		.amdhsa_next_free_sgpr 22
		.amdhsa_reserve_vcc 1
		.amdhsa_reserve_flat_scratch 0
		.amdhsa_float_round_mode_32 0
		.amdhsa_float_round_mode_16_64 0
		.amdhsa_float_denorm_mode_32 3
		.amdhsa_float_denorm_mode_16_64 3
		.amdhsa_dx10_clamp 1
		.amdhsa_ieee_mode 1
		.amdhsa_fp16_overflow 0
		.amdhsa_workgroup_processor_mode 1
		.amdhsa_memory_ordered 1
		.amdhsa_forward_progress 1
		.amdhsa_shared_vgpr_count 0
		.amdhsa_exception_fp_ieee_invalid_op 0
		.amdhsa_exception_fp_denorm_src 0
		.amdhsa_exception_fp_ieee_div_zero 0
		.amdhsa_exception_fp_ieee_overflow 0
		.amdhsa_exception_fp_ieee_underflow 0
		.amdhsa_exception_fp_ieee_inexact 0
		.amdhsa_exception_int_div_zero 0
	.end_amdhsa_kernel
	.section	.text._ZN12_GLOBAL__N_127rocblas_gemm_batched_kernelIfLi16ELi16ELi32ELi32ELi8ELi32ELi8ELi8ELi32ELc67ELc84EK16rocblas_bfloat16KffEEvlllT_PT11_llS6_llS4_PT12_llPT13_lli,"axG",@progbits,_ZN12_GLOBAL__N_127rocblas_gemm_batched_kernelIfLi16ELi16ELi32ELi32ELi8ELi32ELi8ELi8ELi32ELc67ELc84EK16rocblas_bfloat16KffEEvlllT_PT11_llS6_llS4_PT12_llPT13_lli,comdat
.Lfunc_end460:
	.size	_ZN12_GLOBAL__N_127rocblas_gemm_batched_kernelIfLi16ELi16ELi32ELi32ELi8ELi32ELi8ELi8ELi32ELc67ELc84EK16rocblas_bfloat16KffEEvlllT_PT11_llS6_llS4_PT12_llPT13_lli, .Lfunc_end460-_ZN12_GLOBAL__N_127rocblas_gemm_batched_kernelIfLi16ELi16ELi32ELi32ELi8ELi32ELi8ELi8ELi32ELc67ELc84EK16rocblas_bfloat16KffEEvlllT_PT11_llS6_llS4_PT12_llPT13_lli
                                        ; -- End function
	.set _ZN12_GLOBAL__N_127rocblas_gemm_batched_kernelIfLi16ELi16ELi32ELi32ELi8ELi32ELi8ELi8ELi32ELc67ELc84EK16rocblas_bfloat16KffEEvlllT_PT11_llS6_llS4_PT12_llPT13_lli.num_vgpr, 46
	.set _ZN12_GLOBAL__N_127rocblas_gemm_batched_kernelIfLi16ELi16ELi32ELi32ELi8ELi32ELi8ELi8ELi32ELc67ELc84EK16rocblas_bfloat16KffEEvlllT_PT11_llS6_llS4_PT12_llPT13_lli.num_agpr, 0
	.set _ZN12_GLOBAL__N_127rocblas_gemm_batched_kernelIfLi16ELi16ELi32ELi32ELi8ELi32ELi8ELi8ELi32ELc67ELc84EK16rocblas_bfloat16KffEEvlllT_PT11_llS6_llS4_PT12_llPT13_lli.numbered_sgpr, 22
	.set _ZN12_GLOBAL__N_127rocblas_gemm_batched_kernelIfLi16ELi16ELi32ELi32ELi8ELi32ELi8ELi8ELi32ELc67ELc84EK16rocblas_bfloat16KffEEvlllT_PT11_llS6_llS4_PT12_llPT13_lli.num_named_barrier, 0
	.set _ZN12_GLOBAL__N_127rocblas_gemm_batched_kernelIfLi16ELi16ELi32ELi32ELi8ELi32ELi8ELi8ELi32ELc67ELc84EK16rocblas_bfloat16KffEEvlllT_PT11_llS6_llS4_PT12_llPT13_lli.private_seg_size, 0
	.set _ZN12_GLOBAL__N_127rocblas_gemm_batched_kernelIfLi16ELi16ELi32ELi32ELi8ELi32ELi8ELi8ELi32ELc67ELc84EK16rocblas_bfloat16KffEEvlllT_PT11_llS6_llS4_PT12_llPT13_lli.uses_vcc, 1
	.set _ZN12_GLOBAL__N_127rocblas_gemm_batched_kernelIfLi16ELi16ELi32ELi32ELi8ELi32ELi8ELi8ELi32ELc67ELc84EK16rocblas_bfloat16KffEEvlllT_PT11_llS6_llS4_PT12_llPT13_lli.uses_flat_scratch, 0
	.set _ZN12_GLOBAL__N_127rocblas_gemm_batched_kernelIfLi16ELi16ELi32ELi32ELi8ELi32ELi8ELi8ELi32ELc67ELc84EK16rocblas_bfloat16KffEEvlllT_PT11_llS6_llS4_PT12_llPT13_lli.has_dyn_sized_stack, 0
	.set _ZN12_GLOBAL__N_127rocblas_gemm_batched_kernelIfLi16ELi16ELi32ELi32ELi8ELi32ELi8ELi8ELi32ELc67ELc84EK16rocblas_bfloat16KffEEvlllT_PT11_llS6_llS4_PT12_llPT13_lli.has_recursion, 0
	.set _ZN12_GLOBAL__N_127rocblas_gemm_batched_kernelIfLi16ELi16ELi32ELi32ELi8ELi32ELi8ELi8ELi32ELc67ELc84EK16rocblas_bfloat16KffEEvlllT_PT11_llS6_llS4_PT12_llPT13_lli.has_indirect_call, 0
	.section	.AMDGPU.csdata,"",@progbits
; Kernel info:
; codeLenInByte = 1400
; TotalNumSgprs: 24
; NumVgprs: 46
; ScratchSize: 0
; MemoryBound: 0
; FloatMode: 240
; IeeeMode: 1
; LDSByteSize: 2048 bytes/workgroup (compile time only)
; SGPRBlocks: 0
; VGPRBlocks: 5
; NumSGPRsForWavesPerEU: 24
; NumVGPRsForWavesPerEU: 46
; Occupancy: 16
; WaveLimiterHint : 0
; COMPUTE_PGM_RSRC2:SCRATCH_EN: 0
; COMPUTE_PGM_RSRC2:USER_SGPR: 6
; COMPUTE_PGM_RSRC2:TRAP_HANDLER: 0
; COMPUTE_PGM_RSRC2:TGID_X_EN: 1
; COMPUTE_PGM_RSRC2:TGID_Y_EN: 1
; COMPUTE_PGM_RSRC2:TGID_Z_EN: 1
; COMPUTE_PGM_RSRC2:TIDIG_COMP_CNT: 1
	.section	.text._ZN12_GLOBAL__N_127rocblas_gemm_batched_kernelIfLi16ELi16ELi32ELi32ELi8ELi32ELi8ELi8ELi32ELc78ELc67EK16rocblas_bfloat16KffEEvlllT_PT11_llS6_llS4_PT12_llPT13_lli,"axG",@progbits,_ZN12_GLOBAL__N_127rocblas_gemm_batched_kernelIfLi16ELi16ELi32ELi32ELi8ELi32ELi8ELi8ELi32ELc78ELc67EK16rocblas_bfloat16KffEEvlllT_PT11_llS6_llS4_PT12_llPT13_lli,comdat
	.globl	_ZN12_GLOBAL__N_127rocblas_gemm_batched_kernelIfLi16ELi16ELi32ELi32ELi8ELi32ELi8ELi8ELi32ELc78ELc67EK16rocblas_bfloat16KffEEvlllT_PT11_llS6_llS4_PT12_llPT13_lli ; -- Begin function _ZN12_GLOBAL__N_127rocblas_gemm_batched_kernelIfLi16ELi16ELi32ELi32ELi8ELi32ELi8ELi8ELi32ELc78ELc67EK16rocblas_bfloat16KffEEvlllT_PT11_llS6_llS4_PT12_llPT13_lli
	.p2align	8
	.type	_ZN12_GLOBAL__N_127rocblas_gemm_batched_kernelIfLi16ELi16ELi32ELi32ELi8ELi32ELi8ELi8ELi32ELc78ELc67EK16rocblas_bfloat16KffEEvlllT_PT11_llS6_llS4_PT12_llPT13_lli,@function
_ZN12_GLOBAL__N_127rocblas_gemm_batched_kernelIfLi16ELi16ELi32ELi32ELi8ELi32ELi8ELi8ELi32ELc78ELc67EK16rocblas_bfloat16KffEEvlllT_PT11_llS6_llS4_PT12_llPT13_lli: ; @_ZN12_GLOBAL__N_127rocblas_gemm_batched_kernelIfLi16ELi16ELi32ELi32ELi8ELi32ELi8ELi8ELi32ELc78ELc67EK16rocblas_bfloat16KffEEvlllT_PT11_llS6_llS4_PT12_llPT13_lli
; %bb.0:
	s_load_dwordx2 s[20:21], s[4:5], 0x10
	s_mov_b32 s0, s7
	v_mov_b32_e32 v9, 0
	v_mov_b32_e32 v8, 0
	;; [unrolled: 1-line block ×4, first 2 shown]
	s_ashr_i32 s7, s6, 31
	s_ashr_i32 s1, s0, 31
	s_lshl_b64 s[6:7], s[6:7], 5
	s_lshl_b64 s[10:11], s[0:1], 5
	s_waitcnt lgkmcnt(0)
	v_cmp_lt_i64_e64 s2, s[20:21], 1
	s_and_b32 vcc_lo, exec_lo, s2
	s_cbranch_vccnz .LBB461_3
; %bb.1:
	s_clause 0x1
	s_load_dwordx4 s[0:3], s[4:5], 0x40
	s_load_dwordx8 s[12:19], s[4:5], 0x20
	v_lshl_add_u32 v3, v1, 4, v0
	v_and_b32_e32 v8, 7, v0
	v_lshlrev_b32_e32 v10, 2, v0
	v_lshl_add_u32 v11, v1, 5, 0x400
	v_lshrrev_b32_e32 v2, 3, v3
	v_and_b32_e32 v14, 31, v3
	v_lshlrev_b32_e32 v4, 2, v8
	v_lshrrev_b32_e32 v9, 5, v3
	v_mov_b32_e32 v3, 0
	v_lshlrev_b32_e32 v5, 2, v14
	v_lshl_or_b32 v4, v2, 5, v4
	v_lshl_or_b32 v12, v9, 7, v5
	v_add_nc_u32_e32 v13, 0x400, v4
	s_waitcnt lgkmcnt(0)
	v_mad_u64_u32 v[4:5], null, s0, v8, v[2:3]
	v_mad_u64_u32 v[6:7], null, s14, v9, s[6:7]
	s_mul_i32 s3, s3, s8
	s_mul_hi_u32 s9, s2, s8
	s_mul_i32 s2, s2, s8
	s_add_i32 s3, s9, s3
	v_mov_b32_e32 v2, v5
	v_add_co_u32 v4, vcc_lo, v4, s10
	v_mov_b32_e32 v5, v7
	s_lshl_b64 s[2:3], s[2:3], 1
	v_mad_u64_u32 v[7:8], null, s1, v8, v[2:3]
	s_mul_i32 s17, s17, s8
	v_mad_u64_u32 v[8:9], null, s15, v9, v[5:6]
	s_mul_hi_u32 s9, s16, s8
	s_add_u32 s18, s18, s2
	s_mul_i32 s16, s16, s8
	v_add_co_ci_u32_e64 v5, null, s11, v7, vcc_lo
	v_add_co_u32 v6, vcc_lo, v6, v14
	v_add_co_ci_u32_e64 v7, null, 0, v8, vcc_lo
	v_lshlrev_b64 v[4:5], 1, v[4:5]
	s_addc_u32 s19, s19, s3
	s_add_i32 s17, s9, s17
	v_lshlrev_b64 v[6:7], 1, v[6:7]
	s_lshl_b64 s[2:3], s[16:17], 1
	s_lshl_b64 s[0:1], s[0:1], 4
	s_add_u32 s2, s12, s2
	v_add_co_u32 v4, vcc_lo, s18, v4
	v_add_co_ci_u32_e64 v5, null, s19, v5, vcc_lo
	s_addc_u32 s3, s13, s3
	v_add_co_u32 v6, vcc_lo, s2, v6
	v_add_co_ci_u32_e64 v7, null, s3, v7, vcc_lo
	v_mov_b32_e32 v2, v3
	v_mov_b32_e32 v8, v3
	;; [unrolled: 1-line block ×3, first 2 shown]
	s_lshl_b64 s[2:3], s[14:15], 4
	s_mov_b64 s[12:13], 0
.LBB461_2:                              ; =>This Inner Loop Header: Depth=1
	global_load_ushort v14, v[6:7], off
	global_load_ushort v15, v[4:5], off
	s_add_u32 s12, s12, 8
	s_addc_u32 s13, s13, 0
	v_add_co_u32 v4, vcc_lo, v4, s0
	v_cmp_lt_i64_e64 s9, s[12:13], s[20:21]
	v_add_co_ci_u32_e64 v5, null, s1, v5, vcc_lo
	v_add_co_u32 v6, vcc_lo, v6, s2
	v_add_co_ci_u32_e64 v7, null, s3, v7, vcc_lo
	s_and_b32 vcc_lo, exec_lo, s9
	s_waitcnt vmcnt(1)
	v_lshlrev_b32_e32 v14, 16, v14
	s_waitcnt vmcnt(0)
	v_lshlrev_b32_e32 v15, 16, v15
	ds_write_b32 v12, v14
	ds_write_b32 v13, v15
	s_waitcnt lgkmcnt(0)
	s_barrier
	buffer_gl0_inv
	ds_read_b128 v[14:17], v11
	ds_read2_b32 v[30:31], v10 offset1:16
	ds_read_b128 v[18:21], v11 offset:512
	ds_read2_b32 v[32:33], v10 offset0:32 offset1:48
	ds_read2_b32 v[34:35], v10 offset0:64 offset1:80
	ds_read_b128 v[22:25], v11 offset:16
	ds_read2_b32 v[36:37], v10 offset0:96 offset1:112
	ds_read2_b32 v[38:39], v10 offset0:128 offset1:144
	;; [unrolled: 3-line block ×3, first 2 shown]
	ds_read2_b32 v[44:45], v10 offset0:224 offset1:240
	s_waitcnt lgkmcnt(0)
	s_barrier
	buffer_gl0_inv
	v_fmac_f32_e32 v9, v30, v14
	v_fmac_f32_e32 v8, v31, v14
	;; [unrolled: 1-line block ×32, first 2 shown]
	s_cbranch_vccnz .LBB461_2
.LBB461_3:
	s_clause 0x3
	s_load_dwordx4 s[0:3], s[4:5], 0x78
	s_load_dword s9, s[4:5], 0x50
	s_load_dwordx8 s[12:19], s[4:5], 0x58
	s_load_dword s4, s[4:5], 0x18
	v_add_co_u32 v5, s5, s6, v0
	v_add_co_ci_u32_e64 v6, null, s7, 0, s5
	v_add_co_u32 v4, s5, s10, v1
	v_add_co_ci_u32_e64 v7, null, s11, 0, s5
	v_lshlrev_b64 v[0:1], 2, v[5:6]
	s_waitcnt lgkmcnt(0)
	s_mul_i32 s3, s3, s8
	s_mul_hi_u32 s5, s2, s8
	v_mul_lo_u32 v5, v7, s0
	v_mul_lo_u32 v6, v4, s1
	s_mul_i32 s2, s2, s8
	v_cmp_neq_f32_e64 s6, s9, 0
	s_add_i32 s3, s5, s3
	s_mov_b32 s5, 0
	s_lshl_b64 s[2:3], s[2:3], 2
	s_add_u32 s2, s18, s2
	s_addc_u32 s3, s19, s3
	s_and_b32 vcc_lo, exec_lo, s6
	s_cbranch_vccnz .LBB461_7
; %bb.4:
	v_mad_u64_u32 v[10:11], null, v4, s0, 0
	s_lshl_b64 s[6:7], s[0:1], 6
	v_mul_f32_e32 v14, s4, v9
	v_mul_f32_e32 v15, s4, v8
	;; [unrolled: 1-line block ×4, first 2 shown]
	v_add3_u32 v11, v11, v6, v5
	v_lshlrev_b64 v[10:11], 2, v[10:11]
	v_add_co_u32 v10, vcc_lo, s2, v10
	v_add_co_ci_u32_e64 v11, null, s3, v11, vcc_lo
	v_add_co_u32 v12, vcc_lo, v10, s6
	v_add_co_ci_u32_e64 v13, null, s7, v11, vcc_lo
	;; [unrolled: 2-line block ×4, first 2 shown]
	global_store_dword v[10:11], v14, off
	global_store_dword v[10:11], v15, off offset:64
	global_store_dword v[12:13], v16, off
	global_store_dword v[12:13], v17, off offset:64
	s_andn2_b32 vcc_lo, exec_lo, s5
	s_cbranch_vccnz .LBB461_6
.LBB461_5:
	v_mul_lo_u32 v7, v7, s14
	v_mul_lo_u32 v12, v4, s15
	v_mad_u64_u32 v[10:11], null, v4, s14, 0
	s_mul_i32 s5, s17, s8
	s_mul_hi_u32 s7, s16, s8
	s_mul_i32 s6, s16, s8
	s_add_i32 s7, s7, s5
	s_lshl_b64 s[6:7], s[6:7], 2
	v_add3_u32 v11, v11, v12, v7
	s_add_u32 s5, s12, s6
	s_addc_u32 s6, s13, s7
	v_mad_u64_u32 v[12:13], null, v4, s0, 0
	v_lshlrev_b64 v[10:11], 2, v[10:11]
	s_lshl_b64 s[0:1], s[0:1], 6
	v_add3_u32 v13, v13, v6, v5
	v_add_co_u32 v7, vcc_lo, s5, v10
	v_add_co_ci_u32_e64 v14, null, s6, v11, vcc_lo
	v_lshlrev_b64 v[4:5], 2, v[12:13]
	v_add_co_u32 v10, vcc_lo, v7, v0
	v_add_co_ci_u32_e64 v11, null, v14, v1, vcc_lo
	v_add_co_u32 v12, vcc_lo, s2, v4
	global_load_dword v15, v[10:11], off
	v_add_co_ci_u32_e64 v13, null, s3, v5, vcc_lo
	v_add_co_u32 v4, vcc_lo, v12, v0
	s_lshl_b64 s[2:3], s[14:15], 6
	v_add_co_ci_u32_e64 v5, null, v13, v1, vcc_lo
	s_waitcnt vmcnt(0)
	v_mul_f32_e32 v6, s9, v15
	v_fmac_f32_e32 v6, s4, v9
	global_store_dword v[4:5], v6, off
	global_load_dword v6, v[10:11], off offset:64
	s_waitcnt vmcnt(0)
	v_mul_f32_e32 v9, s9, v6
	v_add_co_u32 v6, vcc_lo, v7, s2
	v_add_co_ci_u32_e64 v7, null, s3, v14, vcc_lo
	v_fmac_f32_e32 v9, s4, v8
	v_add_co_u32 v6, vcc_lo, v6, v0
	v_add_co_ci_u32_e64 v7, null, v7, v1, vcc_lo
	global_store_dword v[4:5], v9, off offset:64
	v_add_co_u32 v5, vcc_lo, v12, s0
	global_load_dword v4, v[6:7], off
	v_add_co_ci_u32_e64 v8, null, s1, v13, vcc_lo
	v_add_co_u32 v0, vcc_lo, v5, v0
	v_add_co_ci_u32_e64 v1, null, v8, v1, vcc_lo
	s_waitcnt vmcnt(0)
	v_mul_f32_e32 v4, s9, v4
	v_fmac_f32_e32 v4, s4, v2
	global_store_dword v[0:1], v4, off
	global_load_dword v2, v[6:7], off offset:64
	s_waitcnt vmcnt(0)
	v_mul_f32_e32 v2, s9, v2
	v_fmac_f32_e32 v2, s4, v3
	global_store_dword v[0:1], v2, off offset:64
.LBB461_6:
	s_endpgm
.LBB461_7:
	s_branch .LBB461_5
	.section	.rodata,"a",@progbits
	.p2align	6, 0x0
	.amdhsa_kernel _ZN12_GLOBAL__N_127rocblas_gemm_batched_kernelIfLi16ELi16ELi32ELi32ELi8ELi32ELi8ELi8ELi32ELc78ELc67EK16rocblas_bfloat16KffEEvlllT_PT11_llS6_llS4_PT12_llPT13_lli
		.amdhsa_group_segment_fixed_size 2048
		.amdhsa_private_segment_fixed_size 0
		.amdhsa_kernarg_size 140
		.amdhsa_user_sgpr_count 6
		.amdhsa_user_sgpr_private_segment_buffer 1
		.amdhsa_user_sgpr_dispatch_ptr 0
		.amdhsa_user_sgpr_queue_ptr 0
		.amdhsa_user_sgpr_kernarg_segment_ptr 1
		.amdhsa_user_sgpr_dispatch_id 0
		.amdhsa_user_sgpr_flat_scratch_init 0
		.amdhsa_user_sgpr_private_segment_size 0
		.amdhsa_wavefront_size32 1
		.amdhsa_uses_dynamic_stack 0
		.amdhsa_system_sgpr_private_segment_wavefront_offset 0
		.amdhsa_system_sgpr_workgroup_id_x 1
		.amdhsa_system_sgpr_workgroup_id_y 1
		.amdhsa_system_sgpr_workgroup_id_z 1
		.amdhsa_system_sgpr_workgroup_info 0
		.amdhsa_system_vgpr_workitem_id 1
		.amdhsa_next_free_vgpr 46
		.amdhsa_next_free_sgpr 22
		.amdhsa_reserve_vcc 1
		.amdhsa_reserve_flat_scratch 0
		.amdhsa_float_round_mode_32 0
		.amdhsa_float_round_mode_16_64 0
		.amdhsa_float_denorm_mode_32 3
		.amdhsa_float_denorm_mode_16_64 3
		.amdhsa_dx10_clamp 1
		.amdhsa_ieee_mode 1
		.amdhsa_fp16_overflow 0
		.amdhsa_workgroup_processor_mode 1
		.amdhsa_memory_ordered 1
		.amdhsa_forward_progress 1
		.amdhsa_shared_vgpr_count 0
		.amdhsa_exception_fp_ieee_invalid_op 0
		.amdhsa_exception_fp_denorm_src 0
		.amdhsa_exception_fp_ieee_div_zero 0
		.amdhsa_exception_fp_ieee_overflow 0
		.amdhsa_exception_fp_ieee_underflow 0
		.amdhsa_exception_fp_ieee_inexact 0
		.amdhsa_exception_int_div_zero 0
	.end_amdhsa_kernel
	.section	.text._ZN12_GLOBAL__N_127rocblas_gemm_batched_kernelIfLi16ELi16ELi32ELi32ELi8ELi32ELi8ELi8ELi32ELc78ELc67EK16rocblas_bfloat16KffEEvlllT_PT11_llS6_llS4_PT12_llPT13_lli,"axG",@progbits,_ZN12_GLOBAL__N_127rocblas_gemm_batched_kernelIfLi16ELi16ELi32ELi32ELi8ELi32ELi8ELi8ELi32ELc78ELc67EK16rocblas_bfloat16KffEEvlllT_PT11_llS6_llS4_PT12_llPT13_lli,comdat
.Lfunc_end461:
	.size	_ZN12_GLOBAL__N_127rocblas_gemm_batched_kernelIfLi16ELi16ELi32ELi32ELi8ELi32ELi8ELi8ELi32ELc78ELc67EK16rocblas_bfloat16KffEEvlllT_PT11_llS6_llS4_PT12_llPT13_lli, .Lfunc_end461-_ZN12_GLOBAL__N_127rocblas_gemm_batched_kernelIfLi16ELi16ELi32ELi32ELi8ELi32ELi8ELi8ELi32ELc78ELc67EK16rocblas_bfloat16KffEEvlllT_PT11_llS6_llS4_PT12_llPT13_lli
                                        ; -- End function
	.set _ZN12_GLOBAL__N_127rocblas_gemm_batched_kernelIfLi16ELi16ELi32ELi32ELi8ELi32ELi8ELi8ELi32ELc78ELc67EK16rocblas_bfloat16KffEEvlllT_PT11_llS6_llS4_PT12_llPT13_lli.num_vgpr, 46
	.set _ZN12_GLOBAL__N_127rocblas_gemm_batched_kernelIfLi16ELi16ELi32ELi32ELi8ELi32ELi8ELi8ELi32ELc78ELc67EK16rocblas_bfloat16KffEEvlllT_PT11_llS6_llS4_PT12_llPT13_lli.num_agpr, 0
	.set _ZN12_GLOBAL__N_127rocblas_gemm_batched_kernelIfLi16ELi16ELi32ELi32ELi8ELi32ELi8ELi8ELi32ELc78ELc67EK16rocblas_bfloat16KffEEvlllT_PT11_llS6_llS4_PT12_llPT13_lli.numbered_sgpr, 22
	.set _ZN12_GLOBAL__N_127rocblas_gemm_batched_kernelIfLi16ELi16ELi32ELi32ELi8ELi32ELi8ELi8ELi32ELc78ELc67EK16rocblas_bfloat16KffEEvlllT_PT11_llS6_llS4_PT12_llPT13_lli.num_named_barrier, 0
	.set _ZN12_GLOBAL__N_127rocblas_gemm_batched_kernelIfLi16ELi16ELi32ELi32ELi8ELi32ELi8ELi8ELi32ELc78ELc67EK16rocblas_bfloat16KffEEvlllT_PT11_llS6_llS4_PT12_llPT13_lli.private_seg_size, 0
	.set _ZN12_GLOBAL__N_127rocblas_gemm_batched_kernelIfLi16ELi16ELi32ELi32ELi8ELi32ELi8ELi8ELi32ELc78ELc67EK16rocblas_bfloat16KffEEvlllT_PT11_llS6_llS4_PT12_llPT13_lli.uses_vcc, 1
	.set _ZN12_GLOBAL__N_127rocblas_gemm_batched_kernelIfLi16ELi16ELi32ELi32ELi8ELi32ELi8ELi8ELi32ELc78ELc67EK16rocblas_bfloat16KffEEvlllT_PT11_llS6_llS4_PT12_llPT13_lli.uses_flat_scratch, 0
	.set _ZN12_GLOBAL__N_127rocblas_gemm_batched_kernelIfLi16ELi16ELi32ELi32ELi8ELi32ELi8ELi8ELi32ELc78ELc67EK16rocblas_bfloat16KffEEvlllT_PT11_llS6_llS4_PT12_llPT13_lli.has_dyn_sized_stack, 0
	.set _ZN12_GLOBAL__N_127rocblas_gemm_batched_kernelIfLi16ELi16ELi32ELi32ELi8ELi32ELi8ELi8ELi32ELc78ELc67EK16rocblas_bfloat16KffEEvlllT_PT11_llS6_llS4_PT12_llPT13_lli.has_recursion, 0
	.set _ZN12_GLOBAL__N_127rocblas_gemm_batched_kernelIfLi16ELi16ELi32ELi32ELi8ELi32ELi8ELi8ELi32ELc78ELc67EK16rocblas_bfloat16KffEEvlllT_PT11_llS6_llS4_PT12_llPT13_lli.has_indirect_call, 0
	.section	.AMDGPU.csdata,"",@progbits
; Kernel info:
; codeLenInByte = 1364
; TotalNumSgprs: 24
; NumVgprs: 46
; ScratchSize: 0
; MemoryBound: 0
; FloatMode: 240
; IeeeMode: 1
; LDSByteSize: 2048 bytes/workgroup (compile time only)
; SGPRBlocks: 0
; VGPRBlocks: 5
; NumSGPRsForWavesPerEU: 24
; NumVGPRsForWavesPerEU: 46
; Occupancy: 16
; WaveLimiterHint : 0
; COMPUTE_PGM_RSRC2:SCRATCH_EN: 0
; COMPUTE_PGM_RSRC2:USER_SGPR: 6
; COMPUTE_PGM_RSRC2:TRAP_HANDLER: 0
; COMPUTE_PGM_RSRC2:TGID_X_EN: 1
; COMPUTE_PGM_RSRC2:TGID_Y_EN: 1
; COMPUTE_PGM_RSRC2:TGID_Z_EN: 1
; COMPUTE_PGM_RSRC2:TIDIG_COMP_CNT: 1
	.section	.text._ZN12_GLOBAL__N_127rocblas_gemm_batched_kernelIfLi16ELi16ELi32ELi32ELi8ELi32ELi8ELi8ELi32ELc84ELc67EK16rocblas_bfloat16KffEEvlllT_PT11_llS6_llS4_PT12_llPT13_lli,"axG",@progbits,_ZN12_GLOBAL__N_127rocblas_gemm_batched_kernelIfLi16ELi16ELi32ELi32ELi8ELi32ELi8ELi8ELi32ELc84ELc67EK16rocblas_bfloat16KffEEvlllT_PT11_llS6_llS4_PT12_llPT13_lli,comdat
	.globl	_ZN12_GLOBAL__N_127rocblas_gemm_batched_kernelIfLi16ELi16ELi32ELi32ELi8ELi32ELi8ELi8ELi32ELc84ELc67EK16rocblas_bfloat16KffEEvlllT_PT11_llS6_llS4_PT12_llPT13_lli ; -- Begin function _ZN12_GLOBAL__N_127rocblas_gemm_batched_kernelIfLi16ELi16ELi32ELi32ELi8ELi32ELi8ELi8ELi32ELc84ELc67EK16rocblas_bfloat16KffEEvlllT_PT11_llS6_llS4_PT12_llPT13_lli
	.p2align	8
	.type	_ZN12_GLOBAL__N_127rocblas_gemm_batched_kernelIfLi16ELi16ELi32ELi32ELi8ELi32ELi8ELi8ELi32ELc84ELc67EK16rocblas_bfloat16KffEEvlllT_PT11_llS6_llS4_PT12_llPT13_lli,@function
_ZN12_GLOBAL__N_127rocblas_gemm_batched_kernelIfLi16ELi16ELi32ELi32ELi8ELi32ELi8ELi8ELi32ELc84ELc67EK16rocblas_bfloat16KffEEvlllT_PT11_llS6_llS4_PT12_llPT13_lli: ; @_ZN12_GLOBAL__N_127rocblas_gemm_batched_kernelIfLi16ELi16ELi32ELi32ELi8ELi32ELi8ELi8ELi32ELc84ELc67EK16rocblas_bfloat16KffEEvlllT_PT11_llS6_llS4_PT12_llPT13_lli
; %bb.0:
	s_load_dwordx2 s[20:21], s[4:5], 0x10
	s_mov_b32 s0, s7
	v_mov_b32_e32 v9, 0
	v_mov_b32_e32 v8, 0
	;; [unrolled: 1-line block ×4, first 2 shown]
	s_ashr_i32 s7, s6, 31
	s_ashr_i32 s1, s0, 31
	s_lshl_b64 s[6:7], s[6:7], 5
	s_lshl_b64 s[10:11], s[0:1], 5
	s_waitcnt lgkmcnt(0)
	v_cmp_lt_i64_e64 s2, s[20:21], 1
	s_and_b32 vcc_lo, exec_lo, s2
	s_cbranch_vccnz .LBB462_3
; %bb.1:
	s_clause 0x1
	s_load_dwordx8 s[12:19], s[4:5], 0x20
	s_load_dwordx4 s[0:3], s[4:5], 0x40
	v_lshl_add_u32 v4, v1, 4, v0
	v_and_b32_e32 v8, 7, v0
	v_mov_b32_e32 v3, 0
	v_lshlrev_b32_e32 v10, 2, v0
	v_lshl_add_u32 v11, v1, 5, 0x400
	v_and_b32_e32 v5, 31, v4
	v_lshrrev_b32_e32 v2, 3, v4
	v_lshlrev_b32_e32 v6, 2, v8
	v_lshrrev_b32_e32 v14, 5, v4
	v_lshlrev_b32_e32 v4, 2, v5
	v_lshl_or_b32 v9, v2, 5, v6
	v_add_co_u32 v6, s9, s6, v5
	v_add_co_ci_u32_e64 v7, null, s7, 0, s9
	v_lshl_or_b32 v12, v14, 7, v4
	s_waitcnt lgkmcnt(0)
	v_mul_lo_u32 v15, s15, v6
	v_mad_u64_u32 v[4:5], null, s0, v8, v[2:3]
	v_mul_lo_u32 v16, s14, v7
	v_mad_u64_u32 v[6:7], null, s14, v6, 0
	s_mul_i32 s3, s3, s8
	s_mul_hi_u32 s9, s2, s8
	s_mul_i32 s2, s2, s8
	v_mov_b32_e32 v2, v5
	s_add_i32 s3, s9, s3
	v_add_nc_u32_e32 v13, 0x400, v9
	v_add3_u32 v7, v7, v16, v15
	s_lshl_b64 s[2:3], s[2:3], 1
	v_mad_u64_u32 v[8:9], null, s1, v8, v[2:3]
	s_add_u32 s9, s18, s2
	s_addc_u32 s14, s19, s3
	s_mul_i32 s2, s17, s8
	s_mul_hi_u32 s3, s16, s8
	v_lshlrev_b64 v[5:6], 1, v[6:7]
	v_add_co_u32 v7, vcc_lo, v4, s10
	s_add_i32 s3, s3, s2
	s_mul_i32 s2, s16, s8
	v_add_co_ci_u32_e64 v8, null, s11, v8, vcc_lo
	s_lshl_b64 s[2:3], s[2:3], 1
	v_lshlrev_b32_e32 v2, 1, v14
	v_add_co_u32 v9, vcc_lo, v5, s2
	v_add_co_ci_u32_e64 v6, null, s3, v6, vcc_lo
	v_lshlrev_b64 v[4:5], 1, v[7:8]
	v_add_co_u32 v2, vcc_lo, v9, v2
	v_add_co_ci_u32_e64 v7, null, 0, v6, vcc_lo
	v_mov_b32_e32 v8, v3
	v_add_co_u32 v4, vcc_lo, s9, v4
	v_add_co_ci_u32_e64 v5, null, s14, v5, vcc_lo
	v_add_co_u32 v6, vcc_lo, s12, v2
	v_add_co_ci_u32_e64 v7, null, s13, v7, vcc_lo
	v_mov_b32_e32 v2, v3
	v_mov_b32_e32 v9, v3
	s_lshl_b64 s[0:1], s[0:1], 4
	s_mov_b64 s[2:3], 0
.LBB462_2:                              ; =>This Inner Loop Header: Depth=1
	global_load_ushort v14, v[6:7], off
	global_load_ushort v15, v[4:5], off
	s_add_u32 s2, s2, 8
	s_addc_u32 s3, s3, 0
	v_add_co_u32 v4, vcc_lo, v4, s0
	v_cmp_lt_i64_e64 s9, s[2:3], s[20:21]
	v_add_co_ci_u32_e64 v5, null, s1, v5, vcc_lo
	v_add_co_u32 v6, vcc_lo, v6, 16
	v_add_co_ci_u32_e64 v7, null, 0, v7, vcc_lo
	s_and_b32 vcc_lo, exec_lo, s9
	s_waitcnt vmcnt(1)
	v_lshlrev_b32_e32 v14, 16, v14
	s_waitcnt vmcnt(0)
	v_lshlrev_b32_e32 v15, 16, v15
	ds_write_b32 v12, v14
	ds_write_b32 v13, v15
	s_waitcnt lgkmcnt(0)
	s_barrier
	buffer_gl0_inv
	ds_read_b128 v[14:17], v11
	ds_read2_b32 v[30:31], v10 offset1:16
	ds_read_b128 v[18:21], v11 offset:512
	ds_read2_b32 v[32:33], v10 offset0:32 offset1:48
	ds_read2_b32 v[34:35], v10 offset0:64 offset1:80
	ds_read_b128 v[22:25], v11 offset:16
	ds_read2_b32 v[36:37], v10 offset0:96 offset1:112
	ds_read2_b32 v[38:39], v10 offset0:128 offset1:144
	;; [unrolled: 3-line block ×3, first 2 shown]
	ds_read2_b32 v[44:45], v10 offset0:224 offset1:240
	s_waitcnt lgkmcnt(0)
	s_barrier
	buffer_gl0_inv
	v_fmac_f32_e32 v9, v30, v14
	v_fmac_f32_e32 v8, v31, v14
	;; [unrolled: 1-line block ×32, first 2 shown]
	s_cbranch_vccnz .LBB462_2
.LBB462_3:
	s_clause 0x3
	s_load_dwordx4 s[0:3], s[4:5], 0x78
	s_load_dword s9, s[4:5], 0x50
	s_load_dwordx8 s[12:19], s[4:5], 0x58
	s_load_dword s4, s[4:5], 0x18
	v_add_co_u32 v5, s5, s6, v0
	v_add_co_ci_u32_e64 v6, null, s7, 0, s5
	v_add_co_u32 v4, s5, s10, v1
	v_add_co_ci_u32_e64 v7, null, s11, 0, s5
	v_lshlrev_b64 v[0:1], 2, v[5:6]
	s_waitcnt lgkmcnt(0)
	s_mul_i32 s3, s3, s8
	s_mul_hi_u32 s5, s2, s8
	v_mul_lo_u32 v5, v7, s0
	v_mul_lo_u32 v6, v4, s1
	s_mul_i32 s2, s2, s8
	v_cmp_neq_f32_e64 s6, s9, 0
	s_add_i32 s3, s5, s3
	s_mov_b32 s5, 0
	s_lshl_b64 s[2:3], s[2:3], 2
	s_add_u32 s2, s18, s2
	s_addc_u32 s3, s19, s3
	s_and_b32 vcc_lo, exec_lo, s6
	s_cbranch_vccnz .LBB462_7
; %bb.4:
	v_mad_u64_u32 v[10:11], null, v4, s0, 0
	s_lshl_b64 s[6:7], s[0:1], 6
	v_mul_f32_e32 v14, s4, v9
	v_mul_f32_e32 v15, s4, v8
	;; [unrolled: 1-line block ×4, first 2 shown]
	v_add3_u32 v11, v11, v6, v5
	v_lshlrev_b64 v[10:11], 2, v[10:11]
	v_add_co_u32 v10, vcc_lo, s2, v10
	v_add_co_ci_u32_e64 v11, null, s3, v11, vcc_lo
	v_add_co_u32 v12, vcc_lo, v10, s6
	v_add_co_ci_u32_e64 v13, null, s7, v11, vcc_lo
	;; [unrolled: 2-line block ×4, first 2 shown]
	global_store_dword v[10:11], v14, off
	global_store_dword v[10:11], v15, off offset:64
	global_store_dword v[12:13], v16, off
	global_store_dword v[12:13], v17, off offset:64
	s_andn2_b32 vcc_lo, exec_lo, s5
	s_cbranch_vccnz .LBB462_6
.LBB462_5:
	v_mul_lo_u32 v7, v7, s14
	v_mul_lo_u32 v12, v4, s15
	v_mad_u64_u32 v[10:11], null, v4, s14, 0
	s_mul_i32 s5, s17, s8
	s_mul_hi_u32 s7, s16, s8
	s_mul_i32 s6, s16, s8
	s_add_i32 s7, s7, s5
	s_lshl_b64 s[6:7], s[6:7], 2
	v_add3_u32 v11, v11, v12, v7
	s_add_u32 s5, s12, s6
	s_addc_u32 s6, s13, s7
	v_mad_u64_u32 v[12:13], null, v4, s0, 0
	v_lshlrev_b64 v[10:11], 2, v[10:11]
	s_lshl_b64 s[0:1], s[0:1], 6
	v_add3_u32 v13, v13, v6, v5
	v_add_co_u32 v7, vcc_lo, s5, v10
	v_add_co_ci_u32_e64 v14, null, s6, v11, vcc_lo
	v_lshlrev_b64 v[4:5], 2, v[12:13]
	v_add_co_u32 v10, vcc_lo, v7, v0
	v_add_co_ci_u32_e64 v11, null, v14, v1, vcc_lo
	v_add_co_u32 v12, vcc_lo, s2, v4
	global_load_dword v15, v[10:11], off
	v_add_co_ci_u32_e64 v13, null, s3, v5, vcc_lo
	v_add_co_u32 v4, vcc_lo, v12, v0
	s_lshl_b64 s[2:3], s[14:15], 6
	v_add_co_ci_u32_e64 v5, null, v13, v1, vcc_lo
	s_waitcnt vmcnt(0)
	v_mul_f32_e32 v6, s9, v15
	v_fmac_f32_e32 v6, s4, v9
	global_store_dword v[4:5], v6, off
	global_load_dword v6, v[10:11], off offset:64
	s_waitcnt vmcnt(0)
	v_mul_f32_e32 v9, s9, v6
	v_add_co_u32 v6, vcc_lo, v7, s2
	v_add_co_ci_u32_e64 v7, null, s3, v14, vcc_lo
	v_fmac_f32_e32 v9, s4, v8
	v_add_co_u32 v6, vcc_lo, v6, v0
	v_add_co_ci_u32_e64 v7, null, v7, v1, vcc_lo
	global_store_dword v[4:5], v9, off offset:64
	v_add_co_u32 v5, vcc_lo, v12, s0
	global_load_dword v4, v[6:7], off
	v_add_co_ci_u32_e64 v8, null, s1, v13, vcc_lo
	v_add_co_u32 v0, vcc_lo, v5, v0
	v_add_co_ci_u32_e64 v1, null, v8, v1, vcc_lo
	s_waitcnt vmcnt(0)
	v_mul_f32_e32 v4, s9, v4
	v_fmac_f32_e32 v4, s4, v2
	global_store_dword v[0:1], v4, off
	global_load_dword v2, v[6:7], off offset:64
	s_waitcnt vmcnt(0)
	v_mul_f32_e32 v2, s9, v2
	v_fmac_f32_e32 v2, s4, v3
	global_store_dword v[0:1], v2, off offset:64
.LBB462_6:
	s_endpgm
.LBB462_7:
	s_branch .LBB462_5
	.section	.rodata,"a",@progbits
	.p2align	6, 0x0
	.amdhsa_kernel _ZN12_GLOBAL__N_127rocblas_gemm_batched_kernelIfLi16ELi16ELi32ELi32ELi8ELi32ELi8ELi8ELi32ELc84ELc67EK16rocblas_bfloat16KffEEvlllT_PT11_llS6_llS4_PT12_llPT13_lli
		.amdhsa_group_segment_fixed_size 2048
		.amdhsa_private_segment_fixed_size 0
		.amdhsa_kernarg_size 140
		.amdhsa_user_sgpr_count 6
		.amdhsa_user_sgpr_private_segment_buffer 1
		.amdhsa_user_sgpr_dispatch_ptr 0
		.amdhsa_user_sgpr_queue_ptr 0
		.amdhsa_user_sgpr_kernarg_segment_ptr 1
		.amdhsa_user_sgpr_dispatch_id 0
		.amdhsa_user_sgpr_flat_scratch_init 0
		.amdhsa_user_sgpr_private_segment_size 0
		.amdhsa_wavefront_size32 1
		.amdhsa_uses_dynamic_stack 0
		.amdhsa_system_sgpr_private_segment_wavefront_offset 0
		.amdhsa_system_sgpr_workgroup_id_x 1
		.amdhsa_system_sgpr_workgroup_id_y 1
		.amdhsa_system_sgpr_workgroup_id_z 1
		.amdhsa_system_sgpr_workgroup_info 0
		.amdhsa_system_vgpr_workitem_id 1
		.amdhsa_next_free_vgpr 46
		.amdhsa_next_free_sgpr 22
		.amdhsa_reserve_vcc 1
		.amdhsa_reserve_flat_scratch 0
		.amdhsa_float_round_mode_32 0
		.amdhsa_float_round_mode_16_64 0
		.amdhsa_float_denorm_mode_32 3
		.amdhsa_float_denorm_mode_16_64 3
		.amdhsa_dx10_clamp 1
		.amdhsa_ieee_mode 1
		.amdhsa_fp16_overflow 0
		.amdhsa_workgroup_processor_mode 1
		.amdhsa_memory_ordered 1
		.amdhsa_forward_progress 1
		.amdhsa_shared_vgpr_count 0
		.amdhsa_exception_fp_ieee_invalid_op 0
		.amdhsa_exception_fp_denorm_src 0
		.amdhsa_exception_fp_ieee_div_zero 0
		.amdhsa_exception_fp_ieee_overflow 0
		.amdhsa_exception_fp_ieee_underflow 0
		.amdhsa_exception_fp_ieee_inexact 0
		.amdhsa_exception_int_div_zero 0
	.end_amdhsa_kernel
	.section	.text._ZN12_GLOBAL__N_127rocblas_gemm_batched_kernelIfLi16ELi16ELi32ELi32ELi8ELi32ELi8ELi8ELi32ELc84ELc67EK16rocblas_bfloat16KffEEvlllT_PT11_llS6_llS4_PT12_llPT13_lli,"axG",@progbits,_ZN12_GLOBAL__N_127rocblas_gemm_batched_kernelIfLi16ELi16ELi32ELi32ELi8ELi32ELi8ELi8ELi32ELc84ELc67EK16rocblas_bfloat16KffEEvlllT_PT11_llS6_llS4_PT12_llPT13_lli,comdat
.Lfunc_end462:
	.size	_ZN12_GLOBAL__N_127rocblas_gemm_batched_kernelIfLi16ELi16ELi32ELi32ELi8ELi32ELi8ELi8ELi32ELc84ELc67EK16rocblas_bfloat16KffEEvlllT_PT11_llS6_llS4_PT12_llPT13_lli, .Lfunc_end462-_ZN12_GLOBAL__N_127rocblas_gemm_batched_kernelIfLi16ELi16ELi32ELi32ELi8ELi32ELi8ELi8ELi32ELc84ELc67EK16rocblas_bfloat16KffEEvlllT_PT11_llS6_llS4_PT12_llPT13_lli
                                        ; -- End function
	.set _ZN12_GLOBAL__N_127rocblas_gemm_batched_kernelIfLi16ELi16ELi32ELi32ELi8ELi32ELi8ELi8ELi32ELc84ELc67EK16rocblas_bfloat16KffEEvlllT_PT11_llS6_llS4_PT12_llPT13_lli.num_vgpr, 46
	.set _ZN12_GLOBAL__N_127rocblas_gemm_batched_kernelIfLi16ELi16ELi32ELi32ELi8ELi32ELi8ELi8ELi32ELc84ELc67EK16rocblas_bfloat16KffEEvlllT_PT11_llS6_llS4_PT12_llPT13_lli.num_agpr, 0
	.set _ZN12_GLOBAL__N_127rocblas_gemm_batched_kernelIfLi16ELi16ELi32ELi32ELi8ELi32ELi8ELi8ELi32ELc84ELc67EK16rocblas_bfloat16KffEEvlllT_PT11_llS6_llS4_PT12_llPT13_lli.numbered_sgpr, 22
	.set _ZN12_GLOBAL__N_127rocblas_gemm_batched_kernelIfLi16ELi16ELi32ELi32ELi8ELi32ELi8ELi8ELi32ELc84ELc67EK16rocblas_bfloat16KffEEvlllT_PT11_llS6_llS4_PT12_llPT13_lli.num_named_barrier, 0
	.set _ZN12_GLOBAL__N_127rocblas_gemm_batched_kernelIfLi16ELi16ELi32ELi32ELi8ELi32ELi8ELi8ELi32ELc84ELc67EK16rocblas_bfloat16KffEEvlllT_PT11_llS6_llS4_PT12_llPT13_lli.private_seg_size, 0
	.set _ZN12_GLOBAL__N_127rocblas_gemm_batched_kernelIfLi16ELi16ELi32ELi32ELi8ELi32ELi8ELi8ELi32ELc84ELc67EK16rocblas_bfloat16KffEEvlllT_PT11_llS6_llS4_PT12_llPT13_lli.uses_vcc, 1
	.set _ZN12_GLOBAL__N_127rocblas_gemm_batched_kernelIfLi16ELi16ELi32ELi32ELi8ELi32ELi8ELi8ELi32ELc84ELc67EK16rocblas_bfloat16KffEEvlllT_PT11_llS6_llS4_PT12_llPT13_lli.uses_flat_scratch, 0
	.set _ZN12_GLOBAL__N_127rocblas_gemm_batched_kernelIfLi16ELi16ELi32ELi32ELi8ELi32ELi8ELi8ELi32ELc84ELc67EK16rocblas_bfloat16KffEEvlllT_PT11_llS6_llS4_PT12_llPT13_lli.has_dyn_sized_stack, 0
	.set _ZN12_GLOBAL__N_127rocblas_gemm_batched_kernelIfLi16ELi16ELi32ELi32ELi8ELi32ELi8ELi8ELi32ELc84ELc67EK16rocblas_bfloat16KffEEvlllT_PT11_llS6_llS4_PT12_llPT13_lli.has_recursion, 0
	.set _ZN12_GLOBAL__N_127rocblas_gemm_batched_kernelIfLi16ELi16ELi32ELi32ELi8ELi32ELi8ELi8ELi32ELc84ELc67EK16rocblas_bfloat16KffEEvlllT_PT11_llS6_llS4_PT12_llPT13_lli.has_indirect_call, 0
	.section	.AMDGPU.csdata,"",@progbits
; Kernel info:
; codeLenInByte = 1400
; TotalNumSgprs: 24
; NumVgprs: 46
; ScratchSize: 0
; MemoryBound: 0
; FloatMode: 240
; IeeeMode: 1
; LDSByteSize: 2048 bytes/workgroup (compile time only)
; SGPRBlocks: 0
; VGPRBlocks: 5
; NumSGPRsForWavesPerEU: 24
; NumVGPRsForWavesPerEU: 46
; Occupancy: 16
; WaveLimiterHint : 0
; COMPUTE_PGM_RSRC2:SCRATCH_EN: 0
; COMPUTE_PGM_RSRC2:USER_SGPR: 6
; COMPUTE_PGM_RSRC2:TRAP_HANDLER: 0
; COMPUTE_PGM_RSRC2:TGID_X_EN: 1
; COMPUTE_PGM_RSRC2:TGID_Y_EN: 1
; COMPUTE_PGM_RSRC2:TGID_Z_EN: 1
; COMPUTE_PGM_RSRC2:TIDIG_COMP_CNT: 1
	.section	.text._ZN12_GLOBAL__N_135rocblas_gemm_batched_general_kernelIfLi16ELi16ELi32ELi32ELi8ELi32ELi8ELi8ELi32ELc78ELc78EK16rocblas_bfloat16KffEEvlllT_PT11_llS6_llS4_PT12_llPT13_lli,"axG",@progbits,_ZN12_GLOBAL__N_135rocblas_gemm_batched_general_kernelIfLi16ELi16ELi32ELi32ELi8ELi32ELi8ELi8ELi32ELc78ELc78EK16rocblas_bfloat16KffEEvlllT_PT11_llS6_llS4_PT12_llPT13_lli,comdat
	.globl	_ZN12_GLOBAL__N_135rocblas_gemm_batched_general_kernelIfLi16ELi16ELi32ELi32ELi8ELi32ELi8ELi8ELi32ELc78ELc78EK16rocblas_bfloat16KffEEvlllT_PT11_llS6_llS4_PT12_llPT13_lli ; -- Begin function _ZN12_GLOBAL__N_135rocblas_gemm_batched_general_kernelIfLi16ELi16ELi32ELi32ELi8ELi32ELi8ELi8ELi32ELc78ELc78EK16rocblas_bfloat16KffEEvlllT_PT11_llS6_llS4_PT12_llPT13_lli
	.p2align	8
	.type	_ZN12_GLOBAL__N_135rocblas_gemm_batched_general_kernelIfLi16ELi16ELi32ELi32ELi8ELi32ELi8ELi8ELi32ELc78ELc78EK16rocblas_bfloat16KffEEvlllT_PT11_llS6_llS4_PT12_llPT13_lli,@function
_ZN12_GLOBAL__N_135rocblas_gemm_batched_general_kernelIfLi16ELi16ELi32ELi32ELi8ELi32ELi8ELi8ELi32ELc78ELc78EK16rocblas_bfloat16KffEEvlllT_PT11_llS6_llS4_PT12_llPT13_lli: ; @_ZN12_GLOBAL__N_135rocblas_gemm_batched_general_kernelIfLi16ELi16ELi32ELi32ELi8ELi32ELi8ELi8ELi32ELc78ELc78EK16rocblas_bfloat16KffEEvlllT_PT11_llS6_llS4_PT12_llPT13_lli
; %bb.0:
	s_clause 0x1
	s_load_dwordx2 s[24:25], s[4:5], 0x10
	s_load_dwordx4 s[20:23], s[4:5], 0x0
	s_mov_b32 s0, s7
	v_mov_b32_e32 v10, 0
	v_mov_b32_e32 v9, 0
	;; [unrolled: 1-line block ×4, first 2 shown]
	s_ashr_i32 s7, s6, 31
	s_ashr_i32 s1, s0, 31
	s_lshl_b64 s[10:11], s[6:7], 5
	s_lshl_b64 s[28:29], s[0:1], 5
	s_waitcnt lgkmcnt(0)
	v_cmp_lt_i64_e64 s2, s[24:25], 1
	s_and_b32 vcc_lo, exec_lo, s2
	s_cbranch_vccnz .LBB463_7
; %bb.1:
	s_clause 0x1
	s_load_dwordx4 s[0:3], s[4:5], 0x40
	s_load_dwordx8 s[12:19], s[4:5], 0x20
	v_lshl_add_u32 v2, v1, 4, v0
	v_mov_b32_e32 v3, s11
	v_and_b32_e32 v6, 7, v0
	s_lshl_b64 s[6:7], s[6:7], 6
	v_mov_b32_e32 v7, 0
	v_lshrrev_b32_e32 v10, 3, v2
	v_lshrrev_b32_e32 v13, 5, v2
	v_and_b32_e32 v18, 31, v2
	v_lshlrev_b32_e32 v14, 2, v6
	v_lshlrev_b32_e32 v11, 2, v0
	v_add_co_u32 v4, s9, v10, s28
	v_add_co_ci_u32_e64 v5, null, 0, s29, s9
	v_or_b32_e32 v2, s10, v18
	v_lshlrev_b32_e32 v15, 2, v18
	v_lshl_or_b32 v10, v10, 5, v14
	v_lshl_add_u32 v12, v1, 5, 0x400
	s_waitcnt lgkmcnt(0)
	v_mul_lo_u32 v19, s1, v4
	v_mad_u64_u32 v[8:9], null, s14, v13, 0
	v_mul_lo_u32 v20, s0, v5
	v_mad_u64_u32 v[16:17], null, s0, v4, 0
	v_cmp_gt_i64_e64 s0, s[20:21], v[2:3]
	v_cmp_gt_i64_e64 s1, s[22:23], v[4:5]
	s_mul_i32 s3, s3, s8
	v_mov_b32_e32 v2, v9
	s_mul_hi_u32 s9, s2, s8
	s_mul_i32 s2, s2, s8
	v_add3_u32 v17, v17, v20, v19
	s_add_i32 s3, s9, s3
	v_mad_u64_u32 v[2:3], null, s15, v13, v[2:3]
	s_lshl_b64 s[2:3], s[2:3], 1
	v_lshlrev_b64 v[3:4], 1, v[16:17]
	s_mul_i32 s17, s17, s8
	s_mul_hi_u32 s9, s16, s8
	v_lshl_or_b32 v14, v13, 7, v15
	v_add_nc_u32_e32 v15, 0x400, v10
	v_mov_b32_e32 v9, v2
	v_add_co_u32 v5, vcc_lo, v3, s2
	v_add_co_ci_u32_e64 v4, null, s3, v4, vcc_lo
	s_add_i32 s3, s9, s17
	s_mul_i32 s2, s16, s8
	v_lshlrev_b64 v[2:3], 1, v[8:9]
	s_lshl_b64 s[2:3], s[2:3], 1
	v_lshlrev_b32_e32 v8, 1, v6
	s_add_u32 s2, s6, s2
	s_addc_u32 s3, s7, s3
	v_lshlrev_b32_e32 v9, 1, v18
	v_add_co_u32 v2, vcc_lo, s2, v2
	v_add_co_ci_u32_e64 v3, null, s3, v3, vcc_lo
	v_add_co_u32 v5, vcc_lo, v5, v8
	v_add_co_ci_u32_e64 v4, null, 0, v4, vcc_lo
	;; [unrolled: 2-line block ×5, first 2 shown]
	v_mov_b32_e32 v8, 0
	v_mov_b32_e32 v9, 0
	;; [unrolled: 1-line block ×3, first 2 shown]
	s_lshl_b64 s[2:3], s[14:15], 4
	s_mov_b64 s[6:7], 0
	s_branch .LBB463_3
.LBB463_2:                              ;   in Loop: Header=BB463_3 Depth=1
	s_or_b32 exec_lo, exec_lo, s9
	ds_write_b32 v15, v17
	s_waitcnt lgkmcnt(0)
	s_barrier
	buffer_gl0_inv
	ds_read_b128 v[16:19], v12
	ds_read2_b32 v[32:33], v11 offset1:16
	ds_read_b128 v[20:23], v12 offset:512
	ds_read2_b32 v[34:35], v11 offset0:32 offset1:48
	ds_read2_b32 v[36:37], v11 offset0:64 offset1:80
	;; [unrolled: 1-line block ×3, first 2 shown]
	ds_read_b128 v[24:27], v12 offset:16
	ds_read2_b32 v[40:41], v11 offset0:128 offset1:144
	ds_read_b128 v[28:31], v12 offset:528
	ds_read2_b32 v[42:43], v11 offset0:160 offset1:176
	s_add_u32 s6, s6, 8
	s_addc_u32 s7, s7, 0
	v_add_co_u32 v2, vcc_lo, v2, 16
	v_cmp_lt_i64_e64 s9, s[6:7], s[24:25]
	v_add_co_ci_u32_e64 v3, null, 0, v3, vcc_lo
	v_add_co_u32 v4, vcc_lo, v4, s2
	v_add_co_ci_u32_e64 v5, null, s3, v5, vcc_lo
	s_waitcnt lgkmcnt(8)
	v_fmac_f32_e32 v10, v32, v16
	v_fmac_f32_e32 v9, v33, v16
	s_waitcnt lgkmcnt(7)
	v_fmac_f32_e32 v8, v32, v20
	v_fmac_f32_e32 v7, v33, v20
	ds_read2_b32 v[32:33], v11 offset0:192 offset1:208
	s_waitcnt lgkmcnt(7)
	v_fmac_f32_e32 v10, v34, v17
	v_fmac_f32_e32 v9, v35, v17
	v_fmac_f32_e32 v8, v34, v21
	v_fmac_f32_e32 v7, v35, v21
	ds_read2_b32 v[16:17], v11 offset0:224 offset1:240
	s_waitcnt lgkmcnt(7)
	v_fmac_f32_e32 v10, v36, v18
	v_fmac_f32_e32 v9, v37, v18
	;; [unrolled: 1-line block ×4, first 2 shown]
	s_and_b32 vcc_lo, exec_lo, s9
	s_waitcnt lgkmcnt(6)
	v_fmac_f32_e32 v10, v38, v19
	v_fmac_f32_e32 v9, v39, v19
	;; [unrolled: 1-line block ×4, first 2 shown]
	s_waitcnt lgkmcnt(0)
	v_fmac_f32_e32 v10, v40, v24
	v_fmac_f32_e32 v9, v41, v24
	;; [unrolled: 1-line block ×4, first 2 shown]
	s_barrier
	v_fmac_f32_e32 v10, v42, v25
	v_fmac_f32_e32 v9, v43, v25
	;; [unrolled: 1-line block ×4, first 2 shown]
	buffer_gl0_inv
	v_fmac_f32_e32 v10, v32, v26
	v_fmac_f32_e32 v9, v33, v26
	;; [unrolled: 1-line block ×8, first 2 shown]
	s_cbranch_vccz .LBB463_7
.LBB463_3:                              ; =>This Inner Loop Header: Depth=1
	v_add_co_u32 v16, s9, v13, s6
	v_add_co_ci_u32_e64 v17, null, 0, s7, s9
	v_cmp_gt_i64_e32 vcc_lo, s[24:25], v[16:17]
	v_mov_b32_e32 v16, 0
	s_and_b32 s12, s0, vcc_lo
	s_and_saveexec_b32 s9, s12
	s_cbranch_execz .LBB463_5
; %bb.4:                                ;   in Loop: Header=BB463_3 Depth=1
	global_load_ushort v16, v[4:5], off
	s_waitcnt vmcnt(0)
	v_lshlrev_b32_e32 v16, 16, v16
.LBB463_5:                              ;   in Loop: Header=BB463_3 Depth=1
	s_or_b32 exec_lo, exec_lo, s9
	v_add_co_u32 v17, s9, v6, s6
	v_add_co_ci_u32_e64 v18, null, 0, s7, s9
	ds_write_b32 v14, v16
	v_cmp_gt_i64_e32 vcc_lo, s[24:25], v[17:18]
	v_mov_b32_e32 v17, 0
	s_and_b32 s12, vcc_lo, s1
	s_and_saveexec_b32 s9, s12
	s_cbranch_execz .LBB463_2
; %bb.6:                                ;   in Loop: Header=BB463_3 Depth=1
	global_load_ushort v16, v[2:3], off
	s_waitcnt vmcnt(0)
	v_lshlrev_b32_e32 v17, 16, v16
	s_branch .LBB463_2
.LBB463_7:
	s_clause 0x3
	s_load_dwordx4 s[24:27], s[4:5], 0x78
	s_load_dword s6, s[4:5], 0x50
	s_load_dwordx8 s[12:19], s[4:5], 0x58
	s_load_dword s3, s[4:5], 0x18
	v_add_co_u32 v1, s0, s28, v1
	v_add_co_ci_u32_e64 v2, null, s29, 0, s0
	s_waitcnt lgkmcnt(0)
	s_mul_i32 s1, s27, s8
	s_mul_hi_u32 s2, s26, s8
	s_mul_i32 s0, s26, s8
	s_add_i32 s1, s2, s1
	v_cmp_neq_f32_e64 s2, s6, 0
	s_lshl_b64 s[4:5], s[0:1], 2
	v_cmp_gt_i64_e64 s0, s[22:23], v[1:2]
	s_add_u32 s4, s18, s4
	s_addc_u32 s5, s19, s5
	s_and_b32 vcc_lo, exec_lo, s2
	s_cbranch_vccnz .LBB463_20
; %bb.8:
	s_and_saveexec_b32 s7, s0
	s_cbranch_execz .LBB463_18
; %bb.9:
	v_mul_lo_u32 v5, v2, s24
	v_mul_lo_u32 v6, v1, s25
	v_mad_u64_u32 v[3:4], null, v1, s24, 0
	v_add3_u32 v4, v4, v6, v5
	v_add_co_u32 v5, s1, s10, v0
	v_add_co_ci_u32_e64 v6, null, s11, 0, s1
	v_lshlrev_b64 v[11:12], 2, v[3:4]
	v_cmp_gt_i64_e32 vcc_lo, s[20:21], v[5:6]
	v_lshlrev_b64 v[3:4], 2, v[5:6]
	v_add_co_u32 v11, s1, s4, v11
	v_add_co_ci_u32_e64 v12, null, s5, v12, s1
	s_and_saveexec_b32 s2, vcc_lo
	s_cbranch_execz .LBB463_11
; %bb.10:
	v_add_co_u32 v13, s1, v11, v3
	v_add_co_ci_u32_e64 v14, null, v12, v4, s1
	v_mul_f32_e32 v15, s3, v10
	global_store_dword v[13:14], v15, off
.LBB463_11:
	s_or_b32 exec_lo, exec_lo, s2
	v_add_co_u32 v5, s1, v5, 16
	v_add_co_ci_u32_e64 v6, null, 0, v6, s1
	v_cmp_gt_i64_e64 s1, s[20:21], v[5:6]
	s_and_saveexec_b32 s9, s1
	s_cbranch_execz .LBB463_13
; %bb.12:
	v_add_co_u32 v5, s2, v11, v3
	v_add_co_ci_u32_e64 v6, null, v12, v4, s2
	v_mul_f32_e32 v13, s3, v9
	global_store_dword v[5:6], v13, off offset:64
.LBB463_13:
	s_or_b32 exec_lo, exec_lo, s9
	v_add_co_u32 v5, s2, v1, 16
	v_add_co_ci_u32_e64 v6, null, 0, v2, s2
	v_cmp_gt_i64_e64 s2, s[22:23], v[5:6]
	s_and_b32 exec_lo, exec_lo, s2
	s_cbranch_execz .LBB463_18
; %bb.14:
	s_lshl_b64 s[18:19], s[24:25], 6
	v_add_co_u32 v5, s2, v11, s18
	v_add_co_ci_u32_e64 v6, null, s19, v12, s2
	v_add_co_u32 v3, s2, v5, v3
	v_add_co_ci_u32_e64 v4, null, v6, v4, s2
	s_and_saveexec_b32 s2, vcc_lo
	s_cbranch_execz .LBB463_16
; %bb.15:
	v_mul_f32_e32 v5, s3, v8
	global_store_dword v[3:4], v5, off
.LBB463_16:
	s_or_b32 exec_lo, exec_lo, s2
	s_and_b32 exec_lo, exec_lo, s1
	s_cbranch_execz .LBB463_18
; %bb.17:
	v_mul_f32_e32 v5, s3, v7
	global_store_dword v[3:4], v5, off offset:64
.LBB463_18:
	s_or_b32 exec_lo, exec_lo, s7
	s_cbranch_execz .LBB463_21
.LBB463_19:
	s_endpgm
.LBB463_20:
.LBB463_21:
	s_and_saveexec_b32 s1, s0
	s_cbranch_execz .LBB463_19
; %bb.22:
	v_mul_lo_u32 v5, v2, s14
	v_mul_lo_u32 v6, v1, s15
	v_mad_u64_u32 v[3:4], null, v1, s14, 0
	v_mul_lo_u32 v13, v2, s24
	v_mul_lo_u32 v14, v1, s25
	v_mad_u64_u32 v[11:12], null, v1, s24, 0
	s_mul_i32 s0, s17, s8
	s_mul_hi_u32 s1, s16, s8
	v_add3_u32 v4, v4, v6, v5
	s_add_i32 s1, s1, s0
	s_mul_i32 s0, s16, s8
	v_add_co_u32 v5, s2, s10, v0
	v_add3_u32 v12, v12, v14, v13
	v_lshlrev_b64 v[3:4], 2, v[3:4]
	s_lshl_b64 s[0:1], s[0:1], 2
	v_add_co_ci_u32_e64 v6, null, s11, 0, s2
	v_lshlrev_b64 v[12:13], 2, v[11:12]
	s_add_u32 s0, s12, s0
	s_addc_u32 s1, s13, s1
	v_add_co_u32 v0, s0, s0, v3
	v_add_co_ci_u32_e64 v11, null, s1, v4, s0
	v_add_co_u32 v12, s0, s4, v12
	v_cmp_gt_i64_e32 vcc_lo, s[20:21], v[5:6]
	v_lshlrev_b64 v[3:4], 2, v[5:6]
	v_add_co_ci_u32_e64 v13, null, s5, v13, s0
	s_and_saveexec_b32 s1, vcc_lo
	s_cbranch_execz .LBB463_24
; %bb.23:
	v_add_co_u32 v14, s0, v0, v3
	v_add_co_ci_u32_e64 v15, null, v11, v4, s0
	global_load_dword v14, v[14:15], off
	s_waitcnt vmcnt(0)
	v_mul_f32_e32 v16, s6, v14
	v_add_co_u32 v14, s0, v12, v3
	v_add_co_ci_u32_e64 v15, null, v13, v4, s0
	v_fmac_f32_e32 v16, s3, v10
	global_store_dword v[14:15], v16, off
.LBB463_24:
	s_or_b32 exec_lo, exec_lo, s1
	v_add_co_u32 v5, s0, v5, 16
	v_add_co_ci_u32_e64 v6, null, 0, v6, s0
	v_cmp_gt_i64_e64 s0, s[20:21], v[5:6]
	s_and_saveexec_b32 s2, s0
	s_cbranch_execz .LBB463_26
; %bb.25:
	v_add_co_u32 v5, s1, v0, v3
	v_add_co_ci_u32_e64 v6, null, v11, v4, s1
	global_load_dword v5, v[5:6], off offset:64
	s_waitcnt vmcnt(0)
	v_mul_f32_e32 v10, s6, v5
	v_add_co_u32 v5, s1, v12, v3
	v_add_co_ci_u32_e64 v6, null, v13, v4, s1
	v_fmac_f32_e32 v10, s3, v9
	global_store_dword v[5:6], v10, off offset:64
.LBB463_26:
	s_or_b32 exec_lo, exec_lo, s2
	v_add_co_u32 v1, s1, v1, 16
	v_add_co_ci_u32_e64 v2, null, 0, v2, s1
	v_cmp_gt_i64_e64 s1, s[22:23], v[1:2]
	s_and_b32 exec_lo, exec_lo, s1
	s_cbranch_execz .LBB463_19
; %bb.27:
	s_lshl_b64 s[4:5], s[14:15], 6
	v_add_co_u32 v0, s1, v0, s4
	v_add_co_ci_u32_e64 v1, null, s5, v11, s1
	s_lshl_b64 s[4:5], s[24:25], 6
	v_add_co_u32 v2, s1, v12, s4
	v_add_co_ci_u32_e64 v5, null, s5, v13, s1
	v_add_co_u32 v0, s1, v0, v3
	v_add_co_ci_u32_e64 v1, null, v1, v4, s1
	v_add_co_u32 v2, s1, v2, v3
	v_add_co_ci_u32_e64 v3, null, v5, v4, s1
	s_and_saveexec_b32 s1, vcc_lo
	s_cbranch_execz .LBB463_29
; %bb.28:
	global_load_dword v4, v[0:1], off
	s_waitcnt vmcnt(0)
	v_mul_f32_e32 v4, s6, v4
	v_fmac_f32_e32 v4, s3, v8
	global_store_dword v[2:3], v4, off
.LBB463_29:
	s_or_b32 exec_lo, exec_lo, s1
	s_and_b32 exec_lo, exec_lo, s0
	s_cbranch_execz .LBB463_19
; %bb.30:
	global_load_dword v0, v[0:1], off offset:64
	s_waitcnt vmcnt(0)
	v_mul_f32_e32 v0, s6, v0
	v_fmac_f32_e32 v0, s3, v7
	global_store_dword v[2:3], v0, off offset:64
	s_endpgm
	.section	.rodata,"a",@progbits
	.p2align	6, 0x0
	.amdhsa_kernel _ZN12_GLOBAL__N_135rocblas_gemm_batched_general_kernelIfLi16ELi16ELi32ELi32ELi8ELi32ELi8ELi8ELi32ELc78ELc78EK16rocblas_bfloat16KffEEvlllT_PT11_llS6_llS4_PT12_llPT13_lli
		.amdhsa_group_segment_fixed_size 2048
		.amdhsa_private_segment_fixed_size 0
		.amdhsa_kernarg_size 140
		.amdhsa_user_sgpr_count 6
		.amdhsa_user_sgpr_private_segment_buffer 1
		.amdhsa_user_sgpr_dispatch_ptr 0
		.amdhsa_user_sgpr_queue_ptr 0
		.amdhsa_user_sgpr_kernarg_segment_ptr 1
		.amdhsa_user_sgpr_dispatch_id 0
		.amdhsa_user_sgpr_flat_scratch_init 0
		.amdhsa_user_sgpr_private_segment_size 0
		.amdhsa_wavefront_size32 1
		.amdhsa_uses_dynamic_stack 0
		.amdhsa_system_sgpr_private_segment_wavefront_offset 0
		.amdhsa_system_sgpr_workgroup_id_x 1
		.amdhsa_system_sgpr_workgroup_id_y 1
		.amdhsa_system_sgpr_workgroup_id_z 1
		.amdhsa_system_sgpr_workgroup_info 0
		.amdhsa_system_vgpr_workitem_id 1
		.amdhsa_next_free_vgpr 44
		.amdhsa_next_free_sgpr 30
		.amdhsa_reserve_vcc 1
		.amdhsa_reserve_flat_scratch 0
		.amdhsa_float_round_mode_32 0
		.amdhsa_float_round_mode_16_64 0
		.amdhsa_float_denorm_mode_32 3
		.amdhsa_float_denorm_mode_16_64 3
		.amdhsa_dx10_clamp 1
		.amdhsa_ieee_mode 1
		.amdhsa_fp16_overflow 0
		.amdhsa_workgroup_processor_mode 1
		.amdhsa_memory_ordered 1
		.amdhsa_forward_progress 1
		.amdhsa_shared_vgpr_count 0
		.amdhsa_exception_fp_ieee_invalid_op 0
		.amdhsa_exception_fp_denorm_src 0
		.amdhsa_exception_fp_ieee_div_zero 0
		.amdhsa_exception_fp_ieee_overflow 0
		.amdhsa_exception_fp_ieee_underflow 0
		.amdhsa_exception_fp_ieee_inexact 0
		.amdhsa_exception_int_div_zero 0
	.end_amdhsa_kernel
	.section	.text._ZN12_GLOBAL__N_135rocblas_gemm_batched_general_kernelIfLi16ELi16ELi32ELi32ELi8ELi32ELi8ELi8ELi32ELc78ELc78EK16rocblas_bfloat16KffEEvlllT_PT11_llS6_llS4_PT12_llPT13_lli,"axG",@progbits,_ZN12_GLOBAL__N_135rocblas_gemm_batched_general_kernelIfLi16ELi16ELi32ELi32ELi8ELi32ELi8ELi8ELi32ELc78ELc78EK16rocblas_bfloat16KffEEvlllT_PT11_llS6_llS4_PT12_llPT13_lli,comdat
.Lfunc_end463:
	.size	_ZN12_GLOBAL__N_135rocblas_gemm_batched_general_kernelIfLi16ELi16ELi32ELi32ELi8ELi32ELi8ELi8ELi32ELc78ELc78EK16rocblas_bfloat16KffEEvlllT_PT11_llS6_llS4_PT12_llPT13_lli, .Lfunc_end463-_ZN12_GLOBAL__N_135rocblas_gemm_batched_general_kernelIfLi16ELi16ELi32ELi32ELi8ELi32ELi8ELi8ELi32ELc78ELc78EK16rocblas_bfloat16KffEEvlllT_PT11_llS6_llS4_PT12_llPT13_lli
                                        ; -- End function
	.set _ZN12_GLOBAL__N_135rocblas_gemm_batched_general_kernelIfLi16ELi16ELi32ELi32ELi8ELi32ELi8ELi8ELi32ELc78ELc78EK16rocblas_bfloat16KffEEvlllT_PT11_llS6_llS4_PT12_llPT13_lli.num_vgpr, 44
	.set _ZN12_GLOBAL__N_135rocblas_gemm_batched_general_kernelIfLi16ELi16ELi32ELi32ELi8ELi32ELi8ELi8ELi32ELc78ELc78EK16rocblas_bfloat16KffEEvlllT_PT11_llS6_llS4_PT12_llPT13_lli.num_agpr, 0
	.set _ZN12_GLOBAL__N_135rocblas_gemm_batched_general_kernelIfLi16ELi16ELi32ELi32ELi8ELi32ELi8ELi8ELi32ELc78ELc78EK16rocblas_bfloat16KffEEvlllT_PT11_llS6_llS4_PT12_llPT13_lli.numbered_sgpr, 30
	.set _ZN12_GLOBAL__N_135rocblas_gemm_batched_general_kernelIfLi16ELi16ELi32ELi32ELi8ELi32ELi8ELi8ELi32ELc78ELc78EK16rocblas_bfloat16KffEEvlllT_PT11_llS6_llS4_PT12_llPT13_lli.num_named_barrier, 0
	.set _ZN12_GLOBAL__N_135rocblas_gemm_batched_general_kernelIfLi16ELi16ELi32ELi32ELi8ELi32ELi8ELi8ELi32ELc78ELc78EK16rocblas_bfloat16KffEEvlllT_PT11_llS6_llS4_PT12_llPT13_lli.private_seg_size, 0
	.set _ZN12_GLOBAL__N_135rocblas_gemm_batched_general_kernelIfLi16ELi16ELi32ELi32ELi8ELi32ELi8ELi8ELi32ELc78ELc78EK16rocblas_bfloat16KffEEvlllT_PT11_llS6_llS4_PT12_llPT13_lli.uses_vcc, 1
	.set _ZN12_GLOBAL__N_135rocblas_gemm_batched_general_kernelIfLi16ELi16ELi32ELi32ELi8ELi32ELi8ELi8ELi32ELc78ELc78EK16rocblas_bfloat16KffEEvlllT_PT11_llS6_llS4_PT12_llPT13_lli.uses_flat_scratch, 0
	.set _ZN12_GLOBAL__N_135rocblas_gemm_batched_general_kernelIfLi16ELi16ELi32ELi32ELi8ELi32ELi8ELi8ELi32ELc78ELc78EK16rocblas_bfloat16KffEEvlllT_PT11_llS6_llS4_PT12_llPT13_lli.has_dyn_sized_stack, 0
	.set _ZN12_GLOBAL__N_135rocblas_gemm_batched_general_kernelIfLi16ELi16ELi32ELi32ELi8ELi32ELi8ELi8ELi32ELc78ELc78EK16rocblas_bfloat16KffEEvlllT_PT11_llS6_llS4_PT12_llPT13_lli.has_recursion, 0
	.set _ZN12_GLOBAL__N_135rocblas_gemm_batched_general_kernelIfLi16ELi16ELi32ELi32ELi8ELi32ELi8ELi8ELi32ELc78ELc78EK16rocblas_bfloat16KffEEvlllT_PT11_llS6_llS4_PT12_llPT13_lli.has_indirect_call, 0
	.section	.AMDGPU.csdata,"",@progbits
; Kernel info:
; codeLenInByte = 1888
; TotalNumSgprs: 32
; NumVgprs: 44
; ScratchSize: 0
; MemoryBound: 0
; FloatMode: 240
; IeeeMode: 1
; LDSByteSize: 2048 bytes/workgroup (compile time only)
; SGPRBlocks: 0
; VGPRBlocks: 5
; NumSGPRsForWavesPerEU: 32
; NumVGPRsForWavesPerEU: 44
; Occupancy: 16
; WaveLimiterHint : 0
; COMPUTE_PGM_RSRC2:SCRATCH_EN: 0
; COMPUTE_PGM_RSRC2:USER_SGPR: 6
; COMPUTE_PGM_RSRC2:TRAP_HANDLER: 0
; COMPUTE_PGM_RSRC2:TGID_X_EN: 1
; COMPUTE_PGM_RSRC2:TGID_Y_EN: 1
; COMPUTE_PGM_RSRC2:TGID_Z_EN: 1
; COMPUTE_PGM_RSRC2:TIDIG_COMP_CNT: 1
	.section	.text._ZN12_GLOBAL__N_135rocblas_gemm_batched_general_kernelIfLi16ELi16ELi32ELi32ELi8ELi32ELi8ELi8ELi32ELc84ELc78EK16rocblas_bfloat16KffEEvlllT_PT11_llS6_llS4_PT12_llPT13_lli,"axG",@progbits,_ZN12_GLOBAL__N_135rocblas_gemm_batched_general_kernelIfLi16ELi16ELi32ELi32ELi8ELi32ELi8ELi8ELi32ELc84ELc78EK16rocblas_bfloat16KffEEvlllT_PT11_llS6_llS4_PT12_llPT13_lli,comdat
	.globl	_ZN12_GLOBAL__N_135rocblas_gemm_batched_general_kernelIfLi16ELi16ELi32ELi32ELi8ELi32ELi8ELi8ELi32ELc84ELc78EK16rocblas_bfloat16KffEEvlllT_PT11_llS6_llS4_PT12_llPT13_lli ; -- Begin function _ZN12_GLOBAL__N_135rocblas_gemm_batched_general_kernelIfLi16ELi16ELi32ELi32ELi8ELi32ELi8ELi8ELi32ELc84ELc78EK16rocblas_bfloat16KffEEvlllT_PT11_llS6_llS4_PT12_llPT13_lli
	.p2align	8
	.type	_ZN12_GLOBAL__N_135rocblas_gemm_batched_general_kernelIfLi16ELi16ELi32ELi32ELi8ELi32ELi8ELi8ELi32ELc84ELc78EK16rocblas_bfloat16KffEEvlllT_PT11_llS6_llS4_PT12_llPT13_lli,@function
_ZN12_GLOBAL__N_135rocblas_gemm_batched_general_kernelIfLi16ELi16ELi32ELi32ELi8ELi32ELi8ELi8ELi32ELc84ELc78EK16rocblas_bfloat16KffEEvlllT_PT11_llS6_llS4_PT12_llPT13_lli: ; @_ZN12_GLOBAL__N_135rocblas_gemm_batched_general_kernelIfLi16ELi16ELi32ELi32ELi8ELi32ELi8ELi8ELi32ELc84ELc78EK16rocblas_bfloat16KffEEvlllT_PT11_llS6_llS4_PT12_llPT13_lli
; %bb.0:
	s_clause 0x1
	s_load_dwordx2 s[10:11], s[4:5], 0x10
	s_load_dwordx4 s[20:23], s[4:5], 0x0
	s_mov_b32 s0, s7
	v_mov_b32_e32 v10, 0
	v_mov_b32_e32 v9, 0
	;; [unrolled: 1-line block ×4, first 2 shown]
	s_ashr_i32 s7, s6, 31
	s_ashr_i32 s1, s0, 31
	s_lshl_b64 s[6:7], s[6:7], 5
	s_waitcnt lgkmcnt(0)
	v_cmp_lt_i64_e64 s2, s[10:11], 1
	s_and_b32 vcc_lo, exec_lo, s2
	s_lshl_b64 s[2:3], s[0:1], 5
	s_cbranch_vccnz .LBB464_7
; %bb.1:
	s_clause 0x1
	s_load_dwordx4 s[24:27], s[4:5], 0x40
	s_load_dwordx8 s[12:19], s[4:5], 0x20
	v_lshl_add_u32 v2, v1, 4, v0
	v_and_b32_e32 v6, 7, v0
	v_mov_b32_e32 v3, s7
	v_mov_b32_e32 v7, 0
	v_lshlrev_b32_e32 v14, 2, v0
	v_lshrrev_b32_e32 v9, 3, v2
	v_and_b32_e32 v8, 31, v2
	v_lshrrev_b32_e32 v11, 5, v2
	v_lshlrev_b32_e32 v13, 2, v6
	v_lshl_add_u32 v15, v1, 5, 0x400
	v_add_co_u32 v4, s0, v9, s2
	v_or_b32_e32 v2, s6, v8
	v_lshlrev_b32_e32 v10, 2, v8
	v_add_co_ci_u32_e64 v5, null, 0, s3, s0
	v_add_co_u32 v8, s9, s6, v8
	v_cmp_gt_i64_e64 s0, s[20:21], v[2:3]
	v_lshl_or_b32 v12, v11, 7, v10
	v_cmp_gt_i64_e64 s1, s[22:23], v[4:5]
	s_waitcnt lgkmcnt(0)
	v_mul_lo_u32 v10, s25, v4
	v_mul_lo_u32 v5, s24, v5
	v_mad_u64_u32 v[2:3], null, s24, v4, 0
	v_lshl_or_b32 v4, v9, 5, v13
	v_add_co_ci_u32_e64 v9, null, s7, 0, s9
	s_mul_i32 s9, s27, s8
	v_add_nc_u32_e32 v13, 0x400, v4
	v_add3_u32 v3, v3, v5, v10
	v_mul_lo_u32 v10, s15, v8
	v_mul_lo_u32 v9, s14, v9
	v_mad_u64_u32 v[4:5], null, s14, v8, 0
	s_mul_hi_u32 s14, s26, s8
	v_lshlrev_b64 v[2:3], 1, v[2:3]
	s_add_i32 s15, s14, s9
	s_mul_i32 s14, s26, s8
	s_mul_i32 s9, s17, s8
	s_lshl_b64 s[14:15], s[14:15], 1
	v_add3_u32 v5, v5, v9, v10
	v_add_co_u32 v8, vcc_lo, v2, s14
	v_add_co_ci_u32_e64 v9, null, s15, v3, vcc_lo
	s_mul_hi_u32 s14, s16, s8
	v_lshlrev_b64 v[2:3], 1, v[4:5]
	s_add_i32 s15, s14, s9
	s_mul_i32 s14, s16, s8
	v_lshlrev_b32_e32 v4, 1, v6
	s_lshl_b64 s[14:15], s[14:15], 1
	v_lshlrev_b32_e32 v5, 1, v11
	v_add_co_u32 v2, vcc_lo, v2, s14
	v_add_co_ci_u32_e64 v3, null, s15, v3, vcc_lo
	v_add_co_u32 v4, vcc_lo, v8, v4
	v_add_co_ci_u32_e64 v8, null, 0, v9, vcc_lo
	v_add_co_u32 v5, vcc_lo, v2, v5
	v_add_co_ci_u32_e64 v9, null, 0, v3, vcc_lo
	v_add_co_u32 v2, vcc_lo, s18, v4
	v_add_co_ci_u32_e64 v3, null, s19, v8, vcc_lo
	v_add_co_u32 v4, vcc_lo, s12, v5
	v_add_co_ci_u32_e64 v5, null, s13, v9, vcc_lo
	v_mov_b32_e32 v8, 0
	v_mov_b32_e32 v9, 0
	;; [unrolled: 1-line block ×3, first 2 shown]
	s_mov_b64 s[12:13], 0
	s_branch .LBB464_3
.LBB464_2:                              ;   in Loop: Header=BB464_3 Depth=1
	s_or_b32 exec_lo, exec_lo, s9
	ds_write_b32 v13, v17
	s_waitcnt lgkmcnt(0)
	s_barrier
	buffer_gl0_inv
	ds_read_b128 v[16:19], v15
	ds_read2_b32 v[32:33], v14 offset1:16
	ds_read_b128 v[20:23], v15 offset:512
	ds_read2_b32 v[34:35], v14 offset0:32 offset1:48
	ds_read2_b32 v[36:37], v14 offset0:64 offset1:80
	;; [unrolled: 1-line block ×3, first 2 shown]
	ds_read_b128 v[24:27], v15 offset:16
	ds_read2_b32 v[40:41], v14 offset0:128 offset1:144
	ds_read_b128 v[28:31], v15 offset:528
	ds_read2_b32 v[42:43], v14 offset0:160 offset1:176
	s_add_u32 s12, s12, 8
	s_addc_u32 s13, s13, 0
	v_add_co_u32 v2, vcc_lo, v2, 16
	v_cmp_lt_i64_e64 s9, s[12:13], s[10:11]
	v_add_co_ci_u32_e64 v3, null, 0, v3, vcc_lo
	v_add_co_u32 v4, vcc_lo, v4, 16
	v_add_co_ci_u32_e64 v5, null, 0, v5, vcc_lo
	s_waitcnt lgkmcnt(8)
	v_fmac_f32_e32 v10, v32, v16
	v_fmac_f32_e32 v9, v33, v16
	s_waitcnt lgkmcnt(7)
	v_fmac_f32_e32 v8, v32, v20
	v_fmac_f32_e32 v7, v33, v20
	ds_read2_b32 v[32:33], v14 offset0:192 offset1:208
	s_waitcnt lgkmcnt(7)
	v_fmac_f32_e32 v10, v34, v17
	v_fmac_f32_e32 v9, v35, v17
	;; [unrolled: 1-line block ×4, first 2 shown]
	ds_read2_b32 v[16:17], v14 offset0:224 offset1:240
	s_waitcnt lgkmcnt(7)
	v_fmac_f32_e32 v10, v36, v18
	v_fmac_f32_e32 v9, v37, v18
	;; [unrolled: 1-line block ×4, first 2 shown]
	s_and_b32 vcc_lo, exec_lo, s9
	s_waitcnt lgkmcnt(6)
	v_fmac_f32_e32 v10, v38, v19
	v_fmac_f32_e32 v9, v39, v19
	;; [unrolled: 1-line block ×4, first 2 shown]
	s_waitcnt lgkmcnt(0)
	v_fmac_f32_e32 v10, v40, v24
	v_fmac_f32_e32 v9, v41, v24
	v_fmac_f32_e32 v8, v40, v28
	v_fmac_f32_e32 v7, v41, v28
	s_barrier
	v_fmac_f32_e32 v10, v42, v25
	v_fmac_f32_e32 v9, v43, v25
	;; [unrolled: 1-line block ×4, first 2 shown]
	buffer_gl0_inv
	v_fmac_f32_e32 v10, v32, v26
	v_fmac_f32_e32 v9, v33, v26
	;; [unrolled: 1-line block ×8, first 2 shown]
	s_cbranch_vccz .LBB464_7
.LBB464_3:                              ; =>This Inner Loop Header: Depth=1
	v_add_co_u32 v16, s9, v11, s12
	v_add_co_ci_u32_e64 v17, null, 0, s13, s9
	v_cmp_gt_i64_e32 vcc_lo, s[10:11], v[16:17]
	v_mov_b32_e32 v16, 0
	s_and_b32 s14, s0, vcc_lo
	s_and_saveexec_b32 s9, s14
	s_cbranch_execz .LBB464_5
; %bb.4:                                ;   in Loop: Header=BB464_3 Depth=1
	global_load_ushort v16, v[4:5], off
	s_waitcnt vmcnt(0)
	v_lshlrev_b32_e32 v16, 16, v16
.LBB464_5:                              ;   in Loop: Header=BB464_3 Depth=1
	s_or_b32 exec_lo, exec_lo, s9
	v_add_co_u32 v17, s9, v6, s12
	v_add_co_ci_u32_e64 v18, null, 0, s13, s9
	ds_write_b32 v12, v16
	v_cmp_gt_i64_e32 vcc_lo, s[10:11], v[17:18]
	v_mov_b32_e32 v17, 0
	s_and_b32 s14, vcc_lo, s1
	s_and_saveexec_b32 s9, s14
	s_cbranch_execz .LBB464_2
; %bb.6:                                ;   in Loop: Header=BB464_3 Depth=1
	global_load_ushort v16, v[2:3], off
	s_waitcnt vmcnt(0)
	v_lshlrev_b32_e32 v17, 16, v16
	s_branch .LBB464_2
.LBB464_7:
	s_clause 0x3
	s_load_dwordx4 s[24:27], s[4:5], 0x78
	s_load_dword s9, s[4:5], 0x50
	s_load_dwordx8 s[12:19], s[4:5], 0x58
	s_load_dword s4, s[4:5], 0x18
	v_add_co_u32 v1, s0, s2, v1
	v_add_co_ci_u32_e64 v2, null, s3, 0, s0
	s_waitcnt lgkmcnt(0)
	s_mul_i32 s1, s27, s8
	s_mul_hi_u32 s2, s26, s8
	s_mul_i32 s0, s26, s8
	s_add_i32 s1, s2, s1
	v_cmp_neq_f32_e64 s2, s9, 0
	s_lshl_b64 s[10:11], s[0:1], 2
	v_cmp_gt_i64_e64 s0, s[22:23], v[1:2]
	s_add_u32 s3, s18, s10
	s_addc_u32 s5, s19, s11
	s_and_b32 vcc_lo, exec_lo, s2
	s_cbranch_vccnz .LBB464_20
; %bb.8:
	s_and_saveexec_b32 s10, s0
	s_cbranch_execz .LBB464_18
; %bb.9:
	v_mul_lo_u32 v5, v2, s24
	v_mul_lo_u32 v6, v1, s25
	v_mad_u64_u32 v[3:4], null, v1, s24, 0
	v_add3_u32 v4, v4, v6, v5
	v_add_co_u32 v5, s1, s6, v0
	v_add_co_ci_u32_e64 v6, null, s7, 0, s1
	v_lshlrev_b64 v[11:12], 2, v[3:4]
	v_cmp_gt_i64_e32 vcc_lo, s[20:21], v[5:6]
	v_lshlrev_b64 v[3:4], 2, v[5:6]
	v_add_co_u32 v11, s1, s3, v11
	v_add_co_ci_u32_e64 v12, null, s5, v12, s1
	s_and_saveexec_b32 s2, vcc_lo
	s_cbranch_execz .LBB464_11
; %bb.10:
	v_add_co_u32 v13, s1, v11, v3
	v_add_co_ci_u32_e64 v14, null, v12, v4, s1
	v_mul_f32_e32 v15, s4, v10
	global_store_dword v[13:14], v15, off
.LBB464_11:
	s_or_b32 exec_lo, exec_lo, s2
	v_add_co_u32 v5, s1, v5, 16
	v_add_co_ci_u32_e64 v6, null, 0, v6, s1
	v_cmp_gt_i64_e64 s1, s[20:21], v[5:6]
	s_and_saveexec_b32 s11, s1
	s_cbranch_execz .LBB464_13
; %bb.12:
	v_add_co_u32 v5, s2, v11, v3
	v_add_co_ci_u32_e64 v6, null, v12, v4, s2
	v_mul_f32_e32 v13, s4, v9
	global_store_dword v[5:6], v13, off offset:64
.LBB464_13:
	s_or_b32 exec_lo, exec_lo, s11
	v_add_co_u32 v5, s2, v1, 16
	v_add_co_ci_u32_e64 v6, null, 0, v2, s2
	v_cmp_gt_i64_e64 s2, s[22:23], v[5:6]
	s_and_b32 exec_lo, exec_lo, s2
	s_cbranch_execz .LBB464_18
; %bb.14:
	s_lshl_b64 s[18:19], s[24:25], 6
	v_add_co_u32 v5, s2, v11, s18
	v_add_co_ci_u32_e64 v6, null, s19, v12, s2
	v_add_co_u32 v3, s2, v5, v3
	v_add_co_ci_u32_e64 v4, null, v6, v4, s2
	s_and_saveexec_b32 s2, vcc_lo
	s_cbranch_execz .LBB464_16
; %bb.15:
	v_mul_f32_e32 v5, s4, v8
	global_store_dword v[3:4], v5, off
.LBB464_16:
	s_or_b32 exec_lo, exec_lo, s2
	s_and_b32 exec_lo, exec_lo, s1
	s_cbranch_execz .LBB464_18
; %bb.17:
	v_mul_f32_e32 v5, s4, v7
	global_store_dword v[3:4], v5, off offset:64
.LBB464_18:
	s_or_b32 exec_lo, exec_lo, s10
	s_cbranch_execz .LBB464_21
.LBB464_19:
	s_endpgm
.LBB464_20:
.LBB464_21:
	s_and_saveexec_b32 s1, s0
	s_cbranch_execz .LBB464_19
; %bb.22:
	v_mul_lo_u32 v5, v2, s14
	v_mul_lo_u32 v6, v1, s15
	v_mad_u64_u32 v[3:4], null, v1, s14, 0
	v_mul_lo_u32 v13, v2, s24
	v_mul_lo_u32 v14, v1, s25
	v_mad_u64_u32 v[11:12], null, v1, s24, 0
	s_mul_i32 s0, s17, s8
	s_mul_hi_u32 s1, s16, s8
	v_add3_u32 v4, v4, v6, v5
	s_add_i32 s1, s1, s0
	s_mul_i32 s0, s16, s8
	v_add_co_u32 v5, s2, s6, v0
	v_add3_u32 v12, v12, v14, v13
	v_lshlrev_b64 v[3:4], 2, v[3:4]
	s_lshl_b64 s[0:1], s[0:1], 2
	v_add_co_ci_u32_e64 v6, null, s7, 0, s2
	v_lshlrev_b64 v[12:13], 2, v[11:12]
	s_add_u32 s0, s12, s0
	s_addc_u32 s1, s13, s1
	v_add_co_u32 v0, s0, s0, v3
	v_add_co_ci_u32_e64 v11, null, s1, v4, s0
	v_add_co_u32 v12, s0, s3, v12
	v_cmp_gt_i64_e32 vcc_lo, s[20:21], v[5:6]
	v_lshlrev_b64 v[3:4], 2, v[5:6]
	v_add_co_ci_u32_e64 v13, null, s5, v13, s0
	s_and_saveexec_b32 s1, vcc_lo
	s_cbranch_execz .LBB464_24
; %bb.23:
	v_add_co_u32 v14, s0, v0, v3
	v_add_co_ci_u32_e64 v15, null, v11, v4, s0
	global_load_dword v14, v[14:15], off
	s_waitcnt vmcnt(0)
	v_mul_f32_e32 v16, s9, v14
	v_add_co_u32 v14, s0, v12, v3
	v_add_co_ci_u32_e64 v15, null, v13, v4, s0
	v_fmac_f32_e32 v16, s4, v10
	global_store_dword v[14:15], v16, off
.LBB464_24:
	s_or_b32 exec_lo, exec_lo, s1
	v_add_co_u32 v5, s0, v5, 16
	v_add_co_ci_u32_e64 v6, null, 0, v6, s0
	v_cmp_gt_i64_e64 s0, s[20:21], v[5:6]
	s_and_saveexec_b32 s2, s0
	s_cbranch_execz .LBB464_26
; %bb.25:
	v_add_co_u32 v5, s1, v0, v3
	v_add_co_ci_u32_e64 v6, null, v11, v4, s1
	global_load_dword v5, v[5:6], off offset:64
	s_waitcnt vmcnt(0)
	v_mul_f32_e32 v10, s9, v5
	v_add_co_u32 v5, s1, v12, v3
	v_add_co_ci_u32_e64 v6, null, v13, v4, s1
	v_fmac_f32_e32 v10, s4, v9
	global_store_dword v[5:6], v10, off offset:64
.LBB464_26:
	s_or_b32 exec_lo, exec_lo, s2
	v_add_co_u32 v1, s1, v1, 16
	v_add_co_ci_u32_e64 v2, null, 0, v2, s1
	v_cmp_gt_i64_e64 s1, s[22:23], v[1:2]
	s_and_b32 exec_lo, exec_lo, s1
	s_cbranch_execz .LBB464_19
; %bb.27:
	s_lshl_b64 s[2:3], s[14:15], 6
	v_add_co_u32 v0, s1, v0, s2
	v_add_co_ci_u32_e64 v1, null, s3, v11, s1
	s_lshl_b64 s[2:3], s[24:25], 6
	v_add_co_u32 v2, s1, v12, s2
	v_add_co_ci_u32_e64 v5, null, s3, v13, s1
	v_add_co_u32 v0, s1, v0, v3
	v_add_co_ci_u32_e64 v1, null, v1, v4, s1
	;; [unrolled: 2-line block ×3, first 2 shown]
	s_and_saveexec_b32 s1, vcc_lo
	s_cbranch_execz .LBB464_29
; %bb.28:
	global_load_dword v4, v[0:1], off
	s_waitcnt vmcnt(0)
	v_mul_f32_e32 v4, s9, v4
	v_fmac_f32_e32 v4, s4, v8
	global_store_dword v[2:3], v4, off
.LBB464_29:
	s_or_b32 exec_lo, exec_lo, s1
	s_and_b32 exec_lo, exec_lo, s0
	s_cbranch_execz .LBB464_19
; %bb.30:
	global_load_dword v0, v[0:1], off offset:64
	s_waitcnt vmcnt(0)
	v_mul_f32_e32 v0, s9, v0
	v_fmac_f32_e32 v0, s4, v7
	global_store_dword v[2:3], v0, off offset:64
	s_endpgm
	.section	.rodata,"a",@progbits
	.p2align	6, 0x0
	.amdhsa_kernel _ZN12_GLOBAL__N_135rocblas_gemm_batched_general_kernelIfLi16ELi16ELi32ELi32ELi8ELi32ELi8ELi8ELi32ELc84ELc78EK16rocblas_bfloat16KffEEvlllT_PT11_llS6_llS4_PT12_llPT13_lli
		.amdhsa_group_segment_fixed_size 2048
		.amdhsa_private_segment_fixed_size 0
		.amdhsa_kernarg_size 140
		.amdhsa_user_sgpr_count 6
		.amdhsa_user_sgpr_private_segment_buffer 1
		.amdhsa_user_sgpr_dispatch_ptr 0
		.amdhsa_user_sgpr_queue_ptr 0
		.amdhsa_user_sgpr_kernarg_segment_ptr 1
		.amdhsa_user_sgpr_dispatch_id 0
		.amdhsa_user_sgpr_flat_scratch_init 0
		.amdhsa_user_sgpr_private_segment_size 0
		.amdhsa_wavefront_size32 1
		.amdhsa_uses_dynamic_stack 0
		.amdhsa_system_sgpr_private_segment_wavefront_offset 0
		.amdhsa_system_sgpr_workgroup_id_x 1
		.amdhsa_system_sgpr_workgroup_id_y 1
		.amdhsa_system_sgpr_workgroup_id_z 1
		.amdhsa_system_sgpr_workgroup_info 0
		.amdhsa_system_vgpr_workitem_id 1
		.amdhsa_next_free_vgpr 44
		.amdhsa_next_free_sgpr 28
		.amdhsa_reserve_vcc 1
		.amdhsa_reserve_flat_scratch 0
		.amdhsa_float_round_mode_32 0
		.amdhsa_float_round_mode_16_64 0
		.amdhsa_float_denorm_mode_32 3
		.amdhsa_float_denorm_mode_16_64 3
		.amdhsa_dx10_clamp 1
		.amdhsa_ieee_mode 1
		.amdhsa_fp16_overflow 0
		.amdhsa_workgroup_processor_mode 1
		.amdhsa_memory_ordered 1
		.amdhsa_forward_progress 1
		.amdhsa_shared_vgpr_count 0
		.amdhsa_exception_fp_ieee_invalid_op 0
		.amdhsa_exception_fp_denorm_src 0
		.amdhsa_exception_fp_ieee_div_zero 0
		.amdhsa_exception_fp_ieee_overflow 0
		.amdhsa_exception_fp_ieee_underflow 0
		.amdhsa_exception_fp_ieee_inexact 0
		.amdhsa_exception_int_div_zero 0
	.end_amdhsa_kernel
	.section	.text._ZN12_GLOBAL__N_135rocblas_gemm_batched_general_kernelIfLi16ELi16ELi32ELi32ELi8ELi32ELi8ELi8ELi32ELc84ELc78EK16rocblas_bfloat16KffEEvlllT_PT11_llS6_llS4_PT12_llPT13_lli,"axG",@progbits,_ZN12_GLOBAL__N_135rocblas_gemm_batched_general_kernelIfLi16ELi16ELi32ELi32ELi8ELi32ELi8ELi8ELi32ELc84ELc78EK16rocblas_bfloat16KffEEvlllT_PT11_llS6_llS4_PT12_llPT13_lli,comdat
.Lfunc_end464:
	.size	_ZN12_GLOBAL__N_135rocblas_gemm_batched_general_kernelIfLi16ELi16ELi32ELi32ELi8ELi32ELi8ELi8ELi32ELc84ELc78EK16rocblas_bfloat16KffEEvlllT_PT11_llS6_llS4_PT12_llPT13_lli, .Lfunc_end464-_ZN12_GLOBAL__N_135rocblas_gemm_batched_general_kernelIfLi16ELi16ELi32ELi32ELi8ELi32ELi8ELi8ELi32ELc84ELc78EK16rocblas_bfloat16KffEEvlllT_PT11_llS6_llS4_PT12_llPT13_lli
                                        ; -- End function
	.set _ZN12_GLOBAL__N_135rocblas_gemm_batched_general_kernelIfLi16ELi16ELi32ELi32ELi8ELi32ELi8ELi8ELi32ELc84ELc78EK16rocblas_bfloat16KffEEvlllT_PT11_llS6_llS4_PT12_llPT13_lli.num_vgpr, 44
	.set _ZN12_GLOBAL__N_135rocblas_gemm_batched_general_kernelIfLi16ELi16ELi32ELi32ELi8ELi32ELi8ELi8ELi32ELc84ELc78EK16rocblas_bfloat16KffEEvlllT_PT11_llS6_llS4_PT12_llPT13_lli.num_agpr, 0
	.set _ZN12_GLOBAL__N_135rocblas_gemm_batched_general_kernelIfLi16ELi16ELi32ELi32ELi8ELi32ELi8ELi8ELi32ELc84ELc78EK16rocblas_bfloat16KffEEvlllT_PT11_llS6_llS4_PT12_llPT13_lli.numbered_sgpr, 28
	.set _ZN12_GLOBAL__N_135rocblas_gemm_batched_general_kernelIfLi16ELi16ELi32ELi32ELi8ELi32ELi8ELi8ELi32ELc84ELc78EK16rocblas_bfloat16KffEEvlllT_PT11_llS6_llS4_PT12_llPT13_lli.num_named_barrier, 0
	.set _ZN12_GLOBAL__N_135rocblas_gemm_batched_general_kernelIfLi16ELi16ELi32ELi32ELi8ELi32ELi8ELi8ELi32ELc84ELc78EK16rocblas_bfloat16KffEEvlllT_PT11_llS6_llS4_PT12_llPT13_lli.private_seg_size, 0
	.set _ZN12_GLOBAL__N_135rocblas_gemm_batched_general_kernelIfLi16ELi16ELi32ELi32ELi8ELi32ELi8ELi8ELi32ELc84ELc78EK16rocblas_bfloat16KffEEvlllT_PT11_llS6_llS4_PT12_llPT13_lli.uses_vcc, 1
	.set _ZN12_GLOBAL__N_135rocblas_gemm_batched_general_kernelIfLi16ELi16ELi32ELi32ELi8ELi32ELi8ELi8ELi32ELc84ELc78EK16rocblas_bfloat16KffEEvlllT_PT11_llS6_llS4_PT12_llPT13_lli.uses_flat_scratch, 0
	.set _ZN12_GLOBAL__N_135rocblas_gemm_batched_general_kernelIfLi16ELi16ELi32ELi32ELi8ELi32ELi8ELi8ELi32ELc84ELc78EK16rocblas_bfloat16KffEEvlllT_PT11_llS6_llS4_PT12_llPT13_lli.has_dyn_sized_stack, 0
	.set _ZN12_GLOBAL__N_135rocblas_gemm_batched_general_kernelIfLi16ELi16ELi32ELi32ELi8ELi32ELi8ELi8ELi32ELc84ELc78EK16rocblas_bfloat16KffEEvlllT_PT11_llS6_llS4_PT12_llPT13_lli.has_recursion, 0
	.set _ZN12_GLOBAL__N_135rocblas_gemm_batched_general_kernelIfLi16ELi16ELi32ELi32ELi8ELi32ELi8ELi8ELi32ELc84ELc78EK16rocblas_bfloat16KffEEvlllT_PT11_llS6_llS4_PT12_llPT13_lli.has_indirect_call, 0
	.section	.AMDGPU.csdata,"",@progbits
; Kernel info:
; codeLenInByte = 1896
; TotalNumSgprs: 30
; NumVgprs: 44
; ScratchSize: 0
; MemoryBound: 0
; FloatMode: 240
; IeeeMode: 1
; LDSByteSize: 2048 bytes/workgroup (compile time only)
; SGPRBlocks: 0
; VGPRBlocks: 5
; NumSGPRsForWavesPerEU: 30
; NumVGPRsForWavesPerEU: 44
; Occupancy: 16
; WaveLimiterHint : 0
; COMPUTE_PGM_RSRC2:SCRATCH_EN: 0
; COMPUTE_PGM_RSRC2:USER_SGPR: 6
; COMPUTE_PGM_RSRC2:TRAP_HANDLER: 0
; COMPUTE_PGM_RSRC2:TGID_X_EN: 1
; COMPUTE_PGM_RSRC2:TGID_Y_EN: 1
; COMPUTE_PGM_RSRC2:TGID_Z_EN: 1
; COMPUTE_PGM_RSRC2:TIDIG_COMP_CNT: 1
	.section	.text._ZN12_GLOBAL__N_135rocblas_gemm_batched_general_kernelIfLi16ELi16ELi32ELi32ELi8ELi32ELi8ELi8ELi32ELc78ELc84EK16rocblas_bfloat16KffEEvlllT_PT11_llS6_llS4_PT12_llPT13_lli,"axG",@progbits,_ZN12_GLOBAL__N_135rocblas_gemm_batched_general_kernelIfLi16ELi16ELi32ELi32ELi8ELi32ELi8ELi8ELi32ELc78ELc84EK16rocblas_bfloat16KffEEvlllT_PT11_llS6_llS4_PT12_llPT13_lli,comdat
	.globl	_ZN12_GLOBAL__N_135rocblas_gemm_batched_general_kernelIfLi16ELi16ELi32ELi32ELi8ELi32ELi8ELi8ELi32ELc78ELc84EK16rocblas_bfloat16KffEEvlllT_PT11_llS6_llS4_PT12_llPT13_lli ; -- Begin function _ZN12_GLOBAL__N_135rocblas_gemm_batched_general_kernelIfLi16ELi16ELi32ELi32ELi8ELi32ELi8ELi8ELi32ELc78ELc84EK16rocblas_bfloat16KffEEvlllT_PT11_llS6_llS4_PT12_llPT13_lli
	.p2align	8
	.type	_ZN12_GLOBAL__N_135rocblas_gemm_batched_general_kernelIfLi16ELi16ELi32ELi32ELi8ELi32ELi8ELi8ELi32ELc78ELc84EK16rocblas_bfloat16KffEEvlllT_PT11_llS6_llS4_PT12_llPT13_lli,@function
_ZN12_GLOBAL__N_135rocblas_gemm_batched_general_kernelIfLi16ELi16ELi32ELi32ELi8ELi32ELi8ELi8ELi32ELc78ELc84EK16rocblas_bfloat16KffEEvlllT_PT11_llS6_llS4_PT12_llPT13_lli: ; @_ZN12_GLOBAL__N_135rocblas_gemm_batched_general_kernelIfLi16ELi16ELi32ELi32ELi8ELi32ELi8ELi8ELi32ELc78ELc84EK16rocblas_bfloat16KffEEvlllT_PT11_llS6_llS4_PT12_llPT13_lli
; %bb.0:
	s_clause 0x1
	s_load_dwordx2 s[28:29], s[4:5], 0x10
	s_load_dwordx4 s[20:23], s[4:5], 0x0
	s_mov_b32 s0, s7
	v_mov_b32_e32 v10, 0
	v_mov_b32_e32 v9, 0
	;; [unrolled: 1-line block ×4, first 2 shown]
	s_ashr_i32 s7, s6, 31
	s_ashr_i32 s1, s0, 31
	s_lshl_b64 s[10:11], s[6:7], 5
	s_waitcnt lgkmcnt(0)
	v_cmp_lt_i64_e64 s2, s[28:29], 1
	s_and_b32 vcc_lo, exec_lo, s2
	s_lshl_b64 s[2:3], s[0:1], 5
	s_cbranch_vccnz .LBB465_7
; %bb.1:
	s_clause 0x1
	s_load_dwordx4 s[24:27], s[4:5], 0x40
	s_load_dwordx8 s[12:19], s[4:5], 0x20
	v_lshl_add_u32 v2, v1, 4, v0
	v_and_b32_e32 v6, 7, v0
	v_mov_b32_e32 v3, s11
	s_lshl_b64 s[30:31], s[0:1], 6
	v_mov_b32_e32 v7, 0
	v_and_b32_e32 v10, 31, v2
	v_lshrrev_b32_e32 v14, 3, v2
	v_lshrrev_b32_e32 v13, 5, v2
	v_lshlrev_b32_e32 v15, 2, v6
	v_lshlrev_b32_e32 v11, 2, v0
	v_or_b32_e32 v2, s10, v10
	v_lshlrev_b32_e32 v16, 2, v10
	v_add_co_u32 v8, s0, v14, s2
	v_add_co_ci_u32_e64 v9, null, 0, s3, s0
	v_lshl_or_b32 v15, v14, 5, v15
	v_lshlrev_b32_e32 v18, 1, v14
	s_waitcnt lgkmcnt(0)
	v_mad_u64_u32 v[4:5], null, s24, v6, 0
	v_cmp_gt_i64_e64 s0, s[20:21], v[2:3]
	v_lshl_or_b32 v14, v13, 7, v16
	v_mad_u64_u32 v[16:17], null, s14, v13, 0
	s_mul_i32 s9, s27, s8
	s_mul_hi_u32 s27, s26, s8
	v_mov_b32_e32 v2, v5
	s_mul_i32 s26, s26, s8
	s_add_i32 s27, s27, s9
	s_mul_i32 s17, s17, s8
	s_lshl_b64 s[26:27], s[26:27], 1
	v_mad_u64_u32 v[2:3], null, s25, v6, v[2:3]
	v_mov_b32_e32 v3, v17
	s_mul_hi_u32 s33, s16, s8
	s_add_u32 s9, s30, s26
	s_mul_i32 s16, s16, s8
	s_addc_u32 s26, s31, s27
	s_add_i32 s17, s33, s17
	v_mov_b32_e32 v5, v2
	v_mad_u64_u32 v[2:3], null, s15, v13, v[3:4]
	s_lshl_b64 s[16:17], s[16:17], 1
	v_cmp_gt_i64_e64 s1, s[22:23], v[8:9]
	v_lshlrev_b64 v[3:4], 1, v[4:5]
	v_lshlrev_b32_e32 v8, 1, v10
	v_lshl_add_u32 v12, v1, 5, 0x400
	v_add_nc_u32_e32 v15, 0x400, v15
	v_mov_b32_e32 v17, v2
	v_mov_b32_e32 v10, 0
	v_add_co_u32 v5, vcc_lo, s9, v3
	v_add_co_ci_u32_e64 v4, null, s26, v4, vcc_lo
	v_lshlrev_b64 v[2:3], 1, v[16:17]
	s_lshl_b64 s[26:27], s[6:7], 6
	s_lshl_b64 s[6:7], s[24:25], 4
	s_add_u32 s9, s26, s16
	s_addc_u32 s16, s27, s17
	v_add_co_u32 v2, vcc_lo, s9, v2
	v_add_co_ci_u32_e64 v3, null, s16, v3, vcc_lo
	v_add_co_u32 v5, vcc_lo, v5, v18
	v_add_co_ci_u32_e64 v4, null, 0, v4, vcc_lo
	;; [unrolled: 2-line block ×5, first 2 shown]
	v_mov_b32_e32 v8, 0
	v_mov_b32_e32 v9, 0
	s_lshl_b64 s[12:13], s[14:15], 4
	s_mov_b64 s[14:15], 0
	s_branch .LBB465_3
.LBB465_2:                              ;   in Loop: Header=BB465_3 Depth=1
	s_or_b32 exec_lo, exec_lo, s9
	ds_write_b32 v15, v17
	s_waitcnt lgkmcnt(0)
	s_barrier
	buffer_gl0_inv
	ds_read_b128 v[16:19], v12
	ds_read2_b32 v[32:33], v11 offset1:16
	ds_read_b128 v[20:23], v12 offset:512
	ds_read2_b32 v[34:35], v11 offset0:32 offset1:48
	ds_read2_b32 v[36:37], v11 offset0:64 offset1:80
	;; [unrolled: 1-line block ×3, first 2 shown]
	ds_read_b128 v[24:27], v12 offset:16
	ds_read2_b32 v[40:41], v11 offset0:128 offset1:144
	ds_read_b128 v[28:31], v12 offset:528
	ds_read2_b32 v[42:43], v11 offset0:160 offset1:176
	s_add_u32 s14, s14, 8
	s_addc_u32 s15, s15, 0
	v_add_co_u32 v2, vcc_lo, v2, s6
	v_cmp_lt_i64_e64 s9, s[14:15], s[28:29]
	v_add_co_ci_u32_e64 v3, null, s7, v3, vcc_lo
	v_add_co_u32 v4, vcc_lo, v4, s12
	v_add_co_ci_u32_e64 v5, null, s13, v5, vcc_lo
	s_waitcnt lgkmcnt(8)
	v_fmac_f32_e32 v10, v32, v16
	v_fmac_f32_e32 v9, v33, v16
	s_waitcnt lgkmcnt(7)
	v_fmac_f32_e32 v8, v32, v20
	v_fmac_f32_e32 v7, v33, v20
	ds_read2_b32 v[32:33], v11 offset0:192 offset1:208
	s_waitcnt lgkmcnt(7)
	v_fmac_f32_e32 v10, v34, v17
	v_fmac_f32_e32 v9, v35, v17
	;; [unrolled: 1-line block ×4, first 2 shown]
	ds_read2_b32 v[16:17], v11 offset0:224 offset1:240
	s_waitcnt lgkmcnt(7)
	v_fmac_f32_e32 v10, v36, v18
	v_fmac_f32_e32 v9, v37, v18
	;; [unrolled: 1-line block ×4, first 2 shown]
	s_and_b32 vcc_lo, exec_lo, s9
	s_waitcnt lgkmcnt(6)
	v_fmac_f32_e32 v10, v38, v19
	v_fmac_f32_e32 v9, v39, v19
	;; [unrolled: 1-line block ×4, first 2 shown]
	s_waitcnt lgkmcnt(0)
	v_fmac_f32_e32 v10, v40, v24
	v_fmac_f32_e32 v9, v41, v24
	;; [unrolled: 1-line block ×4, first 2 shown]
	s_barrier
	v_fmac_f32_e32 v10, v42, v25
	v_fmac_f32_e32 v9, v43, v25
	;; [unrolled: 1-line block ×4, first 2 shown]
	buffer_gl0_inv
	v_fmac_f32_e32 v10, v32, v26
	v_fmac_f32_e32 v9, v33, v26
	;; [unrolled: 1-line block ×8, first 2 shown]
	s_cbranch_vccz .LBB465_7
.LBB465_3:                              ; =>This Inner Loop Header: Depth=1
	v_add_co_u32 v16, s9, v13, s14
	v_add_co_ci_u32_e64 v17, null, 0, s15, s9
	v_cmp_gt_i64_e32 vcc_lo, s[28:29], v[16:17]
	v_mov_b32_e32 v16, 0
	s_and_b32 s16, s0, vcc_lo
	s_and_saveexec_b32 s9, s16
	s_cbranch_execz .LBB465_5
; %bb.4:                                ;   in Loop: Header=BB465_3 Depth=1
	global_load_ushort v16, v[4:5], off
	s_waitcnt vmcnt(0)
	v_lshlrev_b32_e32 v16, 16, v16
.LBB465_5:                              ;   in Loop: Header=BB465_3 Depth=1
	s_or_b32 exec_lo, exec_lo, s9
	v_add_co_u32 v17, s9, v6, s14
	v_add_co_ci_u32_e64 v18, null, 0, s15, s9
	ds_write_b32 v14, v16
	v_cmp_gt_i64_e32 vcc_lo, s[28:29], v[17:18]
	v_mov_b32_e32 v17, 0
	s_and_b32 s16, vcc_lo, s1
	s_and_saveexec_b32 s9, s16
	s_cbranch_execz .LBB465_2
; %bb.6:                                ;   in Loop: Header=BB465_3 Depth=1
	global_load_ushort v16, v[2:3], off
	s_waitcnt vmcnt(0)
	v_lshlrev_b32_e32 v17, 16, v16
	s_branch .LBB465_2
.LBB465_7:
	s_clause 0x3
	s_load_dwordx4 s[24:27], s[4:5], 0x78
	s_load_dword s6, s[4:5], 0x50
	s_load_dwordx8 s[12:19], s[4:5], 0x58
	s_load_dword s4, s[4:5], 0x18
	v_add_co_u32 v1, s0, s2, v1
	v_add_co_ci_u32_e64 v2, null, s3, 0, s0
	s_waitcnt lgkmcnt(0)
	s_mul_i32 s1, s27, s8
	s_mul_hi_u32 s2, s26, s8
	s_mul_i32 s0, s26, s8
	s_add_i32 s1, s2, s1
	v_cmp_neq_f32_e64 s2, s6, 0
	s_lshl_b64 s[26:27], s[0:1], 2
	v_cmp_gt_i64_e64 s0, s[22:23], v[1:2]
	s_add_u32 s3, s18, s26
	s_addc_u32 s5, s19, s27
	s_and_b32 vcc_lo, exec_lo, s2
	s_cbranch_vccnz .LBB465_20
; %bb.8:
	s_and_saveexec_b32 s7, s0
	s_cbranch_execz .LBB465_18
; %bb.9:
	v_mul_lo_u32 v5, v2, s24
	v_mul_lo_u32 v6, v1, s25
	v_mad_u64_u32 v[3:4], null, v1, s24, 0
	v_add3_u32 v4, v4, v6, v5
	v_add_co_u32 v5, s1, s10, v0
	v_add_co_ci_u32_e64 v6, null, s11, 0, s1
	v_lshlrev_b64 v[11:12], 2, v[3:4]
	v_cmp_gt_i64_e32 vcc_lo, s[20:21], v[5:6]
	v_lshlrev_b64 v[3:4], 2, v[5:6]
	v_add_co_u32 v11, s1, s3, v11
	v_add_co_ci_u32_e64 v12, null, s5, v12, s1
	s_and_saveexec_b32 s2, vcc_lo
	s_cbranch_execz .LBB465_11
; %bb.10:
	v_add_co_u32 v13, s1, v11, v3
	v_add_co_ci_u32_e64 v14, null, v12, v4, s1
	v_mul_f32_e32 v15, s4, v10
	global_store_dword v[13:14], v15, off
.LBB465_11:
	s_or_b32 exec_lo, exec_lo, s2
	v_add_co_u32 v5, s1, v5, 16
	v_add_co_ci_u32_e64 v6, null, 0, v6, s1
	v_cmp_gt_i64_e64 s1, s[20:21], v[5:6]
	s_and_saveexec_b32 s9, s1
	s_cbranch_execz .LBB465_13
; %bb.12:
	v_add_co_u32 v5, s2, v11, v3
	v_add_co_ci_u32_e64 v6, null, v12, v4, s2
	v_mul_f32_e32 v13, s4, v9
	global_store_dword v[5:6], v13, off offset:64
.LBB465_13:
	s_or_b32 exec_lo, exec_lo, s9
	v_add_co_u32 v5, s2, v1, 16
	v_add_co_ci_u32_e64 v6, null, 0, v2, s2
	v_cmp_gt_i64_e64 s2, s[22:23], v[5:6]
	s_and_b32 exec_lo, exec_lo, s2
	s_cbranch_execz .LBB465_18
; %bb.14:
	s_lshl_b64 s[18:19], s[24:25], 6
	v_add_co_u32 v5, s2, v11, s18
	v_add_co_ci_u32_e64 v6, null, s19, v12, s2
	v_add_co_u32 v3, s2, v5, v3
	v_add_co_ci_u32_e64 v4, null, v6, v4, s2
	s_and_saveexec_b32 s2, vcc_lo
	s_cbranch_execz .LBB465_16
; %bb.15:
	v_mul_f32_e32 v5, s4, v8
	global_store_dword v[3:4], v5, off
.LBB465_16:
	s_or_b32 exec_lo, exec_lo, s2
	s_and_b32 exec_lo, exec_lo, s1
	s_cbranch_execz .LBB465_18
; %bb.17:
	v_mul_f32_e32 v5, s4, v7
	global_store_dword v[3:4], v5, off offset:64
.LBB465_18:
	s_or_b32 exec_lo, exec_lo, s7
	s_cbranch_execz .LBB465_21
.LBB465_19:
	s_endpgm
.LBB465_20:
.LBB465_21:
	s_and_saveexec_b32 s1, s0
	s_cbranch_execz .LBB465_19
; %bb.22:
	v_mul_lo_u32 v5, v2, s14
	v_mul_lo_u32 v6, v1, s15
	v_mad_u64_u32 v[3:4], null, v1, s14, 0
	v_mul_lo_u32 v13, v2, s24
	v_mul_lo_u32 v14, v1, s25
	v_mad_u64_u32 v[11:12], null, v1, s24, 0
	s_mul_i32 s0, s17, s8
	s_mul_hi_u32 s1, s16, s8
	v_add3_u32 v4, v4, v6, v5
	s_add_i32 s1, s1, s0
	s_mul_i32 s0, s16, s8
	v_add_co_u32 v5, s2, s10, v0
	v_add3_u32 v12, v12, v14, v13
	v_lshlrev_b64 v[3:4], 2, v[3:4]
	s_lshl_b64 s[0:1], s[0:1], 2
	v_add_co_ci_u32_e64 v6, null, s11, 0, s2
	v_lshlrev_b64 v[12:13], 2, v[11:12]
	s_add_u32 s0, s12, s0
	s_addc_u32 s1, s13, s1
	v_add_co_u32 v0, s0, s0, v3
	v_add_co_ci_u32_e64 v11, null, s1, v4, s0
	v_add_co_u32 v12, s0, s3, v12
	v_cmp_gt_i64_e32 vcc_lo, s[20:21], v[5:6]
	v_lshlrev_b64 v[3:4], 2, v[5:6]
	v_add_co_ci_u32_e64 v13, null, s5, v13, s0
	s_and_saveexec_b32 s1, vcc_lo
	s_cbranch_execz .LBB465_24
; %bb.23:
	v_add_co_u32 v14, s0, v0, v3
	v_add_co_ci_u32_e64 v15, null, v11, v4, s0
	global_load_dword v14, v[14:15], off
	s_waitcnt vmcnt(0)
	v_mul_f32_e32 v16, s6, v14
	v_add_co_u32 v14, s0, v12, v3
	v_add_co_ci_u32_e64 v15, null, v13, v4, s0
	v_fmac_f32_e32 v16, s4, v10
	global_store_dword v[14:15], v16, off
.LBB465_24:
	s_or_b32 exec_lo, exec_lo, s1
	v_add_co_u32 v5, s0, v5, 16
	v_add_co_ci_u32_e64 v6, null, 0, v6, s0
	v_cmp_gt_i64_e64 s0, s[20:21], v[5:6]
	s_and_saveexec_b32 s2, s0
	s_cbranch_execz .LBB465_26
; %bb.25:
	v_add_co_u32 v5, s1, v0, v3
	v_add_co_ci_u32_e64 v6, null, v11, v4, s1
	global_load_dword v5, v[5:6], off offset:64
	s_waitcnt vmcnt(0)
	v_mul_f32_e32 v10, s6, v5
	v_add_co_u32 v5, s1, v12, v3
	v_add_co_ci_u32_e64 v6, null, v13, v4, s1
	v_fmac_f32_e32 v10, s4, v9
	global_store_dword v[5:6], v10, off offset:64
.LBB465_26:
	s_or_b32 exec_lo, exec_lo, s2
	v_add_co_u32 v1, s1, v1, 16
	v_add_co_ci_u32_e64 v2, null, 0, v2, s1
	v_cmp_gt_i64_e64 s1, s[22:23], v[1:2]
	s_and_b32 exec_lo, exec_lo, s1
	s_cbranch_execz .LBB465_19
; %bb.27:
	s_lshl_b64 s[2:3], s[14:15], 6
	v_add_co_u32 v0, s1, v0, s2
	v_add_co_ci_u32_e64 v1, null, s3, v11, s1
	s_lshl_b64 s[2:3], s[24:25], 6
	v_add_co_u32 v2, s1, v12, s2
	v_add_co_ci_u32_e64 v5, null, s3, v13, s1
	v_add_co_u32 v0, s1, v0, v3
	v_add_co_ci_u32_e64 v1, null, v1, v4, s1
	;; [unrolled: 2-line block ×3, first 2 shown]
	s_and_saveexec_b32 s1, vcc_lo
	s_cbranch_execz .LBB465_29
; %bb.28:
	global_load_dword v4, v[0:1], off
	s_waitcnt vmcnt(0)
	v_mul_f32_e32 v4, s6, v4
	v_fmac_f32_e32 v4, s4, v8
	global_store_dword v[2:3], v4, off
.LBB465_29:
	s_or_b32 exec_lo, exec_lo, s1
	s_and_b32 exec_lo, exec_lo, s0
	s_cbranch_execz .LBB465_19
; %bb.30:
	global_load_dword v0, v[0:1], off offset:64
	s_waitcnt vmcnt(0)
	v_mul_f32_e32 v0, s6, v0
	v_fmac_f32_e32 v0, s4, v7
	global_store_dword v[2:3], v0, off offset:64
	s_endpgm
	.section	.rodata,"a",@progbits
	.p2align	6, 0x0
	.amdhsa_kernel _ZN12_GLOBAL__N_135rocblas_gemm_batched_general_kernelIfLi16ELi16ELi32ELi32ELi8ELi32ELi8ELi8ELi32ELc78ELc84EK16rocblas_bfloat16KffEEvlllT_PT11_llS6_llS4_PT12_llPT13_lli
		.amdhsa_group_segment_fixed_size 2048
		.amdhsa_private_segment_fixed_size 0
		.amdhsa_kernarg_size 140
		.amdhsa_user_sgpr_count 6
		.amdhsa_user_sgpr_private_segment_buffer 1
		.amdhsa_user_sgpr_dispatch_ptr 0
		.amdhsa_user_sgpr_queue_ptr 0
		.amdhsa_user_sgpr_kernarg_segment_ptr 1
		.amdhsa_user_sgpr_dispatch_id 0
		.amdhsa_user_sgpr_flat_scratch_init 0
		.amdhsa_user_sgpr_private_segment_size 0
		.amdhsa_wavefront_size32 1
		.amdhsa_uses_dynamic_stack 0
		.amdhsa_system_sgpr_private_segment_wavefront_offset 0
		.amdhsa_system_sgpr_workgroup_id_x 1
		.amdhsa_system_sgpr_workgroup_id_y 1
		.amdhsa_system_sgpr_workgroup_id_z 1
		.amdhsa_system_sgpr_workgroup_info 0
		.amdhsa_system_vgpr_workitem_id 1
		.amdhsa_next_free_vgpr 44
		.amdhsa_next_free_sgpr 34
		.amdhsa_reserve_vcc 1
		.amdhsa_reserve_flat_scratch 0
		.amdhsa_float_round_mode_32 0
		.amdhsa_float_round_mode_16_64 0
		.amdhsa_float_denorm_mode_32 3
		.amdhsa_float_denorm_mode_16_64 3
		.amdhsa_dx10_clamp 1
		.amdhsa_ieee_mode 1
		.amdhsa_fp16_overflow 0
		.amdhsa_workgroup_processor_mode 1
		.amdhsa_memory_ordered 1
		.amdhsa_forward_progress 1
		.amdhsa_shared_vgpr_count 0
		.amdhsa_exception_fp_ieee_invalid_op 0
		.amdhsa_exception_fp_denorm_src 0
		.amdhsa_exception_fp_ieee_div_zero 0
		.amdhsa_exception_fp_ieee_overflow 0
		.amdhsa_exception_fp_ieee_underflow 0
		.amdhsa_exception_fp_ieee_inexact 0
		.amdhsa_exception_int_div_zero 0
	.end_amdhsa_kernel
	.section	.text._ZN12_GLOBAL__N_135rocblas_gemm_batched_general_kernelIfLi16ELi16ELi32ELi32ELi8ELi32ELi8ELi8ELi32ELc78ELc84EK16rocblas_bfloat16KffEEvlllT_PT11_llS6_llS4_PT12_llPT13_lli,"axG",@progbits,_ZN12_GLOBAL__N_135rocblas_gemm_batched_general_kernelIfLi16ELi16ELi32ELi32ELi8ELi32ELi8ELi8ELi32ELc78ELc84EK16rocblas_bfloat16KffEEvlllT_PT11_llS6_llS4_PT12_llPT13_lli,comdat
.Lfunc_end465:
	.size	_ZN12_GLOBAL__N_135rocblas_gemm_batched_general_kernelIfLi16ELi16ELi32ELi32ELi8ELi32ELi8ELi8ELi32ELc78ELc84EK16rocblas_bfloat16KffEEvlllT_PT11_llS6_llS4_PT12_llPT13_lli, .Lfunc_end465-_ZN12_GLOBAL__N_135rocblas_gemm_batched_general_kernelIfLi16ELi16ELi32ELi32ELi8ELi32ELi8ELi8ELi32ELc78ELc84EK16rocblas_bfloat16KffEEvlllT_PT11_llS6_llS4_PT12_llPT13_lli
                                        ; -- End function
	.set _ZN12_GLOBAL__N_135rocblas_gemm_batched_general_kernelIfLi16ELi16ELi32ELi32ELi8ELi32ELi8ELi8ELi32ELc78ELc84EK16rocblas_bfloat16KffEEvlllT_PT11_llS6_llS4_PT12_llPT13_lli.num_vgpr, 44
	.set _ZN12_GLOBAL__N_135rocblas_gemm_batched_general_kernelIfLi16ELi16ELi32ELi32ELi8ELi32ELi8ELi8ELi32ELc78ELc84EK16rocblas_bfloat16KffEEvlllT_PT11_llS6_llS4_PT12_llPT13_lli.num_agpr, 0
	.set _ZN12_GLOBAL__N_135rocblas_gemm_batched_general_kernelIfLi16ELi16ELi32ELi32ELi8ELi32ELi8ELi8ELi32ELc78ELc84EK16rocblas_bfloat16KffEEvlllT_PT11_llS6_llS4_PT12_llPT13_lli.numbered_sgpr, 34
	.set _ZN12_GLOBAL__N_135rocblas_gemm_batched_general_kernelIfLi16ELi16ELi32ELi32ELi8ELi32ELi8ELi8ELi32ELc78ELc84EK16rocblas_bfloat16KffEEvlllT_PT11_llS6_llS4_PT12_llPT13_lli.num_named_barrier, 0
	.set _ZN12_GLOBAL__N_135rocblas_gemm_batched_general_kernelIfLi16ELi16ELi32ELi32ELi8ELi32ELi8ELi8ELi32ELc78ELc84EK16rocblas_bfloat16KffEEvlllT_PT11_llS6_llS4_PT12_llPT13_lli.private_seg_size, 0
	.set _ZN12_GLOBAL__N_135rocblas_gemm_batched_general_kernelIfLi16ELi16ELi32ELi32ELi8ELi32ELi8ELi8ELi32ELc78ELc84EK16rocblas_bfloat16KffEEvlllT_PT11_llS6_llS4_PT12_llPT13_lli.uses_vcc, 1
	.set _ZN12_GLOBAL__N_135rocblas_gemm_batched_general_kernelIfLi16ELi16ELi32ELi32ELi8ELi32ELi8ELi8ELi32ELc78ELc84EK16rocblas_bfloat16KffEEvlllT_PT11_llS6_llS4_PT12_llPT13_lli.uses_flat_scratch, 0
	.set _ZN12_GLOBAL__N_135rocblas_gemm_batched_general_kernelIfLi16ELi16ELi32ELi32ELi8ELi32ELi8ELi8ELi32ELc78ELc84EK16rocblas_bfloat16KffEEvlllT_PT11_llS6_llS4_PT12_llPT13_lli.has_dyn_sized_stack, 0
	.set _ZN12_GLOBAL__N_135rocblas_gemm_batched_general_kernelIfLi16ELi16ELi32ELi32ELi8ELi32ELi8ELi8ELi32ELc78ELc84EK16rocblas_bfloat16KffEEvlllT_PT11_llS6_llS4_PT12_llPT13_lli.has_recursion, 0
	.set _ZN12_GLOBAL__N_135rocblas_gemm_batched_general_kernelIfLi16ELi16ELi32ELi32ELi8ELi32ELi8ELi8ELi32ELc78ELc84EK16rocblas_bfloat16KffEEvlllT_PT11_llS6_llS4_PT12_llPT13_lli.has_indirect_call, 0
	.section	.AMDGPU.csdata,"",@progbits
; Kernel info:
; codeLenInByte = 1896
; TotalNumSgprs: 36
; NumVgprs: 44
; ScratchSize: 0
; MemoryBound: 0
; FloatMode: 240
; IeeeMode: 1
; LDSByteSize: 2048 bytes/workgroup (compile time only)
; SGPRBlocks: 0
; VGPRBlocks: 5
; NumSGPRsForWavesPerEU: 36
; NumVGPRsForWavesPerEU: 44
; Occupancy: 16
; WaveLimiterHint : 0
; COMPUTE_PGM_RSRC2:SCRATCH_EN: 0
; COMPUTE_PGM_RSRC2:USER_SGPR: 6
; COMPUTE_PGM_RSRC2:TRAP_HANDLER: 0
; COMPUTE_PGM_RSRC2:TGID_X_EN: 1
; COMPUTE_PGM_RSRC2:TGID_Y_EN: 1
; COMPUTE_PGM_RSRC2:TGID_Z_EN: 1
; COMPUTE_PGM_RSRC2:TIDIG_COMP_CNT: 1
	.section	.text._ZN12_GLOBAL__N_135rocblas_gemm_batched_general_kernelIfLi16ELi16ELi32ELi32ELi8ELi32ELi8ELi8ELi32ELc84ELc84EK16rocblas_bfloat16KffEEvlllT_PT11_llS6_llS4_PT12_llPT13_lli,"axG",@progbits,_ZN12_GLOBAL__N_135rocblas_gemm_batched_general_kernelIfLi16ELi16ELi32ELi32ELi8ELi32ELi8ELi8ELi32ELc84ELc84EK16rocblas_bfloat16KffEEvlllT_PT11_llS6_llS4_PT12_llPT13_lli,comdat
	.globl	_ZN12_GLOBAL__N_135rocblas_gemm_batched_general_kernelIfLi16ELi16ELi32ELi32ELi8ELi32ELi8ELi8ELi32ELc84ELc84EK16rocblas_bfloat16KffEEvlllT_PT11_llS6_llS4_PT12_llPT13_lli ; -- Begin function _ZN12_GLOBAL__N_135rocblas_gemm_batched_general_kernelIfLi16ELi16ELi32ELi32ELi8ELi32ELi8ELi8ELi32ELc84ELc84EK16rocblas_bfloat16KffEEvlllT_PT11_llS6_llS4_PT12_llPT13_lli
	.p2align	8
	.type	_ZN12_GLOBAL__N_135rocblas_gemm_batched_general_kernelIfLi16ELi16ELi32ELi32ELi8ELi32ELi8ELi8ELi32ELc84ELc84EK16rocblas_bfloat16KffEEvlllT_PT11_llS6_llS4_PT12_llPT13_lli,@function
_ZN12_GLOBAL__N_135rocblas_gemm_batched_general_kernelIfLi16ELi16ELi32ELi32ELi8ELi32ELi8ELi8ELi32ELc84ELc84EK16rocblas_bfloat16KffEEvlllT_PT11_llS6_llS4_PT12_llPT13_lli: ; @_ZN12_GLOBAL__N_135rocblas_gemm_batched_general_kernelIfLi16ELi16ELi32ELi32ELi8ELi32ELi8ELi8ELi32ELc84ELc84EK16rocblas_bfloat16KffEEvlllT_PT11_llS6_llS4_PT12_llPT13_lli
; %bb.0:
	s_clause 0x1
	s_load_dwordx2 s[10:11], s[4:5], 0x10
	s_load_dwordx4 s[20:23], s[4:5], 0x0
	s_mov_b32 s0, s7
	v_mov_b32_e32 v10, 0
	v_mov_b32_e32 v9, 0
	;; [unrolled: 1-line block ×4, first 2 shown]
	s_ashr_i32 s7, s6, 31
	s_ashr_i32 s1, s0, 31
	s_lshl_b64 s[6:7], s[6:7], 5
	s_waitcnt lgkmcnt(0)
	v_cmp_lt_i64_e64 s2, s[10:11], 1
	s_and_b32 vcc_lo, exec_lo, s2
	s_lshl_b64 s[2:3], s[0:1], 5
	s_cbranch_vccnz .LBB466_7
; %bb.1:
	s_clause 0x1
	s_load_dwordx4 s[24:27], s[4:5], 0x40
	s_load_dwordx8 s[12:19], s[4:5], 0x20
	v_lshl_add_u32 v2, v1, 4, v0
	v_and_b32_e32 v6, 7, v0
	v_mov_b32_e32 v3, s7
	s_lshl_b64 s[28:29], s[0:1], 6
	v_mov_b32_e32 v7, 0
	v_and_b32_e32 v14, 31, v2
	v_lshrrev_b32_e32 v10, 3, v2
	v_lshrrev_b32_e32 v13, 5, v2
	v_lshlrev_b32_e32 v15, 2, v6
	v_lshlrev_b32_e32 v11, 2, v0
	v_or_b32_e32 v2, s6, v14
	v_add_co_u32 v8, s0, v10, s2
	v_add_co_ci_u32_e64 v9, null, 0, s3, s0
	v_add_co_u32 v17, s0, s6, v14
	v_add_co_ci_u32_e64 v18, null, s7, 0, s0
	s_waitcnt lgkmcnt(0)
	v_mad_u64_u32 v[4:5], null, s24, v6, 0
	v_cmp_gt_i64_e64 s0, s[20:21], v[2:3]
	v_cmp_gt_i64_e64 s1, s[22:23], v[8:9]
	v_mul_lo_u32 v8, s15, v17
	v_mul_lo_u32 v9, s14, v18
	s_mul_i32 s9, s27, s8
	s_mul_hi_u32 s27, s26, s8
	v_mad_u64_u32 v[2:3], null, s25, v6, v[5:6]
	s_mul_i32 s26, s26, s8
	s_add_i32 s27, s27, s9
	s_mul_i32 s9, s17, s8
	s_mul_hi_u32 s17, s16, s8
	v_lshlrev_b32_e32 v16, 2, v14
	v_lshl_or_b32 v15, v10, 5, v15
	v_mov_b32_e32 v5, v2
	v_mad_u64_u32 v[2:3], null, s14, v17, 0
	s_lshl_b64 s[14:15], s[26:27], 1
	v_lshl_add_u32 v12, v1, 5, 0x400
	v_lshlrev_b64 v[4:5], 1, v[4:5]
	s_add_u32 s14, s28, s14
	s_addc_u32 s15, s29, s15
	v_lshl_or_b32 v14, v13, 7, v16
	v_add3_u32 v3, v3, v9, v8
	v_lshlrev_b32_e32 v8, 1, v10
	v_add_co_u32 v4, vcc_lo, s14, v4
	v_add_co_ci_u32_e64 v5, null, s15, v5, vcc_lo
	v_lshlrev_b64 v[2:3], 1, v[2:3]
	s_add_i32 s15, s17, s9
	s_mul_i32 s14, s16, s8
	v_lshlrev_b32_e32 v9, 1, v13
	s_lshl_b64 s[14:15], s[14:15], 1
	v_add_nc_u32_e32 v15, 0x400, v15
	v_add_co_u32 v2, vcc_lo, v2, s14
	v_add_co_ci_u32_e64 v3, null, s15, v3, vcc_lo
	v_add_co_u32 v4, vcc_lo, v4, v8
	v_add_co_ci_u32_e64 v5, null, 0, v5, vcc_lo
	;; [unrolled: 2-line block ×5, first 2 shown]
	v_mov_b32_e32 v8, 0
	v_mov_b32_e32 v9, 0
	;; [unrolled: 1-line block ×3, first 2 shown]
	s_lshl_b64 s[12:13], s[24:25], 4
	s_mov_b64 s[14:15], 0
	s_branch .LBB466_3
.LBB466_2:                              ;   in Loop: Header=BB466_3 Depth=1
	s_or_b32 exec_lo, exec_lo, s9
	ds_write_b32 v15, v17
	s_waitcnt lgkmcnt(0)
	s_barrier
	buffer_gl0_inv
	ds_read_b128 v[16:19], v12
	ds_read2_b32 v[32:33], v11 offset1:16
	ds_read_b128 v[20:23], v12 offset:512
	ds_read2_b32 v[34:35], v11 offset0:32 offset1:48
	ds_read2_b32 v[36:37], v11 offset0:64 offset1:80
	;; [unrolled: 1-line block ×3, first 2 shown]
	ds_read_b128 v[24:27], v12 offset:16
	ds_read2_b32 v[40:41], v11 offset0:128 offset1:144
	ds_read_b128 v[28:31], v12 offset:528
	ds_read2_b32 v[42:43], v11 offset0:160 offset1:176
	s_add_u32 s14, s14, 8
	s_addc_u32 s15, s15, 0
	v_add_co_u32 v2, vcc_lo, v2, s12
	v_cmp_lt_i64_e64 s9, s[14:15], s[10:11]
	v_add_co_ci_u32_e64 v3, null, s13, v3, vcc_lo
	v_add_co_u32 v4, vcc_lo, v4, 16
	v_add_co_ci_u32_e64 v5, null, 0, v5, vcc_lo
	s_waitcnt lgkmcnt(8)
	v_fmac_f32_e32 v10, v32, v16
	v_fmac_f32_e32 v9, v33, v16
	s_waitcnt lgkmcnt(7)
	v_fmac_f32_e32 v8, v32, v20
	v_fmac_f32_e32 v7, v33, v20
	ds_read2_b32 v[32:33], v11 offset0:192 offset1:208
	s_waitcnt lgkmcnt(7)
	v_fmac_f32_e32 v10, v34, v17
	v_fmac_f32_e32 v9, v35, v17
	;; [unrolled: 1-line block ×4, first 2 shown]
	ds_read2_b32 v[16:17], v11 offset0:224 offset1:240
	s_waitcnt lgkmcnt(7)
	v_fmac_f32_e32 v10, v36, v18
	v_fmac_f32_e32 v9, v37, v18
	;; [unrolled: 1-line block ×4, first 2 shown]
	s_and_b32 vcc_lo, exec_lo, s9
	s_waitcnt lgkmcnt(6)
	v_fmac_f32_e32 v10, v38, v19
	v_fmac_f32_e32 v9, v39, v19
	;; [unrolled: 1-line block ×4, first 2 shown]
	s_waitcnt lgkmcnt(0)
	v_fmac_f32_e32 v10, v40, v24
	v_fmac_f32_e32 v9, v41, v24
	;; [unrolled: 1-line block ×4, first 2 shown]
	s_barrier
	v_fmac_f32_e32 v10, v42, v25
	v_fmac_f32_e32 v9, v43, v25
	;; [unrolled: 1-line block ×4, first 2 shown]
	buffer_gl0_inv
	v_fmac_f32_e32 v10, v32, v26
	v_fmac_f32_e32 v9, v33, v26
	v_fmac_f32_e32 v8, v32, v30
	v_fmac_f32_e32 v7, v33, v30
	v_fmac_f32_e32 v10, v16, v27
	v_fmac_f32_e32 v9, v17, v27
	v_fmac_f32_e32 v8, v16, v31
	v_fmac_f32_e32 v7, v17, v31
	s_cbranch_vccz .LBB466_7
.LBB466_3:                              ; =>This Inner Loop Header: Depth=1
	v_add_co_u32 v16, s9, v13, s14
	v_add_co_ci_u32_e64 v17, null, 0, s15, s9
	v_cmp_gt_i64_e32 vcc_lo, s[10:11], v[16:17]
	v_mov_b32_e32 v16, 0
	s_and_b32 s16, s0, vcc_lo
	s_and_saveexec_b32 s9, s16
	s_cbranch_execz .LBB466_5
; %bb.4:                                ;   in Loop: Header=BB466_3 Depth=1
	global_load_ushort v16, v[4:5], off
	s_waitcnt vmcnt(0)
	v_lshlrev_b32_e32 v16, 16, v16
.LBB466_5:                              ;   in Loop: Header=BB466_3 Depth=1
	s_or_b32 exec_lo, exec_lo, s9
	v_add_co_u32 v17, s9, v6, s14
	v_add_co_ci_u32_e64 v18, null, 0, s15, s9
	ds_write_b32 v14, v16
	v_cmp_gt_i64_e32 vcc_lo, s[10:11], v[17:18]
	v_mov_b32_e32 v17, 0
	s_and_b32 s16, vcc_lo, s1
	s_and_saveexec_b32 s9, s16
	s_cbranch_execz .LBB466_2
; %bb.6:                                ;   in Loop: Header=BB466_3 Depth=1
	global_load_ushort v16, v[2:3], off
	s_waitcnt vmcnt(0)
	v_lshlrev_b32_e32 v17, 16, v16
	s_branch .LBB466_2
.LBB466_7:
	s_clause 0x3
	s_load_dwordx4 s[24:27], s[4:5], 0x78
	s_load_dword s9, s[4:5], 0x50
	s_load_dwordx8 s[12:19], s[4:5], 0x58
	s_load_dword s4, s[4:5], 0x18
	v_add_co_u32 v1, s0, s2, v1
	v_add_co_ci_u32_e64 v2, null, s3, 0, s0
	s_waitcnt lgkmcnt(0)
	s_mul_i32 s1, s27, s8
	s_mul_hi_u32 s2, s26, s8
	s_mul_i32 s0, s26, s8
	s_add_i32 s1, s2, s1
	v_cmp_neq_f32_e64 s2, s9, 0
	s_lshl_b64 s[10:11], s[0:1], 2
	v_cmp_gt_i64_e64 s0, s[22:23], v[1:2]
	s_add_u32 s3, s18, s10
	s_addc_u32 s5, s19, s11
	s_and_b32 vcc_lo, exec_lo, s2
	s_cbranch_vccnz .LBB466_20
; %bb.8:
	s_and_saveexec_b32 s10, s0
	s_cbranch_execz .LBB466_18
; %bb.9:
	v_mul_lo_u32 v5, v2, s24
	v_mul_lo_u32 v6, v1, s25
	v_mad_u64_u32 v[3:4], null, v1, s24, 0
	v_add3_u32 v4, v4, v6, v5
	v_add_co_u32 v5, s1, s6, v0
	v_add_co_ci_u32_e64 v6, null, s7, 0, s1
	v_lshlrev_b64 v[11:12], 2, v[3:4]
	v_cmp_gt_i64_e32 vcc_lo, s[20:21], v[5:6]
	v_lshlrev_b64 v[3:4], 2, v[5:6]
	v_add_co_u32 v11, s1, s3, v11
	v_add_co_ci_u32_e64 v12, null, s5, v12, s1
	s_and_saveexec_b32 s2, vcc_lo
	s_cbranch_execz .LBB466_11
; %bb.10:
	v_add_co_u32 v13, s1, v11, v3
	v_add_co_ci_u32_e64 v14, null, v12, v4, s1
	v_mul_f32_e32 v15, s4, v10
	global_store_dword v[13:14], v15, off
.LBB466_11:
	s_or_b32 exec_lo, exec_lo, s2
	v_add_co_u32 v5, s1, v5, 16
	v_add_co_ci_u32_e64 v6, null, 0, v6, s1
	v_cmp_gt_i64_e64 s1, s[20:21], v[5:6]
	s_and_saveexec_b32 s11, s1
	s_cbranch_execz .LBB466_13
; %bb.12:
	v_add_co_u32 v5, s2, v11, v3
	v_add_co_ci_u32_e64 v6, null, v12, v4, s2
	v_mul_f32_e32 v13, s4, v9
	global_store_dword v[5:6], v13, off offset:64
.LBB466_13:
	s_or_b32 exec_lo, exec_lo, s11
	v_add_co_u32 v5, s2, v1, 16
	v_add_co_ci_u32_e64 v6, null, 0, v2, s2
	v_cmp_gt_i64_e64 s2, s[22:23], v[5:6]
	s_and_b32 exec_lo, exec_lo, s2
	s_cbranch_execz .LBB466_18
; %bb.14:
	s_lshl_b64 s[18:19], s[24:25], 6
	v_add_co_u32 v5, s2, v11, s18
	v_add_co_ci_u32_e64 v6, null, s19, v12, s2
	v_add_co_u32 v3, s2, v5, v3
	v_add_co_ci_u32_e64 v4, null, v6, v4, s2
	s_and_saveexec_b32 s2, vcc_lo
	s_cbranch_execz .LBB466_16
; %bb.15:
	v_mul_f32_e32 v5, s4, v8
	global_store_dword v[3:4], v5, off
.LBB466_16:
	s_or_b32 exec_lo, exec_lo, s2
	s_and_b32 exec_lo, exec_lo, s1
	s_cbranch_execz .LBB466_18
; %bb.17:
	v_mul_f32_e32 v5, s4, v7
	global_store_dword v[3:4], v5, off offset:64
.LBB466_18:
	s_or_b32 exec_lo, exec_lo, s10
	s_cbranch_execz .LBB466_21
.LBB466_19:
	s_endpgm
.LBB466_20:
.LBB466_21:
	s_and_saveexec_b32 s1, s0
	s_cbranch_execz .LBB466_19
; %bb.22:
	v_mul_lo_u32 v5, v2, s14
	v_mul_lo_u32 v6, v1, s15
	v_mad_u64_u32 v[3:4], null, v1, s14, 0
	v_mul_lo_u32 v13, v2, s24
	v_mul_lo_u32 v14, v1, s25
	v_mad_u64_u32 v[11:12], null, v1, s24, 0
	s_mul_i32 s0, s17, s8
	s_mul_hi_u32 s1, s16, s8
	v_add3_u32 v4, v4, v6, v5
	s_add_i32 s1, s1, s0
	s_mul_i32 s0, s16, s8
	v_add_co_u32 v5, s2, s6, v0
	v_add3_u32 v12, v12, v14, v13
	v_lshlrev_b64 v[3:4], 2, v[3:4]
	s_lshl_b64 s[0:1], s[0:1], 2
	v_add_co_ci_u32_e64 v6, null, s7, 0, s2
	v_lshlrev_b64 v[12:13], 2, v[11:12]
	s_add_u32 s0, s12, s0
	s_addc_u32 s1, s13, s1
	v_add_co_u32 v0, s0, s0, v3
	v_add_co_ci_u32_e64 v11, null, s1, v4, s0
	v_add_co_u32 v12, s0, s3, v12
	v_cmp_gt_i64_e32 vcc_lo, s[20:21], v[5:6]
	v_lshlrev_b64 v[3:4], 2, v[5:6]
	v_add_co_ci_u32_e64 v13, null, s5, v13, s0
	s_and_saveexec_b32 s1, vcc_lo
	s_cbranch_execz .LBB466_24
; %bb.23:
	v_add_co_u32 v14, s0, v0, v3
	v_add_co_ci_u32_e64 v15, null, v11, v4, s0
	global_load_dword v14, v[14:15], off
	s_waitcnt vmcnt(0)
	v_mul_f32_e32 v16, s9, v14
	v_add_co_u32 v14, s0, v12, v3
	v_add_co_ci_u32_e64 v15, null, v13, v4, s0
	v_fmac_f32_e32 v16, s4, v10
	global_store_dword v[14:15], v16, off
.LBB466_24:
	s_or_b32 exec_lo, exec_lo, s1
	v_add_co_u32 v5, s0, v5, 16
	v_add_co_ci_u32_e64 v6, null, 0, v6, s0
	v_cmp_gt_i64_e64 s0, s[20:21], v[5:6]
	s_and_saveexec_b32 s2, s0
	s_cbranch_execz .LBB466_26
; %bb.25:
	v_add_co_u32 v5, s1, v0, v3
	v_add_co_ci_u32_e64 v6, null, v11, v4, s1
	global_load_dword v5, v[5:6], off offset:64
	s_waitcnt vmcnt(0)
	v_mul_f32_e32 v10, s9, v5
	v_add_co_u32 v5, s1, v12, v3
	v_add_co_ci_u32_e64 v6, null, v13, v4, s1
	v_fmac_f32_e32 v10, s4, v9
	global_store_dword v[5:6], v10, off offset:64
.LBB466_26:
	s_or_b32 exec_lo, exec_lo, s2
	v_add_co_u32 v1, s1, v1, 16
	v_add_co_ci_u32_e64 v2, null, 0, v2, s1
	v_cmp_gt_i64_e64 s1, s[22:23], v[1:2]
	s_and_b32 exec_lo, exec_lo, s1
	s_cbranch_execz .LBB466_19
; %bb.27:
	s_lshl_b64 s[2:3], s[14:15], 6
	v_add_co_u32 v0, s1, v0, s2
	v_add_co_ci_u32_e64 v1, null, s3, v11, s1
	s_lshl_b64 s[2:3], s[24:25], 6
	v_add_co_u32 v2, s1, v12, s2
	v_add_co_ci_u32_e64 v5, null, s3, v13, s1
	v_add_co_u32 v0, s1, v0, v3
	v_add_co_ci_u32_e64 v1, null, v1, v4, s1
	;; [unrolled: 2-line block ×3, first 2 shown]
	s_and_saveexec_b32 s1, vcc_lo
	s_cbranch_execz .LBB466_29
; %bb.28:
	global_load_dword v4, v[0:1], off
	s_waitcnt vmcnt(0)
	v_mul_f32_e32 v4, s9, v4
	v_fmac_f32_e32 v4, s4, v8
	global_store_dword v[2:3], v4, off
.LBB466_29:
	s_or_b32 exec_lo, exec_lo, s1
	s_and_b32 exec_lo, exec_lo, s0
	s_cbranch_execz .LBB466_19
; %bb.30:
	global_load_dword v0, v[0:1], off offset:64
	s_waitcnt vmcnt(0)
	v_mul_f32_e32 v0, s9, v0
	v_fmac_f32_e32 v0, s4, v7
	global_store_dword v[2:3], v0, off offset:64
	s_endpgm
	.section	.rodata,"a",@progbits
	.p2align	6, 0x0
	.amdhsa_kernel _ZN12_GLOBAL__N_135rocblas_gemm_batched_general_kernelIfLi16ELi16ELi32ELi32ELi8ELi32ELi8ELi8ELi32ELc84ELc84EK16rocblas_bfloat16KffEEvlllT_PT11_llS6_llS4_PT12_llPT13_lli
		.amdhsa_group_segment_fixed_size 2048
		.amdhsa_private_segment_fixed_size 0
		.amdhsa_kernarg_size 140
		.amdhsa_user_sgpr_count 6
		.amdhsa_user_sgpr_private_segment_buffer 1
		.amdhsa_user_sgpr_dispatch_ptr 0
		.amdhsa_user_sgpr_queue_ptr 0
		.amdhsa_user_sgpr_kernarg_segment_ptr 1
		.amdhsa_user_sgpr_dispatch_id 0
		.amdhsa_user_sgpr_flat_scratch_init 0
		.amdhsa_user_sgpr_private_segment_size 0
		.amdhsa_wavefront_size32 1
		.amdhsa_uses_dynamic_stack 0
		.amdhsa_system_sgpr_private_segment_wavefront_offset 0
		.amdhsa_system_sgpr_workgroup_id_x 1
		.amdhsa_system_sgpr_workgroup_id_y 1
		.amdhsa_system_sgpr_workgroup_id_z 1
		.amdhsa_system_sgpr_workgroup_info 0
		.amdhsa_system_vgpr_workitem_id 1
		.amdhsa_next_free_vgpr 44
		.amdhsa_next_free_sgpr 30
		.amdhsa_reserve_vcc 1
		.amdhsa_reserve_flat_scratch 0
		.amdhsa_float_round_mode_32 0
		.amdhsa_float_round_mode_16_64 0
		.amdhsa_float_denorm_mode_32 3
		.amdhsa_float_denorm_mode_16_64 3
		.amdhsa_dx10_clamp 1
		.amdhsa_ieee_mode 1
		.amdhsa_fp16_overflow 0
		.amdhsa_workgroup_processor_mode 1
		.amdhsa_memory_ordered 1
		.amdhsa_forward_progress 1
		.amdhsa_shared_vgpr_count 0
		.amdhsa_exception_fp_ieee_invalid_op 0
		.amdhsa_exception_fp_denorm_src 0
		.amdhsa_exception_fp_ieee_div_zero 0
		.amdhsa_exception_fp_ieee_overflow 0
		.amdhsa_exception_fp_ieee_underflow 0
		.amdhsa_exception_fp_ieee_inexact 0
		.amdhsa_exception_int_div_zero 0
	.end_amdhsa_kernel
	.section	.text._ZN12_GLOBAL__N_135rocblas_gemm_batched_general_kernelIfLi16ELi16ELi32ELi32ELi8ELi32ELi8ELi8ELi32ELc84ELc84EK16rocblas_bfloat16KffEEvlllT_PT11_llS6_llS4_PT12_llPT13_lli,"axG",@progbits,_ZN12_GLOBAL__N_135rocblas_gemm_batched_general_kernelIfLi16ELi16ELi32ELi32ELi8ELi32ELi8ELi8ELi32ELc84ELc84EK16rocblas_bfloat16KffEEvlllT_PT11_llS6_llS4_PT12_llPT13_lli,comdat
.Lfunc_end466:
	.size	_ZN12_GLOBAL__N_135rocblas_gemm_batched_general_kernelIfLi16ELi16ELi32ELi32ELi8ELi32ELi8ELi8ELi32ELc84ELc84EK16rocblas_bfloat16KffEEvlllT_PT11_llS6_llS4_PT12_llPT13_lli, .Lfunc_end466-_ZN12_GLOBAL__N_135rocblas_gemm_batched_general_kernelIfLi16ELi16ELi32ELi32ELi8ELi32ELi8ELi8ELi32ELc84ELc84EK16rocblas_bfloat16KffEEvlllT_PT11_llS6_llS4_PT12_llPT13_lli
                                        ; -- End function
	.set _ZN12_GLOBAL__N_135rocblas_gemm_batched_general_kernelIfLi16ELi16ELi32ELi32ELi8ELi32ELi8ELi8ELi32ELc84ELc84EK16rocblas_bfloat16KffEEvlllT_PT11_llS6_llS4_PT12_llPT13_lli.num_vgpr, 44
	.set _ZN12_GLOBAL__N_135rocblas_gemm_batched_general_kernelIfLi16ELi16ELi32ELi32ELi8ELi32ELi8ELi8ELi32ELc84ELc84EK16rocblas_bfloat16KffEEvlllT_PT11_llS6_llS4_PT12_llPT13_lli.num_agpr, 0
	.set _ZN12_GLOBAL__N_135rocblas_gemm_batched_general_kernelIfLi16ELi16ELi32ELi32ELi8ELi32ELi8ELi8ELi32ELc84ELc84EK16rocblas_bfloat16KffEEvlllT_PT11_llS6_llS4_PT12_llPT13_lli.numbered_sgpr, 30
	.set _ZN12_GLOBAL__N_135rocblas_gemm_batched_general_kernelIfLi16ELi16ELi32ELi32ELi8ELi32ELi8ELi8ELi32ELc84ELc84EK16rocblas_bfloat16KffEEvlllT_PT11_llS6_llS4_PT12_llPT13_lli.num_named_barrier, 0
	.set _ZN12_GLOBAL__N_135rocblas_gemm_batched_general_kernelIfLi16ELi16ELi32ELi32ELi8ELi32ELi8ELi8ELi32ELc84ELc84EK16rocblas_bfloat16KffEEvlllT_PT11_llS6_llS4_PT12_llPT13_lli.private_seg_size, 0
	.set _ZN12_GLOBAL__N_135rocblas_gemm_batched_general_kernelIfLi16ELi16ELi32ELi32ELi8ELi32ELi8ELi8ELi32ELc84ELc84EK16rocblas_bfloat16KffEEvlllT_PT11_llS6_llS4_PT12_llPT13_lli.uses_vcc, 1
	.set _ZN12_GLOBAL__N_135rocblas_gemm_batched_general_kernelIfLi16ELi16ELi32ELi32ELi8ELi32ELi8ELi8ELi32ELc84ELc84EK16rocblas_bfloat16KffEEvlllT_PT11_llS6_llS4_PT12_llPT13_lli.uses_flat_scratch, 0
	.set _ZN12_GLOBAL__N_135rocblas_gemm_batched_general_kernelIfLi16ELi16ELi32ELi32ELi8ELi32ELi8ELi8ELi32ELc84ELc84EK16rocblas_bfloat16KffEEvlllT_PT11_llS6_llS4_PT12_llPT13_lli.has_dyn_sized_stack, 0
	.set _ZN12_GLOBAL__N_135rocblas_gemm_batched_general_kernelIfLi16ELi16ELi32ELi32ELi8ELi32ELi8ELi8ELi32ELc84ELc84EK16rocblas_bfloat16KffEEvlllT_PT11_llS6_llS4_PT12_llPT13_lli.has_recursion, 0
	.set _ZN12_GLOBAL__N_135rocblas_gemm_batched_general_kernelIfLi16ELi16ELi32ELi32ELi8ELi32ELi8ELi8ELi32ELc84ELc84EK16rocblas_bfloat16KffEEvlllT_PT11_llS6_llS4_PT12_llPT13_lli.has_indirect_call, 0
	.section	.AMDGPU.csdata,"",@progbits
; Kernel info:
; codeLenInByte = 1900
; TotalNumSgprs: 32
; NumVgprs: 44
; ScratchSize: 0
; MemoryBound: 0
; FloatMode: 240
; IeeeMode: 1
; LDSByteSize: 2048 bytes/workgroup (compile time only)
; SGPRBlocks: 0
; VGPRBlocks: 5
; NumSGPRsForWavesPerEU: 32
; NumVGPRsForWavesPerEU: 44
; Occupancy: 16
; WaveLimiterHint : 0
; COMPUTE_PGM_RSRC2:SCRATCH_EN: 0
; COMPUTE_PGM_RSRC2:USER_SGPR: 6
; COMPUTE_PGM_RSRC2:TRAP_HANDLER: 0
; COMPUTE_PGM_RSRC2:TGID_X_EN: 1
; COMPUTE_PGM_RSRC2:TGID_Y_EN: 1
; COMPUTE_PGM_RSRC2:TGID_Z_EN: 1
; COMPUTE_PGM_RSRC2:TIDIG_COMP_CNT: 1
	.section	.text._ZN12_GLOBAL__N_135rocblas_gemm_batched_general_kernelIfLi16ELi16ELi32ELi32ELi8ELi32ELi8ELi8ELi32ELc67ELc67EK16rocblas_bfloat16KffEEvlllT_PT11_llS6_llS4_PT12_llPT13_lli,"axG",@progbits,_ZN12_GLOBAL__N_135rocblas_gemm_batched_general_kernelIfLi16ELi16ELi32ELi32ELi8ELi32ELi8ELi8ELi32ELc67ELc67EK16rocblas_bfloat16KffEEvlllT_PT11_llS6_llS4_PT12_llPT13_lli,comdat
	.globl	_ZN12_GLOBAL__N_135rocblas_gemm_batched_general_kernelIfLi16ELi16ELi32ELi32ELi8ELi32ELi8ELi8ELi32ELc67ELc67EK16rocblas_bfloat16KffEEvlllT_PT11_llS6_llS4_PT12_llPT13_lli ; -- Begin function _ZN12_GLOBAL__N_135rocblas_gemm_batched_general_kernelIfLi16ELi16ELi32ELi32ELi8ELi32ELi8ELi8ELi32ELc67ELc67EK16rocblas_bfloat16KffEEvlllT_PT11_llS6_llS4_PT12_llPT13_lli
	.p2align	8
	.type	_ZN12_GLOBAL__N_135rocblas_gemm_batched_general_kernelIfLi16ELi16ELi32ELi32ELi8ELi32ELi8ELi8ELi32ELc67ELc67EK16rocblas_bfloat16KffEEvlllT_PT11_llS6_llS4_PT12_llPT13_lli,@function
_ZN12_GLOBAL__N_135rocblas_gemm_batched_general_kernelIfLi16ELi16ELi32ELi32ELi8ELi32ELi8ELi8ELi32ELc67ELc67EK16rocblas_bfloat16KffEEvlllT_PT11_llS6_llS4_PT12_llPT13_lli: ; @_ZN12_GLOBAL__N_135rocblas_gemm_batched_general_kernelIfLi16ELi16ELi32ELi32ELi8ELi32ELi8ELi8ELi32ELc67ELc67EK16rocblas_bfloat16KffEEvlllT_PT11_llS6_llS4_PT12_llPT13_lli
; %bb.0:
	s_clause 0x1
	s_load_dwordx2 s[10:11], s[4:5], 0x10
	s_load_dwordx4 s[20:23], s[4:5], 0x0
	s_mov_b32 s0, s7
	v_mov_b32_e32 v10, 0
	v_mov_b32_e32 v9, 0
	;; [unrolled: 1-line block ×4, first 2 shown]
	s_ashr_i32 s7, s6, 31
	s_ashr_i32 s1, s0, 31
	s_lshl_b64 s[6:7], s[6:7], 5
	s_waitcnt lgkmcnt(0)
	v_cmp_lt_i64_e64 s2, s[10:11], 1
	s_and_b32 vcc_lo, exec_lo, s2
	s_lshl_b64 s[2:3], s[0:1], 5
	s_cbranch_vccnz .LBB467_7
; %bb.1:
	s_clause 0x1
	s_load_dwordx4 s[24:27], s[4:5], 0x40
	s_load_dwordx8 s[12:19], s[4:5], 0x20
	v_lshl_add_u32 v2, v1, 4, v0
	v_and_b32_e32 v6, 7, v0
	v_mov_b32_e32 v3, s7
	s_lshl_b64 s[28:29], s[0:1], 6
	v_mov_b32_e32 v7, 0
	v_and_b32_e32 v14, 31, v2
	v_lshrrev_b32_e32 v10, 3, v2
	v_lshrrev_b32_e32 v13, 5, v2
	v_lshlrev_b32_e32 v15, 2, v6
	v_lshlrev_b32_e32 v11, 2, v0
	v_or_b32_e32 v2, s6, v14
	v_add_co_u32 v8, s0, v10, s2
	v_add_co_ci_u32_e64 v9, null, 0, s3, s0
	v_add_co_u32 v17, s0, s6, v14
	v_add_co_ci_u32_e64 v18, null, s7, 0, s0
	s_waitcnt lgkmcnt(0)
	v_mad_u64_u32 v[4:5], null, s24, v6, 0
	v_cmp_gt_i64_e64 s0, s[20:21], v[2:3]
	v_cmp_gt_i64_e64 s1, s[22:23], v[8:9]
	v_mul_lo_u32 v8, s15, v17
	v_mul_lo_u32 v9, s14, v18
	s_mul_i32 s9, s27, s8
	s_mul_hi_u32 s27, s26, s8
	v_mad_u64_u32 v[2:3], null, s25, v6, v[5:6]
	s_mul_i32 s26, s26, s8
	s_add_i32 s27, s27, s9
	s_mul_i32 s9, s17, s8
	s_mul_hi_u32 s17, s16, s8
	v_lshlrev_b32_e32 v16, 2, v14
	v_lshl_or_b32 v15, v10, 5, v15
	v_mov_b32_e32 v5, v2
	v_mad_u64_u32 v[2:3], null, s14, v17, 0
	s_lshl_b64 s[14:15], s[26:27], 1
	v_lshl_add_u32 v12, v1, 5, 0x400
	v_lshlrev_b64 v[4:5], 1, v[4:5]
	s_add_u32 s14, s28, s14
	s_addc_u32 s15, s29, s15
	v_lshl_or_b32 v14, v13, 7, v16
	v_add3_u32 v3, v3, v9, v8
	v_lshlrev_b32_e32 v8, 1, v10
	v_add_co_u32 v4, vcc_lo, s14, v4
	v_add_co_ci_u32_e64 v5, null, s15, v5, vcc_lo
	v_lshlrev_b64 v[2:3], 1, v[2:3]
	s_add_i32 s15, s17, s9
	s_mul_i32 s14, s16, s8
	v_lshlrev_b32_e32 v9, 1, v13
	s_lshl_b64 s[14:15], s[14:15], 1
	v_add_nc_u32_e32 v15, 0x400, v15
	v_add_co_u32 v2, vcc_lo, v2, s14
	v_add_co_ci_u32_e64 v3, null, s15, v3, vcc_lo
	v_add_co_u32 v4, vcc_lo, v4, v8
	v_add_co_ci_u32_e64 v5, null, 0, v5, vcc_lo
	;; [unrolled: 2-line block ×5, first 2 shown]
	v_mov_b32_e32 v8, 0
	v_mov_b32_e32 v9, 0
	;; [unrolled: 1-line block ×3, first 2 shown]
	s_lshl_b64 s[12:13], s[24:25], 4
	s_mov_b64 s[14:15], 0
	s_branch .LBB467_3
.LBB467_2:                              ;   in Loop: Header=BB467_3 Depth=1
	s_or_b32 exec_lo, exec_lo, s9
	ds_write_b32 v15, v17
	s_waitcnt lgkmcnt(0)
	s_barrier
	buffer_gl0_inv
	ds_read_b128 v[16:19], v12
	ds_read2_b32 v[32:33], v11 offset1:16
	ds_read_b128 v[20:23], v12 offset:512
	ds_read2_b32 v[34:35], v11 offset0:32 offset1:48
	ds_read2_b32 v[36:37], v11 offset0:64 offset1:80
	;; [unrolled: 1-line block ×3, first 2 shown]
	ds_read_b128 v[24:27], v12 offset:16
	ds_read2_b32 v[40:41], v11 offset0:128 offset1:144
	ds_read_b128 v[28:31], v12 offset:528
	ds_read2_b32 v[42:43], v11 offset0:160 offset1:176
	s_add_u32 s14, s14, 8
	s_addc_u32 s15, s15, 0
	v_add_co_u32 v2, vcc_lo, v2, s12
	v_cmp_lt_i64_e64 s9, s[14:15], s[10:11]
	v_add_co_ci_u32_e64 v3, null, s13, v3, vcc_lo
	v_add_co_u32 v4, vcc_lo, v4, 16
	v_add_co_ci_u32_e64 v5, null, 0, v5, vcc_lo
	s_waitcnt lgkmcnt(8)
	v_fmac_f32_e32 v10, v32, v16
	v_fmac_f32_e32 v9, v33, v16
	s_waitcnt lgkmcnt(7)
	v_fmac_f32_e32 v8, v32, v20
	v_fmac_f32_e32 v7, v33, v20
	ds_read2_b32 v[32:33], v11 offset0:192 offset1:208
	s_waitcnt lgkmcnt(7)
	v_fmac_f32_e32 v10, v34, v17
	v_fmac_f32_e32 v9, v35, v17
	;; [unrolled: 1-line block ×4, first 2 shown]
	ds_read2_b32 v[16:17], v11 offset0:224 offset1:240
	s_waitcnt lgkmcnt(7)
	v_fmac_f32_e32 v10, v36, v18
	v_fmac_f32_e32 v9, v37, v18
	;; [unrolled: 1-line block ×4, first 2 shown]
	s_and_b32 vcc_lo, exec_lo, s9
	s_waitcnt lgkmcnt(6)
	v_fmac_f32_e32 v10, v38, v19
	v_fmac_f32_e32 v9, v39, v19
	;; [unrolled: 1-line block ×4, first 2 shown]
	s_waitcnt lgkmcnt(0)
	v_fmac_f32_e32 v10, v40, v24
	v_fmac_f32_e32 v9, v41, v24
	;; [unrolled: 1-line block ×4, first 2 shown]
	s_barrier
	v_fmac_f32_e32 v10, v42, v25
	v_fmac_f32_e32 v9, v43, v25
	;; [unrolled: 1-line block ×4, first 2 shown]
	buffer_gl0_inv
	v_fmac_f32_e32 v10, v32, v26
	v_fmac_f32_e32 v9, v33, v26
	;; [unrolled: 1-line block ×8, first 2 shown]
	s_cbranch_vccz .LBB467_7
.LBB467_3:                              ; =>This Inner Loop Header: Depth=1
	v_add_co_u32 v16, s9, v13, s14
	v_add_co_ci_u32_e64 v17, null, 0, s15, s9
	v_cmp_gt_i64_e32 vcc_lo, s[10:11], v[16:17]
	v_mov_b32_e32 v16, 0
	s_and_b32 s16, s0, vcc_lo
	s_and_saveexec_b32 s9, s16
	s_cbranch_execz .LBB467_5
; %bb.4:                                ;   in Loop: Header=BB467_3 Depth=1
	global_load_ushort v16, v[4:5], off
	s_waitcnt vmcnt(0)
	v_lshlrev_b32_e32 v16, 16, v16
.LBB467_5:                              ;   in Loop: Header=BB467_3 Depth=1
	s_or_b32 exec_lo, exec_lo, s9
	v_add_co_u32 v17, s9, v6, s14
	v_add_co_ci_u32_e64 v18, null, 0, s15, s9
	ds_write_b32 v14, v16
	v_cmp_gt_i64_e32 vcc_lo, s[10:11], v[17:18]
	v_mov_b32_e32 v17, 0
	s_and_b32 s16, vcc_lo, s1
	s_and_saveexec_b32 s9, s16
	s_cbranch_execz .LBB467_2
; %bb.6:                                ;   in Loop: Header=BB467_3 Depth=1
	global_load_ushort v16, v[2:3], off
	s_waitcnt vmcnt(0)
	v_lshlrev_b32_e32 v17, 16, v16
	s_branch .LBB467_2
.LBB467_7:
	s_clause 0x3
	s_load_dwordx4 s[24:27], s[4:5], 0x78
	s_load_dword s9, s[4:5], 0x50
	s_load_dwordx8 s[12:19], s[4:5], 0x58
	s_load_dword s4, s[4:5], 0x18
	v_add_co_u32 v1, s0, s2, v1
	v_add_co_ci_u32_e64 v2, null, s3, 0, s0
	s_waitcnt lgkmcnt(0)
	s_mul_i32 s1, s27, s8
	s_mul_hi_u32 s2, s26, s8
	s_mul_i32 s0, s26, s8
	s_add_i32 s1, s2, s1
	v_cmp_neq_f32_e64 s2, s9, 0
	s_lshl_b64 s[10:11], s[0:1], 2
	v_cmp_gt_i64_e64 s0, s[22:23], v[1:2]
	s_add_u32 s3, s18, s10
	s_addc_u32 s5, s19, s11
	s_and_b32 vcc_lo, exec_lo, s2
	s_cbranch_vccnz .LBB467_20
; %bb.8:
	s_and_saveexec_b32 s10, s0
	s_cbranch_execz .LBB467_18
; %bb.9:
	v_mul_lo_u32 v5, v2, s24
	v_mul_lo_u32 v6, v1, s25
	v_mad_u64_u32 v[3:4], null, v1, s24, 0
	v_add3_u32 v4, v4, v6, v5
	v_add_co_u32 v5, s1, s6, v0
	v_add_co_ci_u32_e64 v6, null, s7, 0, s1
	v_lshlrev_b64 v[11:12], 2, v[3:4]
	v_cmp_gt_i64_e32 vcc_lo, s[20:21], v[5:6]
	v_lshlrev_b64 v[3:4], 2, v[5:6]
	v_add_co_u32 v11, s1, s3, v11
	v_add_co_ci_u32_e64 v12, null, s5, v12, s1
	s_and_saveexec_b32 s2, vcc_lo
	s_cbranch_execz .LBB467_11
; %bb.10:
	v_add_co_u32 v13, s1, v11, v3
	v_add_co_ci_u32_e64 v14, null, v12, v4, s1
	v_mul_f32_e32 v15, s4, v10
	global_store_dword v[13:14], v15, off
.LBB467_11:
	s_or_b32 exec_lo, exec_lo, s2
	v_add_co_u32 v5, s1, v5, 16
	v_add_co_ci_u32_e64 v6, null, 0, v6, s1
	v_cmp_gt_i64_e64 s1, s[20:21], v[5:6]
	s_and_saveexec_b32 s11, s1
	s_cbranch_execz .LBB467_13
; %bb.12:
	v_add_co_u32 v5, s2, v11, v3
	v_add_co_ci_u32_e64 v6, null, v12, v4, s2
	v_mul_f32_e32 v13, s4, v9
	global_store_dword v[5:6], v13, off offset:64
.LBB467_13:
	s_or_b32 exec_lo, exec_lo, s11
	v_add_co_u32 v5, s2, v1, 16
	v_add_co_ci_u32_e64 v6, null, 0, v2, s2
	v_cmp_gt_i64_e64 s2, s[22:23], v[5:6]
	s_and_b32 exec_lo, exec_lo, s2
	s_cbranch_execz .LBB467_18
; %bb.14:
	s_lshl_b64 s[18:19], s[24:25], 6
	v_add_co_u32 v5, s2, v11, s18
	v_add_co_ci_u32_e64 v6, null, s19, v12, s2
	v_add_co_u32 v3, s2, v5, v3
	v_add_co_ci_u32_e64 v4, null, v6, v4, s2
	s_and_saveexec_b32 s2, vcc_lo
	s_cbranch_execz .LBB467_16
; %bb.15:
	v_mul_f32_e32 v5, s4, v8
	global_store_dword v[3:4], v5, off
.LBB467_16:
	s_or_b32 exec_lo, exec_lo, s2
	s_and_b32 exec_lo, exec_lo, s1
	s_cbranch_execz .LBB467_18
; %bb.17:
	v_mul_f32_e32 v5, s4, v7
	global_store_dword v[3:4], v5, off offset:64
.LBB467_18:
	s_or_b32 exec_lo, exec_lo, s10
	s_cbranch_execz .LBB467_21
.LBB467_19:
	s_endpgm
.LBB467_20:
.LBB467_21:
	s_and_saveexec_b32 s1, s0
	s_cbranch_execz .LBB467_19
; %bb.22:
	v_mul_lo_u32 v5, v2, s14
	v_mul_lo_u32 v6, v1, s15
	v_mad_u64_u32 v[3:4], null, v1, s14, 0
	v_mul_lo_u32 v13, v2, s24
	v_mul_lo_u32 v14, v1, s25
	v_mad_u64_u32 v[11:12], null, v1, s24, 0
	s_mul_i32 s0, s17, s8
	s_mul_hi_u32 s1, s16, s8
	v_add3_u32 v4, v4, v6, v5
	s_add_i32 s1, s1, s0
	s_mul_i32 s0, s16, s8
	v_add_co_u32 v5, s2, s6, v0
	v_add3_u32 v12, v12, v14, v13
	v_lshlrev_b64 v[3:4], 2, v[3:4]
	s_lshl_b64 s[0:1], s[0:1], 2
	v_add_co_ci_u32_e64 v6, null, s7, 0, s2
	v_lshlrev_b64 v[12:13], 2, v[11:12]
	s_add_u32 s0, s12, s0
	s_addc_u32 s1, s13, s1
	v_add_co_u32 v0, s0, s0, v3
	v_add_co_ci_u32_e64 v11, null, s1, v4, s0
	v_add_co_u32 v12, s0, s3, v12
	v_cmp_gt_i64_e32 vcc_lo, s[20:21], v[5:6]
	v_lshlrev_b64 v[3:4], 2, v[5:6]
	v_add_co_ci_u32_e64 v13, null, s5, v13, s0
	s_and_saveexec_b32 s1, vcc_lo
	s_cbranch_execz .LBB467_24
; %bb.23:
	v_add_co_u32 v14, s0, v0, v3
	v_add_co_ci_u32_e64 v15, null, v11, v4, s0
	global_load_dword v14, v[14:15], off
	s_waitcnt vmcnt(0)
	v_mul_f32_e32 v16, s9, v14
	v_add_co_u32 v14, s0, v12, v3
	v_add_co_ci_u32_e64 v15, null, v13, v4, s0
	v_fmac_f32_e32 v16, s4, v10
	global_store_dword v[14:15], v16, off
.LBB467_24:
	s_or_b32 exec_lo, exec_lo, s1
	v_add_co_u32 v5, s0, v5, 16
	v_add_co_ci_u32_e64 v6, null, 0, v6, s0
	v_cmp_gt_i64_e64 s0, s[20:21], v[5:6]
	s_and_saveexec_b32 s2, s0
	s_cbranch_execz .LBB467_26
; %bb.25:
	v_add_co_u32 v5, s1, v0, v3
	v_add_co_ci_u32_e64 v6, null, v11, v4, s1
	global_load_dword v5, v[5:6], off offset:64
	s_waitcnt vmcnt(0)
	v_mul_f32_e32 v10, s9, v5
	v_add_co_u32 v5, s1, v12, v3
	v_add_co_ci_u32_e64 v6, null, v13, v4, s1
	v_fmac_f32_e32 v10, s4, v9
	global_store_dword v[5:6], v10, off offset:64
.LBB467_26:
	s_or_b32 exec_lo, exec_lo, s2
	v_add_co_u32 v1, s1, v1, 16
	v_add_co_ci_u32_e64 v2, null, 0, v2, s1
	v_cmp_gt_i64_e64 s1, s[22:23], v[1:2]
	s_and_b32 exec_lo, exec_lo, s1
	s_cbranch_execz .LBB467_19
; %bb.27:
	s_lshl_b64 s[2:3], s[14:15], 6
	v_add_co_u32 v0, s1, v0, s2
	v_add_co_ci_u32_e64 v1, null, s3, v11, s1
	s_lshl_b64 s[2:3], s[24:25], 6
	v_add_co_u32 v2, s1, v12, s2
	v_add_co_ci_u32_e64 v5, null, s3, v13, s1
	v_add_co_u32 v0, s1, v0, v3
	v_add_co_ci_u32_e64 v1, null, v1, v4, s1
	v_add_co_u32 v2, s1, v2, v3
	v_add_co_ci_u32_e64 v3, null, v5, v4, s1
	s_and_saveexec_b32 s1, vcc_lo
	s_cbranch_execz .LBB467_29
; %bb.28:
	global_load_dword v4, v[0:1], off
	s_waitcnt vmcnt(0)
	v_mul_f32_e32 v4, s9, v4
	v_fmac_f32_e32 v4, s4, v8
	global_store_dword v[2:3], v4, off
.LBB467_29:
	s_or_b32 exec_lo, exec_lo, s1
	s_and_b32 exec_lo, exec_lo, s0
	s_cbranch_execz .LBB467_19
; %bb.30:
	global_load_dword v0, v[0:1], off offset:64
	s_waitcnt vmcnt(0)
	v_mul_f32_e32 v0, s9, v0
	v_fmac_f32_e32 v0, s4, v7
	global_store_dword v[2:3], v0, off offset:64
	s_endpgm
	.section	.rodata,"a",@progbits
	.p2align	6, 0x0
	.amdhsa_kernel _ZN12_GLOBAL__N_135rocblas_gemm_batched_general_kernelIfLi16ELi16ELi32ELi32ELi8ELi32ELi8ELi8ELi32ELc67ELc67EK16rocblas_bfloat16KffEEvlllT_PT11_llS6_llS4_PT12_llPT13_lli
		.amdhsa_group_segment_fixed_size 2048
		.amdhsa_private_segment_fixed_size 0
		.amdhsa_kernarg_size 140
		.amdhsa_user_sgpr_count 6
		.amdhsa_user_sgpr_private_segment_buffer 1
		.amdhsa_user_sgpr_dispatch_ptr 0
		.amdhsa_user_sgpr_queue_ptr 0
		.amdhsa_user_sgpr_kernarg_segment_ptr 1
		.amdhsa_user_sgpr_dispatch_id 0
		.amdhsa_user_sgpr_flat_scratch_init 0
		.amdhsa_user_sgpr_private_segment_size 0
		.amdhsa_wavefront_size32 1
		.amdhsa_uses_dynamic_stack 0
		.amdhsa_system_sgpr_private_segment_wavefront_offset 0
		.amdhsa_system_sgpr_workgroup_id_x 1
		.amdhsa_system_sgpr_workgroup_id_y 1
		.amdhsa_system_sgpr_workgroup_id_z 1
		.amdhsa_system_sgpr_workgroup_info 0
		.amdhsa_system_vgpr_workitem_id 1
		.amdhsa_next_free_vgpr 44
		.amdhsa_next_free_sgpr 30
		.amdhsa_reserve_vcc 1
		.amdhsa_reserve_flat_scratch 0
		.amdhsa_float_round_mode_32 0
		.amdhsa_float_round_mode_16_64 0
		.amdhsa_float_denorm_mode_32 3
		.amdhsa_float_denorm_mode_16_64 3
		.amdhsa_dx10_clamp 1
		.amdhsa_ieee_mode 1
		.amdhsa_fp16_overflow 0
		.amdhsa_workgroup_processor_mode 1
		.amdhsa_memory_ordered 1
		.amdhsa_forward_progress 1
		.amdhsa_shared_vgpr_count 0
		.amdhsa_exception_fp_ieee_invalid_op 0
		.amdhsa_exception_fp_denorm_src 0
		.amdhsa_exception_fp_ieee_div_zero 0
		.amdhsa_exception_fp_ieee_overflow 0
		.amdhsa_exception_fp_ieee_underflow 0
		.amdhsa_exception_fp_ieee_inexact 0
		.amdhsa_exception_int_div_zero 0
	.end_amdhsa_kernel
	.section	.text._ZN12_GLOBAL__N_135rocblas_gemm_batched_general_kernelIfLi16ELi16ELi32ELi32ELi8ELi32ELi8ELi8ELi32ELc67ELc67EK16rocblas_bfloat16KffEEvlllT_PT11_llS6_llS4_PT12_llPT13_lli,"axG",@progbits,_ZN12_GLOBAL__N_135rocblas_gemm_batched_general_kernelIfLi16ELi16ELi32ELi32ELi8ELi32ELi8ELi8ELi32ELc67ELc67EK16rocblas_bfloat16KffEEvlllT_PT11_llS6_llS4_PT12_llPT13_lli,comdat
.Lfunc_end467:
	.size	_ZN12_GLOBAL__N_135rocblas_gemm_batched_general_kernelIfLi16ELi16ELi32ELi32ELi8ELi32ELi8ELi8ELi32ELc67ELc67EK16rocblas_bfloat16KffEEvlllT_PT11_llS6_llS4_PT12_llPT13_lli, .Lfunc_end467-_ZN12_GLOBAL__N_135rocblas_gemm_batched_general_kernelIfLi16ELi16ELi32ELi32ELi8ELi32ELi8ELi8ELi32ELc67ELc67EK16rocblas_bfloat16KffEEvlllT_PT11_llS6_llS4_PT12_llPT13_lli
                                        ; -- End function
	.set _ZN12_GLOBAL__N_135rocblas_gemm_batched_general_kernelIfLi16ELi16ELi32ELi32ELi8ELi32ELi8ELi8ELi32ELc67ELc67EK16rocblas_bfloat16KffEEvlllT_PT11_llS6_llS4_PT12_llPT13_lli.num_vgpr, 44
	.set _ZN12_GLOBAL__N_135rocblas_gemm_batched_general_kernelIfLi16ELi16ELi32ELi32ELi8ELi32ELi8ELi8ELi32ELc67ELc67EK16rocblas_bfloat16KffEEvlllT_PT11_llS6_llS4_PT12_llPT13_lli.num_agpr, 0
	.set _ZN12_GLOBAL__N_135rocblas_gemm_batched_general_kernelIfLi16ELi16ELi32ELi32ELi8ELi32ELi8ELi8ELi32ELc67ELc67EK16rocblas_bfloat16KffEEvlllT_PT11_llS6_llS4_PT12_llPT13_lli.numbered_sgpr, 30
	.set _ZN12_GLOBAL__N_135rocblas_gemm_batched_general_kernelIfLi16ELi16ELi32ELi32ELi8ELi32ELi8ELi8ELi32ELc67ELc67EK16rocblas_bfloat16KffEEvlllT_PT11_llS6_llS4_PT12_llPT13_lli.num_named_barrier, 0
	.set _ZN12_GLOBAL__N_135rocblas_gemm_batched_general_kernelIfLi16ELi16ELi32ELi32ELi8ELi32ELi8ELi8ELi32ELc67ELc67EK16rocblas_bfloat16KffEEvlllT_PT11_llS6_llS4_PT12_llPT13_lli.private_seg_size, 0
	.set _ZN12_GLOBAL__N_135rocblas_gemm_batched_general_kernelIfLi16ELi16ELi32ELi32ELi8ELi32ELi8ELi8ELi32ELc67ELc67EK16rocblas_bfloat16KffEEvlllT_PT11_llS6_llS4_PT12_llPT13_lli.uses_vcc, 1
	.set _ZN12_GLOBAL__N_135rocblas_gemm_batched_general_kernelIfLi16ELi16ELi32ELi32ELi8ELi32ELi8ELi8ELi32ELc67ELc67EK16rocblas_bfloat16KffEEvlllT_PT11_llS6_llS4_PT12_llPT13_lli.uses_flat_scratch, 0
	.set _ZN12_GLOBAL__N_135rocblas_gemm_batched_general_kernelIfLi16ELi16ELi32ELi32ELi8ELi32ELi8ELi8ELi32ELc67ELc67EK16rocblas_bfloat16KffEEvlllT_PT11_llS6_llS4_PT12_llPT13_lli.has_dyn_sized_stack, 0
	.set _ZN12_GLOBAL__N_135rocblas_gemm_batched_general_kernelIfLi16ELi16ELi32ELi32ELi8ELi32ELi8ELi8ELi32ELc67ELc67EK16rocblas_bfloat16KffEEvlllT_PT11_llS6_llS4_PT12_llPT13_lli.has_recursion, 0
	.set _ZN12_GLOBAL__N_135rocblas_gemm_batched_general_kernelIfLi16ELi16ELi32ELi32ELi8ELi32ELi8ELi8ELi32ELc67ELc67EK16rocblas_bfloat16KffEEvlllT_PT11_llS6_llS4_PT12_llPT13_lli.has_indirect_call, 0
	.section	.AMDGPU.csdata,"",@progbits
; Kernel info:
; codeLenInByte = 1900
; TotalNumSgprs: 32
; NumVgprs: 44
; ScratchSize: 0
; MemoryBound: 0
; FloatMode: 240
; IeeeMode: 1
; LDSByteSize: 2048 bytes/workgroup (compile time only)
; SGPRBlocks: 0
; VGPRBlocks: 5
; NumSGPRsForWavesPerEU: 32
; NumVGPRsForWavesPerEU: 44
; Occupancy: 16
; WaveLimiterHint : 0
; COMPUTE_PGM_RSRC2:SCRATCH_EN: 0
; COMPUTE_PGM_RSRC2:USER_SGPR: 6
; COMPUTE_PGM_RSRC2:TRAP_HANDLER: 0
; COMPUTE_PGM_RSRC2:TGID_X_EN: 1
; COMPUTE_PGM_RSRC2:TGID_Y_EN: 1
; COMPUTE_PGM_RSRC2:TGID_Z_EN: 1
; COMPUTE_PGM_RSRC2:TIDIG_COMP_CNT: 1
	.section	.text._ZN12_GLOBAL__N_135rocblas_gemm_batched_general_kernelIfLi16ELi16ELi32ELi32ELi8ELi32ELi8ELi8ELi32ELc67ELc78EK16rocblas_bfloat16KffEEvlllT_PT11_llS6_llS4_PT12_llPT13_lli,"axG",@progbits,_ZN12_GLOBAL__N_135rocblas_gemm_batched_general_kernelIfLi16ELi16ELi32ELi32ELi8ELi32ELi8ELi8ELi32ELc67ELc78EK16rocblas_bfloat16KffEEvlllT_PT11_llS6_llS4_PT12_llPT13_lli,comdat
	.globl	_ZN12_GLOBAL__N_135rocblas_gemm_batched_general_kernelIfLi16ELi16ELi32ELi32ELi8ELi32ELi8ELi8ELi32ELc67ELc78EK16rocblas_bfloat16KffEEvlllT_PT11_llS6_llS4_PT12_llPT13_lli ; -- Begin function _ZN12_GLOBAL__N_135rocblas_gemm_batched_general_kernelIfLi16ELi16ELi32ELi32ELi8ELi32ELi8ELi8ELi32ELc67ELc78EK16rocblas_bfloat16KffEEvlllT_PT11_llS6_llS4_PT12_llPT13_lli
	.p2align	8
	.type	_ZN12_GLOBAL__N_135rocblas_gemm_batched_general_kernelIfLi16ELi16ELi32ELi32ELi8ELi32ELi8ELi8ELi32ELc67ELc78EK16rocblas_bfloat16KffEEvlllT_PT11_llS6_llS4_PT12_llPT13_lli,@function
_ZN12_GLOBAL__N_135rocblas_gemm_batched_general_kernelIfLi16ELi16ELi32ELi32ELi8ELi32ELi8ELi8ELi32ELc67ELc78EK16rocblas_bfloat16KffEEvlllT_PT11_llS6_llS4_PT12_llPT13_lli: ; @_ZN12_GLOBAL__N_135rocblas_gemm_batched_general_kernelIfLi16ELi16ELi32ELi32ELi8ELi32ELi8ELi8ELi32ELc67ELc78EK16rocblas_bfloat16KffEEvlllT_PT11_llS6_llS4_PT12_llPT13_lli
; %bb.0:
	s_clause 0x1
	s_load_dwordx2 s[10:11], s[4:5], 0x10
	s_load_dwordx4 s[20:23], s[4:5], 0x0
	s_mov_b32 s0, s7
	v_mov_b32_e32 v10, 0
	v_mov_b32_e32 v9, 0
	;; [unrolled: 1-line block ×4, first 2 shown]
	s_ashr_i32 s7, s6, 31
	s_ashr_i32 s1, s0, 31
	s_lshl_b64 s[6:7], s[6:7], 5
	s_waitcnt lgkmcnt(0)
	v_cmp_lt_i64_e64 s2, s[10:11], 1
	s_and_b32 vcc_lo, exec_lo, s2
	s_lshl_b64 s[2:3], s[0:1], 5
	s_cbranch_vccnz .LBB468_7
; %bb.1:
	s_clause 0x1
	s_load_dwordx4 s[24:27], s[4:5], 0x40
	s_load_dwordx8 s[12:19], s[4:5], 0x20
	v_lshl_add_u32 v2, v1, 4, v0
	v_and_b32_e32 v6, 7, v0
	v_mov_b32_e32 v3, s7
	v_mov_b32_e32 v7, 0
	v_lshlrev_b32_e32 v14, 2, v0
	v_lshrrev_b32_e32 v9, 3, v2
	v_and_b32_e32 v8, 31, v2
	v_lshrrev_b32_e32 v11, 5, v2
	v_lshlrev_b32_e32 v13, 2, v6
	v_lshl_add_u32 v15, v1, 5, 0x400
	v_add_co_u32 v4, s0, v9, s2
	v_or_b32_e32 v2, s6, v8
	v_lshlrev_b32_e32 v10, 2, v8
	v_add_co_ci_u32_e64 v5, null, 0, s3, s0
	v_add_co_u32 v8, s9, s6, v8
	v_cmp_gt_i64_e64 s0, s[20:21], v[2:3]
	v_lshl_or_b32 v12, v11, 7, v10
	v_cmp_gt_i64_e64 s1, s[22:23], v[4:5]
	s_waitcnt lgkmcnt(0)
	v_mul_lo_u32 v10, s25, v4
	v_mul_lo_u32 v5, s24, v5
	v_mad_u64_u32 v[2:3], null, s24, v4, 0
	v_lshl_or_b32 v4, v9, 5, v13
	v_add_co_ci_u32_e64 v9, null, s7, 0, s9
	s_mul_i32 s9, s27, s8
	v_add_nc_u32_e32 v13, 0x400, v4
	v_add3_u32 v3, v3, v5, v10
	v_mul_lo_u32 v10, s15, v8
	v_mul_lo_u32 v9, s14, v9
	v_mad_u64_u32 v[4:5], null, s14, v8, 0
	s_mul_hi_u32 s14, s26, s8
	v_lshlrev_b64 v[2:3], 1, v[2:3]
	s_add_i32 s15, s14, s9
	s_mul_i32 s14, s26, s8
	s_mul_i32 s9, s17, s8
	s_lshl_b64 s[14:15], s[14:15], 1
	v_add3_u32 v5, v5, v9, v10
	v_add_co_u32 v8, vcc_lo, v2, s14
	v_add_co_ci_u32_e64 v9, null, s15, v3, vcc_lo
	s_mul_hi_u32 s14, s16, s8
	v_lshlrev_b64 v[2:3], 1, v[4:5]
	s_add_i32 s15, s14, s9
	s_mul_i32 s14, s16, s8
	v_lshlrev_b32_e32 v4, 1, v6
	s_lshl_b64 s[14:15], s[14:15], 1
	v_lshlrev_b32_e32 v5, 1, v11
	v_add_co_u32 v2, vcc_lo, v2, s14
	v_add_co_ci_u32_e64 v3, null, s15, v3, vcc_lo
	v_add_co_u32 v4, vcc_lo, v8, v4
	v_add_co_ci_u32_e64 v8, null, 0, v9, vcc_lo
	;; [unrolled: 2-line block ×5, first 2 shown]
	v_mov_b32_e32 v8, 0
	v_mov_b32_e32 v9, 0
	;; [unrolled: 1-line block ×3, first 2 shown]
	s_mov_b64 s[12:13], 0
	s_branch .LBB468_3
.LBB468_2:                              ;   in Loop: Header=BB468_3 Depth=1
	s_or_b32 exec_lo, exec_lo, s9
	ds_write_b32 v13, v17
	s_waitcnt lgkmcnt(0)
	s_barrier
	buffer_gl0_inv
	ds_read_b128 v[16:19], v15
	ds_read2_b32 v[32:33], v14 offset1:16
	ds_read_b128 v[20:23], v15 offset:512
	ds_read2_b32 v[34:35], v14 offset0:32 offset1:48
	ds_read2_b32 v[36:37], v14 offset0:64 offset1:80
	;; [unrolled: 1-line block ×3, first 2 shown]
	ds_read_b128 v[24:27], v15 offset:16
	ds_read2_b32 v[40:41], v14 offset0:128 offset1:144
	ds_read_b128 v[28:31], v15 offset:528
	ds_read2_b32 v[42:43], v14 offset0:160 offset1:176
	s_add_u32 s12, s12, 8
	s_addc_u32 s13, s13, 0
	v_add_co_u32 v2, vcc_lo, v2, 16
	v_cmp_lt_i64_e64 s9, s[12:13], s[10:11]
	v_add_co_ci_u32_e64 v3, null, 0, v3, vcc_lo
	v_add_co_u32 v4, vcc_lo, v4, 16
	v_add_co_ci_u32_e64 v5, null, 0, v5, vcc_lo
	s_waitcnt lgkmcnt(8)
	v_fmac_f32_e32 v10, v32, v16
	v_fmac_f32_e32 v9, v33, v16
	s_waitcnt lgkmcnt(7)
	v_fmac_f32_e32 v8, v32, v20
	v_fmac_f32_e32 v7, v33, v20
	ds_read2_b32 v[32:33], v14 offset0:192 offset1:208
	s_waitcnt lgkmcnt(7)
	v_fmac_f32_e32 v10, v34, v17
	v_fmac_f32_e32 v9, v35, v17
	;; [unrolled: 1-line block ×4, first 2 shown]
	ds_read2_b32 v[16:17], v14 offset0:224 offset1:240
	s_waitcnt lgkmcnt(7)
	v_fmac_f32_e32 v10, v36, v18
	v_fmac_f32_e32 v9, v37, v18
	;; [unrolled: 1-line block ×4, first 2 shown]
	s_and_b32 vcc_lo, exec_lo, s9
	s_waitcnt lgkmcnt(6)
	v_fmac_f32_e32 v10, v38, v19
	v_fmac_f32_e32 v9, v39, v19
	;; [unrolled: 1-line block ×4, first 2 shown]
	s_waitcnt lgkmcnt(0)
	v_fmac_f32_e32 v10, v40, v24
	v_fmac_f32_e32 v9, v41, v24
	;; [unrolled: 1-line block ×4, first 2 shown]
	s_barrier
	v_fmac_f32_e32 v10, v42, v25
	v_fmac_f32_e32 v9, v43, v25
	;; [unrolled: 1-line block ×4, first 2 shown]
	buffer_gl0_inv
	v_fmac_f32_e32 v10, v32, v26
	v_fmac_f32_e32 v9, v33, v26
	;; [unrolled: 1-line block ×8, first 2 shown]
	s_cbranch_vccz .LBB468_7
.LBB468_3:                              ; =>This Inner Loop Header: Depth=1
	v_add_co_u32 v16, s9, v11, s12
	v_add_co_ci_u32_e64 v17, null, 0, s13, s9
	v_cmp_gt_i64_e32 vcc_lo, s[10:11], v[16:17]
	v_mov_b32_e32 v16, 0
	s_and_b32 s14, s0, vcc_lo
	s_and_saveexec_b32 s9, s14
	s_cbranch_execz .LBB468_5
; %bb.4:                                ;   in Loop: Header=BB468_3 Depth=1
	global_load_ushort v16, v[4:5], off
	s_waitcnt vmcnt(0)
	v_lshlrev_b32_e32 v16, 16, v16
.LBB468_5:                              ;   in Loop: Header=BB468_3 Depth=1
	s_or_b32 exec_lo, exec_lo, s9
	v_add_co_u32 v17, s9, v6, s12
	v_add_co_ci_u32_e64 v18, null, 0, s13, s9
	ds_write_b32 v12, v16
	v_cmp_gt_i64_e32 vcc_lo, s[10:11], v[17:18]
	v_mov_b32_e32 v17, 0
	s_and_b32 s14, vcc_lo, s1
	s_and_saveexec_b32 s9, s14
	s_cbranch_execz .LBB468_2
; %bb.6:                                ;   in Loop: Header=BB468_3 Depth=1
	global_load_ushort v16, v[2:3], off
	s_waitcnt vmcnt(0)
	v_lshlrev_b32_e32 v17, 16, v16
	s_branch .LBB468_2
.LBB468_7:
	s_clause 0x3
	s_load_dwordx4 s[24:27], s[4:5], 0x78
	s_load_dword s9, s[4:5], 0x50
	s_load_dwordx8 s[12:19], s[4:5], 0x58
	s_load_dword s4, s[4:5], 0x18
	v_add_co_u32 v1, s0, s2, v1
	v_add_co_ci_u32_e64 v2, null, s3, 0, s0
	s_waitcnt lgkmcnt(0)
	s_mul_i32 s1, s27, s8
	s_mul_hi_u32 s2, s26, s8
	s_mul_i32 s0, s26, s8
	s_add_i32 s1, s2, s1
	v_cmp_neq_f32_e64 s2, s9, 0
	s_lshl_b64 s[10:11], s[0:1], 2
	v_cmp_gt_i64_e64 s0, s[22:23], v[1:2]
	s_add_u32 s3, s18, s10
	s_addc_u32 s5, s19, s11
	s_and_b32 vcc_lo, exec_lo, s2
	s_cbranch_vccnz .LBB468_20
; %bb.8:
	s_and_saveexec_b32 s10, s0
	s_cbranch_execz .LBB468_18
; %bb.9:
	v_mul_lo_u32 v5, v2, s24
	v_mul_lo_u32 v6, v1, s25
	v_mad_u64_u32 v[3:4], null, v1, s24, 0
	v_add3_u32 v4, v4, v6, v5
	v_add_co_u32 v5, s1, s6, v0
	v_add_co_ci_u32_e64 v6, null, s7, 0, s1
	v_lshlrev_b64 v[11:12], 2, v[3:4]
	v_cmp_gt_i64_e32 vcc_lo, s[20:21], v[5:6]
	v_lshlrev_b64 v[3:4], 2, v[5:6]
	v_add_co_u32 v11, s1, s3, v11
	v_add_co_ci_u32_e64 v12, null, s5, v12, s1
	s_and_saveexec_b32 s2, vcc_lo
	s_cbranch_execz .LBB468_11
; %bb.10:
	v_add_co_u32 v13, s1, v11, v3
	v_add_co_ci_u32_e64 v14, null, v12, v4, s1
	v_mul_f32_e32 v15, s4, v10
	global_store_dword v[13:14], v15, off
.LBB468_11:
	s_or_b32 exec_lo, exec_lo, s2
	v_add_co_u32 v5, s1, v5, 16
	v_add_co_ci_u32_e64 v6, null, 0, v6, s1
	v_cmp_gt_i64_e64 s1, s[20:21], v[5:6]
	s_and_saveexec_b32 s11, s1
	s_cbranch_execz .LBB468_13
; %bb.12:
	v_add_co_u32 v5, s2, v11, v3
	v_add_co_ci_u32_e64 v6, null, v12, v4, s2
	v_mul_f32_e32 v13, s4, v9
	global_store_dword v[5:6], v13, off offset:64
.LBB468_13:
	s_or_b32 exec_lo, exec_lo, s11
	v_add_co_u32 v5, s2, v1, 16
	v_add_co_ci_u32_e64 v6, null, 0, v2, s2
	v_cmp_gt_i64_e64 s2, s[22:23], v[5:6]
	s_and_b32 exec_lo, exec_lo, s2
	s_cbranch_execz .LBB468_18
; %bb.14:
	s_lshl_b64 s[18:19], s[24:25], 6
	v_add_co_u32 v5, s2, v11, s18
	v_add_co_ci_u32_e64 v6, null, s19, v12, s2
	v_add_co_u32 v3, s2, v5, v3
	v_add_co_ci_u32_e64 v4, null, v6, v4, s2
	s_and_saveexec_b32 s2, vcc_lo
	s_cbranch_execz .LBB468_16
; %bb.15:
	v_mul_f32_e32 v5, s4, v8
	global_store_dword v[3:4], v5, off
.LBB468_16:
	s_or_b32 exec_lo, exec_lo, s2
	s_and_b32 exec_lo, exec_lo, s1
	s_cbranch_execz .LBB468_18
; %bb.17:
	v_mul_f32_e32 v5, s4, v7
	global_store_dword v[3:4], v5, off offset:64
.LBB468_18:
	s_or_b32 exec_lo, exec_lo, s10
	s_cbranch_execz .LBB468_21
.LBB468_19:
	s_endpgm
.LBB468_20:
.LBB468_21:
	s_and_saveexec_b32 s1, s0
	s_cbranch_execz .LBB468_19
; %bb.22:
	v_mul_lo_u32 v5, v2, s14
	v_mul_lo_u32 v6, v1, s15
	v_mad_u64_u32 v[3:4], null, v1, s14, 0
	v_mul_lo_u32 v13, v2, s24
	v_mul_lo_u32 v14, v1, s25
	v_mad_u64_u32 v[11:12], null, v1, s24, 0
	s_mul_i32 s0, s17, s8
	s_mul_hi_u32 s1, s16, s8
	v_add3_u32 v4, v4, v6, v5
	s_add_i32 s1, s1, s0
	s_mul_i32 s0, s16, s8
	v_add_co_u32 v5, s2, s6, v0
	v_add3_u32 v12, v12, v14, v13
	v_lshlrev_b64 v[3:4], 2, v[3:4]
	s_lshl_b64 s[0:1], s[0:1], 2
	v_add_co_ci_u32_e64 v6, null, s7, 0, s2
	v_lshlrev_b64 v[12:13], 2, v[11:12]
	s_add_u32 s0, s12, s0
	s_addc_u32 s1, s13, s1
	v_add_co_u32 v0, s0, s0, v3
	v_add_co_ci_u32_e64 v11, null, s1, v4, s0
	v_add_co_u32 v12, s0, s3, v12
	v_cmp_gt_i64_e32 vcc_lo, s[20:21], v[5:6]
	v_lshlrev_b64 v[3:4], 2, v[5:6]
	v_add_co_ci_u32_e64 v13, null, s5, v13, s0
	s_and_saveexec_b32 s1, vcc_lo
	s_cbranch_execz .LBB468_24
; %bb.23:
	v_add_co_u32 v14, s0, v0, v3
	v_add_co_ci_u32_e64 v15, null, v11, v4, s0
	global_load_dword v14, v[14:15], off
	s_waitcnt vmcnt(0)
	v_mul_f32_e32 v16, s9, v14
	v_add_co_u32 v14, s0, v12, v3
	v_add_co_ci_u32_e64 v15, null, v13, v4, s0
	v_fmac_f32_e32 v16, s4, v10
	global_store_dword v[14:15], v16, off
.LBB468_24:
	s_or_b32 exec_lo, exec_lo, s1
	v_add_co_u32 v5, s0, v5, 16
	v_add_co_ci_u32_e64 v6, null, 0, v6, s0
	v_cmp_gt_i64_e64 s0, s[20:21], v[5:6]
	s_and_saveexec_b32 s2, s0
	s_cbranch_execz .LBB468_26
; %bb.25:
	v_add_co_u32 v5, s1, v0, v3
	v_add_co_ci_u32_e64 v6, null, v11, v4, s1
	global_load_dword v5, v[5:6], off offset:64
	s_waitcnt vmcnt(0)
	v_mul_f32_e32 v10, s9, v5
	v_add_co_u32 v5, s1, v12, v3
	v_add_co_ci_u32_e64 v6, null, v13, v4, s1
	v_fmac_f32_e32 v10, s4, v9
	global_store_dword v[5:6], v10, off offset:64
.LBB468_26:
	s_or_b32 exec_lo, exec_lo, s2
	v_add_co_u32 v1, s1, v1, 16
	v_add_co_ci_u32_e64 v2, null, 0, v2, s1
	v_cmp_gt_i64_e64 s1, s[22:23], v[1:2]
	s_and_b32 exec_lo, exec_lo, s1
	s_cbranch_execz .LBB468_19
; %bb.27:
	s_lshl_b64 s[2:3], s[14:15], 6
	v_add_co_u32 v0, s1, v0, s2
	v_add_co_ci_u32_e64 v1, null, s3, v11, s1
	s_lshl_b64 s[2:3], s[24:25], 6
	v_add_co_u32 v2, s1, v12, s2
	v_add_co_ci_u32_e64 v5, null, s3, v13, s1
	v_add_co_u32 v0, s1, v0, v3
	v_add_co_ci_u32_e64 v1, null, v1, v4, s1
	;; [unrolled: 2-line block ×3, first 2 shown]
	s_and_saveexec_b32 s1, vcc_lo
	s_cbranch_execz .LBB468_29
; %bb.28:
	global_load_dword v4, v[0:1], off
	s_waitcnt vmcnt(0)
	v_mul_f32_e32 v4, s9, v4
	v_fmac_f32_e32 v4, s4, v8
	global_store_dword v[2:3], v4, off
.LBB468_29:
	s_or_b32 exec_lo, exec_lo, s1
	s_and_b32 exec_lo, exec_lo, s0
	s_cbranch_execz .LBB468_19
; %bb.30:
	global_load_dword v0, v[0:1], off offset:64
	s_waitcnt vmcnt(0)
	v_mul_f32_e32 v0, s9, v0
	v_fmac_f32_e32 v0, s4, v7
	global_store_dword v[2:3], v0, off offset:64
	s_endpgm
	.section	.rodata,"a",@progbits
	.p2align	6, 0x0
	.amdhsa_kernel _ZN12_GLOBAL__N_135rocblas_gemm_batched_general_kernelIfLi16ELi16ELi32ELi32ELi8ELi32ELi8ELi8ELi32ELc67ELc78EK16rocblas_bfloat16KffEEvlllT_PT11_llS6_llS4_PT12_llPT13_lli
		.amdhsa_group_segment_fixed_size 2048
		.amdhsa_private_segment_fixed_size 0
		.amdhsa_kernarg_size 140
		.amdhsa_user_sgpr_count 6
		.amdhsa_user_sgpr_private_segment_buffer 1
		.amdhsa_user_sgpr_dispatch_ptr 0
		.amdhsa_user_sgpr_queue_ptr 0
		.amdhsa_user_sgpr_kernarg_segment_ptr 1
		.amdhsa_user_sgpr_dispatch_id 0
		.amdhsa_user_sgpr_flat_scratch_init 0
		.amdhsa_user_sgpr_private_segment_size 0
		.amdhsa_wavefront_size32 1
		.amdhsa_uses_dynamic_stack 0
		.amdhsa_system_sgpr_private_segment_wavefront_offset 0
		.amdhsa_system_sgpr_workgroup_id_x 1
		.amdhsa_system_sgpr_workgroup_id_y 1
		.amdhsa_system_sgpr_workgroup_id_z 1
		.amdhsa_system_sgpr_workgroup_info 0
		.amdhsa_system_vgpr_workitem_id 1
		.amdhsa_next_free_vgpr 44
		.amdhsa_next_free_sgpr 28
		.amdhsa_reserve_vcc 1
		.amdhsa_reserve_flat_scratch 0
		.amdhsa_float_round_mode_32 0
		.amdhsa_float_round_mode_16_64 0
		.amdhsa_float_denorm_mode_32 3
		.amdhsa_float_denorm_mode_16_64 3
		.amdhsa_dx10_clamp 1
		.amdhsa_ieee_mode 1
		.amdhsa_fp16_overflow 0
		.amdhsa_workgroup_processor_mode 1
		.amdhsa_memory_ordered 1
		.amdhsa_forward_progress 1
		.amdhsa_shared_vgpr_count 0
		.amdhsa_exception_fp_ieee_invalid_op 0
		.amdhsa_exception_fp_denorm_src 0
		.amdhsa_exception_fp_ieee_div_zero 0
		.amdhsa_exception_fp_ieee_overflow 0
		.amdhsa_exception_fp_ieee_underflow 0
		.amdhsa_exception_fp_ieee_inexact 0
		.amdhsa_exception_int_div_zero 0
	.end_amdhsa_kernel
	.section	.text._ZN12_GLOBAL__N_135rocblas_gemm_batched_general_kernelIfLi16ELi16ELi32ELi32ELi8ELi32ELi8ELi8ELi32ELc67ELc78EK16rocblas_bfloat16KffEEvlllT_PT11_llS6_llS4_PT12_llPT13_lli,"axG",@progbits,_ZN12_GLOBAL__N_135rocblas_gemm_batched_general_kernelIfLi16ELi16ELi32ELi32ELi8ELi32ELi8ELi8ELi32ELc67ELc78EK16rocblas_bfloat16KffEEvlllT_PT11_llS6_llS4_PT12_llPT13_lli,comdat
.Lfunc_end468:
	.size	_ZN12_GLOBAL__N_135rocblas_gemm_batched_general_kernelIfLi16ELi16ELi32ELi32ELi8ELi32ELi8ELi8ELi32ELc67ELc78EK16rocblas_bfloat16KffEEvlllT_PT11_llS6_llS4_PT12_llPT13_lli, .Lfunc_end468-_ZN12_GLOBAL__N_135rocblas_gemm_batched_general_kernelIfLi16ELi16ELi32ELi32ELi8ELi32ELi8ELi8ELi32ELc67ELc78EK16rocblas_bfloat16KffEEvlllT_PT11_llS6_llS4_PT12_llPT13_lli
                                        ; -- End function
	.set _ZN12_GLOBAL__N_135rocblas_gemm_batched_general_kernelIfLi16ELi16ELi32ELi32ELi8ELi32ELi8ELi8ELi32ELc67ELc78EK16rocblas_bfloat16KffEEvlllT_PT11_llS6_llS4_PT12_llPT13_lli.num_vgpr, 44
	.set _ZN12_GLOBAL__N_135rocblas_gemm_batched_general_kernelIfLi16ELi16ELi32ELi32ELi8ELi32ELi8ELi8ELi32ELc67ELc78EK16rocblas_bfloat16KffEEvlllT_PT11_llS6_llS4_PT12_llPT13_lli.num_agpr, 0
	.set _ZN12_GLOBAL__N_135rocblas_gemm_batched_general_kernelIfLi16ELi16ELi32ELi32ELi8ELi32ELi8ELi8ELi32ELc67ELc78EK16rocblas_bfloat16KffEEvlllT_PT11_llS6_llS4_PT12_llPT13_lli.numbered_sgpr, 28
	.set _ZN12_GLOBAL__N_135rocblas_gemm_batched_general_kernelIfLi16ELi16ELi32ELi32ELi8ELi32ELi8ELi8ELi32ELc67ELc78EK16rocblas_bfloat16KffEEvlllT_PT11_llS6_llS4_PT12_llPT13_lli.num_named_barrier, 0
	.set _ZN12_GLOBAL__N_135rocblas_gemm_batched_general_kernelIfLi16ELi16ELi32ELi32ELi8ELi32ELi8ELi8ELi32ELc67ELc78EK16rocblas_bfloat16KffEEvlllT_PT11_llS6_llS4_PT12_llPT13_lli.private_seg_size, 0
	.set _ZN12_GLOBAL__N_135rocblas_gemm_batched_general_kernelIfLi16ELi16ELi32ELi32ELi8ELi32ELi8ELi8ELi32ELc67ELc78EK16rocblas_bfloat16KffEEvlllT_PT11_llS6_llS4_PT12_llPT13_lli.uses_vcc, 1
	.set _ZN12_GLOBAL__N_135rocblas_gemm_batched_general_kernelIfLi16ELi16ELi32ELi32ELi8ELi32ELi8ELi8ELi32ELc67ELc78EK16rocblas_bfloat16KffEEvlllT_PT11_llS6_llS4_PT12_llPT13_lli.uses_flat_scratch, 0
	.set _ZN12_GLOBAL__N_135rocblas_gemm_batched_general_kernelIfLi16ELi16ELi32ELi32ELi8ELi32ELi8ELi8ELi32ELc67ELc78EK16rocblas_bfloat16KffEEvlllT_PT11_llS6_llS4_PT12_llPT13_lli.has_dyn_sized_stack, 0
	.set _ZN12_GLOBAL__N_135rocblas_gemm_batched_general_kernelIfLi16ELi16ELi32ELi32ELi8ELi32ELi8ELi8ELi32ELc67ELc78EK16rocblas_bfloat16KffEEvlllT_PT11_llS6_llS4_PT12_llPT13_lli.has_recursion, 0
	.set _ZN12_GLOBAL__N_135rocblas_gemm_batched_general_kernelIfLi16ELi16ELi32ELi32ELi8ELi32ELi8ELi8ELi32ELc67ELc78EK16rocblas_bfloat16KffEEvlllT_PT11_llS6_llS4_PT12_llPT13_lli.has_indirect_call, 0
	.section	.AMDGPU.csdata,"",@progbits
; Kernel info:
; codeLenInByte = 1896
; TotalNumSgprs: 30
; NumVgprs: 44
; ScratchSize: 0
; MemoryBound: 0
; FloatMode: 240
; IeeeMode: 1
; LDSByteSize: 2048 bytes/workgroup (compile time only)
; SGPRBlocks: 0
; VGPRBlocks: 5
; NumSGPRsForWavesPerEU: 30
; NumVGPRsForWavesPerEU: 44
; Occupancy: 16
; WaveLimiterHint : 0
; COMPUTE_PGM_RSRC2:SCRATCH_EN: 0
; COMPUTE_PGM_RSRC2:USER_SGPR: 6
; COMPUTE_PGM_RSRC2:TRAP_HANDLER: 0
; COMPUTE_PGM_RSRC2:TGID_X_EN: 1
; COMPUTE_PGM_RSRC2:TGID_Y_EN: 1
; COMPUTE_PGM_RSRC2:TGID_Z_EN: 1
; COMPUTE_PGM_RSRC2:TIDIG_COMP_CNT: 1
	.section	.text._ZN12_GLOBAL__N_135rocblas_gemm_batched_general_kernelIfLi16ELi16ELi32ELi32ELi8ELi32ELi8ELi8ELi32ELc67ELc84EK16rocblas_bfloat16KffEEvlllT_PT11_llS6_llS4_PT12_llPT13_lli,"axG",@progbits,_ZN12_GLOBAL__N_135rocblas_gemm_batched_general_kernelIfLi16ELi16ELi32ELi32ELi8ELi32ELi8ELi8ELi32ELc67ELc84EK16rocblas_bfloat16KffEEvlllT_PT11_llS6_llS4_PT12_llPT13_lli,comdat
	.globl	_ZN12_GLOBAL__N_135rocblas_gemm_batched_general_kernelIfLi16ELi16ELi32ELi32ELi8ELi32ELi8ELi8ELi32ELc67ELc84EK16rocblas_bfloat16KffEEvlllT_PT11_llS6_llS4_PT12_llPT13_lli ; -- Begin function _ZN12_GLOBAL__N_135rocblas_gemm_batched_general_kernelIfLi16ELi16ELi32ELi32ELi8ELi32ELi8ELi8ELi32ELc67ELc84EK16rocblas_bfloat16KffEEvlllT_PT11_llS6_llS4_PT12_llPT13_lli
	.p2align	8
	.type	_ZN12_GLOBAL__N_135rocblas_gemm_batched_general_kernelIfLi16ELi16ELi32ELi32ELi8ELi32ELi8ELi8ELi32ELc67ELc84EK16rocblas_bfloat16KffEEvlllT_PT11_llS6_llS4_PT12_llPT13_lli,@function
_ZN12_GLOBAL__N_135rocblas_gemm_batched_general_kernelIfLi16ELi16ELi32ELi32ELi8ELi32ELi8ELi8ELi32ELc67ELc84EK16rocblas_bfloat16KffEEvlllT_PT11_llS6_llS4_PT12_llPT13_lli: ; @_ZN12_GLOBAL__N_135rocblas_gemm_batched_general_kernelIfLi16ELi16ELi32ELi32ELi8ELi32ELi8ELi8ELi32ELc67ELc84EK16rocblas_bfloat16KffEEvlllT_PT11_llS6_llS4_PT12_llPT13_lli
; %bb.0:
	s_clause 0x1
	s_load_dwordx2 s[10:11], s[4:5], 0x10
	s_load_dwordx4 s[20:23], s[4:5], 0x0
	s_mov_b32 s0, s7
	v_mov_b32_e32 v10, 0
	v_mov_b32_e32 v9, 0
	;; [unrolled: 1-line block ×4, first 2 shown]
	s_ashr_i32 s7, s6, 31
	s_ashr_i32 s1, s0, 31
	s_lshl_b64 s[6:7], s[6:7], 5
	s_waitcnt lgkmcnt(0)
	v_cmp_lt_i64_e64 s2, s[10:11], 1
	s_and_b32 vcc_lo, exec_lo, s2
	s_lshl_b64 s[2:3], s[0:1], 5
	s_cbranch_vccnz .LBB469_7
; %bb.1:
	s_clause 0x1
	s_load_dwordx4 s[24:27], s[4:5], 0x40
	s_load_dwordx8 s[12:19], s[4:5], 0x20
	v_lshl_add_u32 v2, v1, 4, v0
	v_and_b32_e32 v6, 7, v0
	v_mov_b32_e32 v3, s7
	s_lshl_b64 s[28:29], s[0:1], 6
	v_mov_b32_e32 v7, 0
	v_and_b32_e32 v14, 31, v2
	v_lshrrev_b32_e32 v10, 3, v2
	v_lshrrev_b32_e32 v13, 5, v2
	v_lshlrev_b32_e32 v15, 2, v6
	v_lshlrev_b32_e32 v11, 2, v0
	v_or_b32_e32 v2, s6, v14
	v_add_co_u32 v8, s0, v10, s2
	v_add_co_ci_u32_e64 v9, null, 0, s3, s0
	v_add_co_u32 v17, s0, s6, v14
	v_add_co_ci_u32_e64 v18, null, s7, 0, s0
	s_waitcnt lgkmcnt(0)
	v_mad_u64_u32 v[4:5], null, s24, v6, 0
	v_cmp_gt_i64_e64 s0, s[20:21], v[2:3]
	v_cmp_gt_i64_e64 s1, s[22:23], v[8:9]
	v_mul_lo_u32 v8, s15, v17
	v_mul_lo_u32 v9, s14, v18
	s_mul_i32 s9, s27, s8
	s_mul_hi_u32 s27, s26, s8
	v_mad_u64_u32 v[2:3], null, s25, v6, v[5:6]
	s_mul_i32 s26, s26, s8
	s_add_i32 s27, s27, s9
	s_mul_i32 s9, s17, s8
	s_mul_hi_u32 s17, s16, s8
	v_lshlrev_b32_e32 v16, 2, v14
	v_lshl_or_b32 v15, v10, 5, v15
	v_mov_b32_e32 v5, v2
	v_mad_u64_u32 v[2:3], null, s14, v17, 0
	s_lshl_b64 s[14:15], s[26:27], 1
	v_lshl_add_u32 v12, v1, 5, 0x400
	v_lshlrev_b64 v[4:5], 1, v[4:5]
	s_add_u32 s14, s28, s14
	s_addc_u32 s15, s29, s15
	v_lshl_or_b32 v14, v13, 7, v16
	v_add3_u32 v3, v3, v9, v8
	v_lshlrev_b32_e32 v8, 1, v10
	v_add_co_u32 v4, vcc_lo, s14, v4
	v_add_co_ci_u32_e64 v5, null, s15, v5, vcc_lo
	v_lshlrev_b64 v[2:3], 1, v[2:3]
	s_add_i32 s15, s17, s9
	s_mul_i32 s14, s16, s8
	v_lshlrev_b32_e32 v9, 1, v13
	s_lshl_b64 s[14:15], s[14:15], 1
	v_add_nc_u32_e32 v15, 0x400, v15
	v_add_co_u32 v2, vcc_lo, v2, s14
	v_add_co_ci_u32_e64 v3, null, s15, v3, vcc_lo
	v_add_co_u32 v4, vcc_lo, v4, v8
	v_add_co_ci_u32_e64 v5, null, 0, v5, vcc_lo
	;; [unrolled: 2-line block ×5, first 2 shown]
	v_mov_b32_e32 v8, 0
	v_mov_b32_e32 v9, 0
	;; [unrolled: 1-line block ×3, first 2 shown]
	s_lshl_b64 s[12:13], s[24:25], 4
	s_mov_b64 s[14:15], 0
	s_branch .LBB469_3
.LBB469_2:                              ;   in Loop: Header=BB469_3 Depth=1
	s_or_b32 exec_lo, exec_lo, s9
	ds_write_b32 v15, v17
	s_waitcnt lgkmcnt(0)
	s_barrier
	buffer_gl0_inv
	ds_read_b128 v[16:19], v12
	ds_read2_b32 v[32:33], v11 offset1:16
	ds_read_b128 v[20:23], v12 offset:512
	ds_read2_b32 v[34:35], v11 offset0:32 offset1:48
	ds_read2_b32 v[36:37], v11 offset0:64 offset1:80
	;; [unrolled: 1-line block ×3, first 2 shown]
	ds_read_b128 v[24:27], v12 offset:16
	ds_read2_b32 v[40:41], v11 offset0:128 offset1:144
	ds_read_b128 v[28:31], v12 offset:528
	ds_read2_b32 v[42:43], v11 offset0:160 offset1:176
	s_add_u32 s14, s14, 8
	s_addc_u32 s15, s15, 0
	v_add_co_u32 v2, vcc_lo, v2, s12
	v_cmp_lt_i64_e64 s9, s[14:15], s[10:11]
	v_add_co_ci_u32_e64 v3, null, s13, v3, vcc_lo
	v_add_co_u32 v4, vcc_lo, v4, 16
	v_add_co_ci_u32_e64 v5, null, 0, v5, vcc_lo
	s_waitcnt lgkmcnt(8)
	v_fmac_f32_e32 v10, v32, v16
	v_fmac_f32_e32 v9, v33, v16
	s_waitcnt lgkmcnt(7)
	v_fmac_f32_e32 v8, v32, v20
	v_fmac_f32_e32 v7, v33, v20
	ds_read2_b32 v[32:33], v11 offset0:192 offset1:208
	s_waitcnt lgkmcnt(7)
	v_fmac_f32_e32 v10, v34, v17
	v_fmac_f32_e32 v9, v35, v17
	;; [unrolled: 1-line block ×4, first 2 shown]
	ds_read2_b32 v[16:17], v11 offset0:224 offset1:240
	s_waitcnt lgkmcnt(7)
	v_fmac_f32_e32 v10, v36, v18
	v_fmac_f32_e32 v9, v37, v18
	;; [unrolled: 1-line block ×4, first 2 shown]
	s_and_b32 vcc_lo, exec_lo, s9
	s_waitcnt lgkmcnt(6)
	v_fmac_f32_e32 v10, v38, v19
	v_fmac_f32_e32 v9, v39, v19
	v_fmac_f32_e32 v8, v38, v23
	v_fmac_f32_e32 v7, v39, v23
	s_waitcnt lgkmcnt(0)
	v_fmac_f32_e32 v10, v40, v24
	v_fmac_f32_e32 v9, v41, v24
	;; [unrolled: 1-line block ×4, first 2 shown]
	s_barrier
	v_fmac_f32_e32 v10, v42, v25
	v_fmac_f32_e32 v9, v43, v25
	;; [unrolled: 1-line block ×4, first 2 shown]
	buffer_gl0_inv
	v_fmac_f32_e32 v10, v32, v26
	v_fmac_f32_e32 v9, v33, v26
	;; [unrolled: 1-line block ×8, first 2 shown]
	s_cbranch_vccz .LBB469_7
.LBB469_3:                              ; =>This Inner Loop Header: Depth=1
	v_add_co_u32 v16, s9, v13, s14
	v_add_co_ci_u32_e64 v17, null, 0, s15, s9
	v_cmp_gt_i64_e32 vcc_lo, s[10:11], v[16:17]
	v_mov_b32_e32 v16, 0
	s_and_b32 s16, s0, vcc_lo
	s_and_saveexec_b32 s9, s16
	s_cbranch_execz .LBB469_5
; %bb.4:                                ;   in Loop: Header=BB469_3 Depth=1
	global_load_ushort v16, v[4:5], off
	s_waitcnt vmcnt(0)
	v_lshlrev_b32_e32 v16, 16, v16
.LBB469_5:                              ;   in Loop: Header=BB469_3 Depth=1
	s_or_b32 exec_lo, exec_lo, s9
	v_add_co_u32 v17, s9, v6, s14
	v_add_co_ci_u32_e64 v18, null, 0, s15, s9
	ds_write_b32 v14, v16
	v_cmp_gt_i64_e32 vcc_lo, s[10:11], v[17:18]
	v_mov_b32_e32 v17, 0
	s_and_b32 s16, vcc_lo, s1
	s_and_saveexec_b32 s9, s16
	s_cbranch_execz .LBB469_2
; %bb.6:                                ;   in Loop: Header=BB469_3 Depth=1
	global_load_ushort v16, v[2:3], off
	s_waitcnt vmcnt(0)
	v_lshlrev_b32_e32 v17, 16, v16
	s_branch .LBB469_2
.LBB469_7:
	s_clause 0x3
	s_load_dwordx4 s[24:27], s[4:5], 0x78
	s_load_dword s9, s[4:5], 0x50
	s_load_dwordx8 s[12:19], s[4:5], 0x58
	s_load_dword s4, s[4:5], 0x18
	v_add_co_u32 v1, s0, s2, v1
	v_add_co_ci_u32_e64 v2, null, s3, 0, s0
	s_waitcnt lgkmcnt(0)
	s_mul_i32 s1, s27, s8
	s_mul_hi_u32 s2, s26, s8
	s_mul_i32 s0, s26, s8
	s_add_i32 s1, s2, s1
	v_cmp_neq_f32_e64 s2, s9, 0
	s_lshl_b64 s[10:11], s[0:1], 2
	v_cmp_gt_i64_e64 s0, s[22:23], v[1:2]
	s_add_u32 s3, s18, s10
	s_addc_u32 s5, s19, s11
	s_and_b32 vcc_lo, exec_lo, s2
	s_cbranch_vccnz .LBB469_20
; %bb.8:
	s_and_saveexec_b32 s10, s0
	s_cbranch_execz .LBB469_18
; %bb.9:
	v_mul_lo_u32 v5, v2, s24
	v_mul_lo_u32 v6, v1, s25
	v_mad_u64_u32 v[3:4], null, v1, s24, 0
	v_add3_u32 v4, v4, v6, v5
	v_add_co_u32 v5, s1, s6, v0
	v_add_co_ci_u32_e64 v6, null, s7, 0, s1
	v_lshlrev_b64 v[11:12], 2, v[3:4]
	v_cmp_gt_i64_e32 vcc_lo, s[20:21], v[5:6]
	v_lshlrev_b64 v[3:4], 2, v[5:6]
	v_add_co_u32 v11, s1, s3, v11
	v_add_co_ci_u32_e64 v12, null, s5, v12, s1
	s_and_saveexec_b32 s2, vcc_lo
	s_cbranch_execz .LBB469_11
; %bb.10:
	v_add_co_u32 v13, s1, v11, v3
	v_add_co_ci_u32_e64 v14, null, v12, v4, s1
	v_mul_f32_e32 v15, s4, v10
	global_store_dword v[13:14], v15, off
.LBB469_11:
	s_or_b32 exec_lo, exec_lo, s2
	v_add_co_u32 v5, s1, v5, 16
	v_add_co_ci_u32_e64 v6, null, 0, v6, s1
	v_cmp_gt_i64_e64 s1, s[20:21], v[5:6]
	s_and_saveexec_b32 s11, s1
	s_cbranch_execz .LBB469_13
; %bb.12:
	v_add_co_u32 v5, s2, v11, v3
	v_add_co_ci_u32_e64 v6, null, v12, v4, s2
	v_mul_f32_e32 v13, s4, v9
	global_store_dword v[5:6], v13, off offset:64
.LBB469_13:
	s_or_b32 exec_lo, exec_lo, s11
	v_add_co_u32 v5, s2, v1, 16
	v_add_co_ci_u32_e64 v6, null, 0, v2, s2
	v_cmp_gt_i64_e64 s2, s[22:23], v[5:6]
	s_and_b32 exec_lo, exec_lo, s2
	s_cbranch_execz .LBB469_18
; %bb.14:
	s_lshl_b64 s[18:19], s[24:25], 6
	v_add_co_u32 v5, s2, v11, s18
	v_add_co_ci_u32_e64 v6, null, s19, v12, s2
	v_add_co_u32 v3, s2, v5, v3
	v_add_co_ci_u32_e64 v4, null, v6, v4, s2
	s_and_saveexec_b32 s2, vcc_lo
	s_cbranch_execz .LBB469_16
; %bb.15:
	v_mul_f32_e32 v5, s4, v8
	global_store_dword v[3:4], v5, off
.LBB469_16:
	s_or_b32 exec_lo, exec_lo, s2
	s_and_b32 exec_lo, exec_lo, s1
	s_cbranch_execz .LBB469_18
; %bb.17:
	v_mul_f32_e32 v5, s4, v7
	global_store_dword v[3:4], v5, off offset:64
.LBB469_18:
	s_or_b32 exec_lo, exec_lo, s10
	s_cbranch_execz .LBB469_21
.LBB469_19:
	s_endpgm
.LBB469_20:
.LBB469_21:
	s_and_saveexec_b32 s1, s0
	s_cbranch_execz .LBB469_19
; %bb.22:
	v_mul_lo_u32 v5, v2, s14
	v_mul_lo_u32 v6, v1, s15
	v_mad_u64_u32 v[3:4], null, v1, s14, 0
	v_mul_lo_u32 v13, v2, s24
	v_mul_lo_u32 v14, v1, s25
	v_mad_u64_u32 v[11:12], null, v1, s24, 0
	s_mul_i32 s0, s17, s8
	s_mul_hi_u32 s1, s16, s8
	v_add3_u32 v4, v4, v6, v5
	s_add_i32 s1, s1, s0
	s_mul_i32 s0, s16, s8
	v_add_co_u32 v5, s2, s6, v0
	v_add3_u32 v12, v12, v14, v13
	v_lshlrev_b64 v[3:4], 2, v[3:4]
	s_lshl_b64 s[0:1], s[0:1], 2
	v_add_co_ci_u32_e64 v6, null, s7, 0, s2
	v_lshlrev_b64 v[12:13], 2, v[11:12]
	s_add_u32 s0, s12, s0
	s_addc_u32 s1, s13, s1
	v_add_co_u32 v0, s0, s0, v3
	v_add_co_ci_u32_e64 v11, null, s1, v4, s0
	v_add_co_u32 v12, s0, s3, v12
	v_cmp_gt_i64_e32 vcc_lo, s[20:21], v[5:6]
	v_lshlrev_b64 v[3:4], 2, v[5:6]
	v_add_co_ci_u32_e64 v13, null, s5, v13, s0
	s_and_saveexec_b32 s1, vcc_lo
	s_cbranch_execz .LBB469_24
; %bb.23:
	v_add_co_u32 v14, s0, v0, v3
	v_add_co_ci_u32_e64 v15, null, v11, v4, s0
	global_load_dword v14, v[14:15], off
	s_waitcnt vmcnt(0)
	v_mul_f32_e32 v16, s9, v14
	v_add_co_u32 v14, s0, v12, v3
	v_add_co_ci_u32_e64 v15, null, v13, v4, s0
	v_fmac_f32_e32 v16, s4, v10
	global_store_dword v[14:15], v16, off
.LBB469_24:
	s_or_b32 exec_lo, exec_lo, s1
	v_add_co_u32 v5, s0, v5, 16
	v_add_co_ci_u32_e64 v6, null, 0, v6, s0
	v_cmp_gt_i64_e64 s0, s[20:21], v[5:6]
	s_and_saveexec_b32 s2, s0
	s_cbranch_execz .LBB469_26
; %bb.25:
	v_add_co_u32 v5, s1, v0, v3
	v_add_co_ci_u32_e64 v6, null, v11, v4, s1
	global_load_dword v5, v[5:6], off offset:64
	s_waitcnt vmcnt(0)
	v_mul_f32_e32 v10, s9, v5
	v_add_co_u32 v5, s1, v12, v3
	v_add_co_ci_u32_e64 v6, null, v13, v4, s1
	v_fmac_f32_e32 v10, s4, v9
	global_store_dword v[5:6], v10, off offset:64
.LBB469_26:
	s_or_b32 exec_lo, exec_lo, s2
	v_add_co_u32 v1, s1, v1, 16
	v_add_co_ci_u32_e64 v2, null, 0, v2, s1
	v_cmp_gt_i64_e64 s1, s[22:23], v[1:2]
	s_and_b32 exec_lo, exec_lo, s1
	s_cbranch_execz .LBB469_19
; %bb.27:
	s_lshl_b64 s[2:3], s[14:15], 6
	v_add_co_u32 v0, s1, v0, s2
	v_add_co_ci_u32_e64 v1, null, s3, v11, s1
	s_lshl_b64 s[2:3], s[24:25], 6
	v_add_co_u32 v2, s1, v12, s2
	v_add_co_ci_u32_e64 v5, null, s3, v13, s1
	v_add_co_u32 v0, s1, v0, v3
	v_add_co_ci_u32_e64 v1, null, v1, v4, s1
	;; [unrolled: 2-line block ×3, first 2 shown]
	s_and_saveexec_b32 s1, vcc_lo
	s_cbranch_execz .LBB469_29
; %bb.28:
	global_load_dword v4, v[0:1], off
	s_waitcnt vmcnt(0)
	v_mul_f32_e32 v4, s9, v4
	v_fmac_f32_e32 v4, s4, v8
	global_store_dword v[2:3], v4, off
.LBB469_29:
	s_or_b32 exec_lo, exec_lo, s1
	s_and_b32 exec_lo, exec_lo, s0
	s_cbranch_execz .LBB469_19
; %bb.30:
	global_load_dword v0, v[0:1], off offset:64
	s_waitcnt vmcnt(0)
	v_mul_f32_e32 v0, s9, v0
	v_fmac_f32_e32 v0, s4, v7
	global_store_dword v[2:3], v0, off offset:64
	s_endpgm
	.section	.rodata,"a",@progbits
	.p2align	6, 0x0
	.amdhsa_kernel _ZN12_GLOBAL__N_135rocblas_gemm_batched_general_kernelIfLi16ELi16ELi32ELi32ELi8ELi32ELi8ELi8ELi32ELc67ELc84EK16rocblas_bfloat16KffEEvlllT_PT11_llS6_llS4_PT12_llPT13_lli
		.amdhsa_group_segment_fixed_size 2048
		.amdhsa_private_segment_fixed_size 0
		.amdhsa_kernarg_size 140
		.amdhsa_user_sgpr_count 6
		.amdhsa_user_sgpr_private_segment_buffer 1
		.amdhsa_user_sgpr_dispatch_ptr 0
		.amdhsa_user_sgpr_queue_ptr 0
		.amdhsa_user_sgpr_kernarg_segment_ptr 1
		.amdhsa_user_sgpr_dispatch_id 0
		.amdhsa_user_sgpr_flat_scratch_init 0
		.amdhsa_user_sgpr_private_segment_size 0
		.amdhsa_wavefront_size32 1
		.amdhsa_uses_dynamic_stack 0
		.amdhsa_system_sgpr_private_segment_wavefront_offset 0
		.amdhsa_system_sgpr_workgroup_id_x 1
		.amdhsa_system_sgpr_workgroup_id_y 1
		.amdhsa_system_sgpr_workgroup_id_z 1
		.amdhsa_system_sgpr_workgroup_info 0
		.amdhsa_system_vgpr_workitem_id 1
		.amdhsa_next_free_vgpr 44
		.amdhsa_next_free_sgpr 30
		.amdhsa_reserve_vcc 1
		.amdhsa_reserve_flat_scratch 0
		.amdhsa_float_round_mode_32 0
		.amdhsa_float_round_mode_16_64 0
		.amdhsa_float_denorm_mode_32 3
		.amdhsa_float_denorm_mode_16_64 3
		.amdhsa_dx10_clamp 1
		.amdhsa_ieee_mode 1
		.amdhsa_fp16_overflow 0
		.amdhsa_workgroup_processor_mode 1
		.amdhsa_memory_ordered 1
		.amdhsa_forward_progress 1
		.amdhsa_shared_vgpr_count 0
		.amdhsa_exception_fp_ieee_invalid_op 0
		.amdhsa_exception_fp_denorm_src 0
		.amdhsa_exception_fp_ieee_div_zero 0
		.amdhsa_exception_fp_ieee_overflow 0
		.amdhsa_exception_fp_ieee_underflow 0
		.amdhsa_exception_fp_ieee_inexact 0
		.amdhsa_exception_int_div_zero 0
	.end_amdhsa_kernel
	.section	.text._ZN12_GLOBAL__N_135rocblas_gemm_batched_general_kernelIfLi16ELi16ELi32ELi32ELi8ELi32ELi8ELi8ELi32ELc67ELc84EK16rocblas_bfloat16KffEEvlllT_PT11_llS6_llS4_PT12_llPT13_lli,"axG",@progbits,_ZN12_GLOBAL__N_135rocblas_gemm_batched_general_kernelIfLi16ELi16ELi32ELi32ELi8ELi32ELi8ELi8ELi32ELc67ELc84EK16rocblas_bfloat16KffEEvlllT_PT11_llS6_llS4_PT12_llPT13_lli,comdat
.Lfunc_end469:
	.size	_ZN12_GLOBAL__N_135rocblas_gemm_batched_general_kernelIfLi16ELi16ELi32ELi32ELi8ELi32ELi8ELi8ELi32ELc67ELc84EK16rocblas_bfloat16KffEEvlllT_PT11_llS6_llS4_PT12_llPT13_lli, .Lfunc_end469-_ZN12_GLOBAL__N_135rocblas_gemm_batched_general_kernelIfLi16ELi16ELi32ELi32ELi8ELi32ELi8ELi8ELi32ELc67ELc84EK16rocblas_bfloat16KffEEvlllT_PT11_llS6_llS4_PT12_llPT13_lli
                                        ; -- End function
	.set _ZN12_GLOBAL__N_135rocblas_gemm_batched_general_kernelIfLi16ELi16ELi32ELi32ELi8ELi32ELi8ELi8ELi32ELc67ELc84EK16rocblas_bfloat16KffEEvlllT_PT11_llS6_llS4_PT12_llPT13_lli.num_vgpr, 44
	.set _ZN12_GLOBAL__N_135rocblas_gemm_batched_general_kernelIfLi16ELi16ELi32ELi32ELi8ELi32ELi8ELi8ELi32ELc67ELc84EK16rocblas_bfloat16KffEEvlllT_PT11_llS6_llS4_PT12_llPT13_lli.num_agpr, 0
	.set _ZN12_GLOBAL__N_135rocblas_gemm_batched_general_kernelIfLi16ELi16ELi32ELi32ELi8ELi32ELi8ELi8ELi32ELc67ELc84EK16rocblas_bfloat16KffEEvlllT_PT11_llS6_llS4_PT12_llPT13_lli.numbered_sgpr, 30
	.set _ZN12_GLOBAL__N_135rocblas_gemm_batched_general_kernelIfLi16ELi16ELi32ELi32ELi8ELi32ELi8ELi8ELi32ELc67ELc84EK16rocblas_bfloat16KffEEvlllT_PT11_llS6_llS4_PT12_llPT13_lli.num_named_barrier, 0
	.set _ZN12_GLOBAL__N_135rocblas_gemm_batched_general_kernelIfLi16ELi16ELi32ELi32ELi8ELi32ELi8ELi8ELi32ELc67ELc84EK16rocblas_bfloat16KffEEvlllT_PT11_llS6_llS4_PT12_llPT13_lli.private_seg_size, 0
	.set _ZN12_GLOBAL__N_135rocblas_gemm_batched_general_kernelIfLi16ELi16ELi32ELi32ELi8ELi32ELi8ELi8ELi32ELc67ELc84EK16rocblas_bfloat16KffEEvlllT_PT11_llS6_llS4_PT12_llPT13_lli.uses_vcc, 1
	.set _ZN12_GLOBAL__N_135rocblas_gemm_batched_general_kernelIfLi16ELi16ELi32ELi32ELi8ELi32ELi8ELi8ELi32ELc67ELc84EK16rocblas_bfloat16KffEEvlllT_PT11_llS6_llS4_PT12_llPT13_lli.uses_flat_scratch, 0
	.set _ZN12_GLOBAL__N_135rocblas_gemm_batched_general_kernelIfLi16ELi16ELi32ELi32ELi8ELi32ELi8ELi8ELi32ELc67ELc84EK16rocblas_bfloat16KffEEvlllT_PT11_llS6_llS4_PT12_llPT13_lli.has_dyn_sized_stack, 0
	.set _ZN12_GLOBAL__N_135rocblas_gemm_batched_general_kernelIfLi16ELi16ELi32ELi32ELi8ELi32ELi8ELi8ELi32ELc67ELc84EK16rocblas_bfloat16KffEEvlllT_PT11_llS6_llS4_PT12_llPT13_lli.has_recursion, 0
	.set _ZN12_GLOBAL__N_135rocblas_gemm_batched_general_kernelIfLi16ELi16ELi32ELi32ELi8ELi32ELi8ELi8ELi32ELc67ELc84EK16rocblas_bfloat16KffEEvlllT_PT11_llS6_llS4_PT12_llPT13_lli.has_indirect_call, 0
	.section	.AMDGPU.csdata,"",@progbits
; Kernel info:
; codeLenInByte = 1900
; TotalNumSgprs: 32
; NumVgprs: 44
; ScratchSize: 0
; MemoryBound: 0
; FloatMode: 240
; IeeeMode: 1
; LDSByteSize: 2048 bytes/workgroup (compile time only)
; SGPRBlocks: 0
; VGPRBlocks: 5
; NumSGPRsForWavesPerEU: 32
; NumVGPRsForWavesPerEU: 44
; Occupancy: 16
; WaveLimiterHint : 0
; COMPUTE_PGM_RSRC2:SCRATCH_EN: 0
; COMPUTE_PGM_RSRC2:USER_SGPR: 6
; COMPUTE_PGM_RSRC2:TRAP_HANDLER: 0
; COMPUTE_PGM_RSRC2:TGID_X_EN: 1
; COMPUTE_PGM_RSRC2:TGID_Y_EN: 1
; COMPUTE_PGM_RSRC2:TGID_Z_EN: 1
; COMPUTE_PGM_RSRC2:TIDIG_COMP_CNT: 1
	.section	.text._ZN12_GLOBAL__N_135rocblas_gemm_batched_general_kernelIfLi16ELi16ELi32ELi32ELi8ELi32ELi8ELi8ELi32ELc78ELc67EK16rocblas_bfloat16KffEEvlllT_PT11_llS6_llS4_PT12_llPT13_lli,"axG",@progbits,_ZN12_GLOBAL__N_135rocblas_gemm_batched_general_kernelIfLi16ELi16ELi32ELi32ELi8ELi32ELi8ELi8ELi32ELc78ELc67EK16rocblas_bfloat16KffEEvlllT_PT11_llS6_llS4_PT12_llPT13_lli,comdat
	.globl	_ZN12_GLOBAL__N_135rocblas_gemm_batched_general_kernelIfLi16ELi16ELi32ELi32ELi8ELi32ELi8ELi8ELi32ELc78ELc67EK16rocblas_bfloat16KffEEvlllT_PT11_llS6_llS4_PT12_llPT13_lli ; -- Begin function _ZN12_GLOBAL__N_135rocblas_gemm_batched_general_kernelIfLi16ELi16ELi32ELi32ELi8ELi32ELi8ELi8ELi32ELc78ELc67EK16rocblas_bfloat16KffEEvlllT_PT11_llS6_llS4_PT12_llPT13_lli
	.p2align	8
	.type	_ZN12_GLOBAL__N_135rocblas_gemm_batched_general_kernelIfLi16ELi16ELi32ELi32ELi8ELi32ELi8ELi8ELi32ELc78ELc67EK16rocblas_bfloat16KffEEvlllT_PT11_llS6_llS4_PT12_llPT13_lli,@function
_ZN12_GLOBAL__N_135rocblas_gemm_batched_general_kernelIfLi16ELi16ELi32ELi32ELi8ELi32ELi8ELi8ELi32ELc78ELc67EK16rocblas_bfloat16KffEEvlllT_PT11_llS6_llS4_PT12_llPT13_lli: ; @_ZN12_GLOBAL__N_135rocblas_gemm_batched_general_kernelIfLi16ELi16ELi32ELi32ELi8ELi32ELi8ELi8ELi32ELc78ELc67EK16rocblas_bfloat16KffEEvlllT_PT11_llS6_llS4_PT12_llPT13_lli
; %bb.0:
	s_clause 0x1
	s_load_dwordx2 s[28:29], s[4:5], 0x10
	s_load_dwordx4 s[20:23], s[4:5], 0x0
	s_mov_b32 s0, s7
	v_mov_b32_e32 v10, 0
	v_mov_b32_e32 v9, 0
	v_mov_b32_e32 v8, 0
	v_mov_b32_e32 v7, 0
	s_ashr_i32 s7, s6, 31
	s_ashr_i32 s1, s0, 31
	s_lshl_b64 s[10:11], s[6:7], 5
	s_waitcnt lgkmcnt(0)
	v_cmp_lt_i64_e64 s2, s[28:29], 1
	s_and_b32 vcc_lo, exec_lo, s2
	s_lshl_b64 s[2:3], s[0:1], 5
	s_cbranch_vccnz .LBB470_7
; %bb.1:
	s_clause 0x1
	s_load_dwordx4 s[24:27], s[4:5], 0x40
	s_load_dwordx8 s[12:19], s[4:5], 0x20
	v_lshl_add_u32 v2, v1, 4, v0
	v_and_b32_e32 v6, 7, v0
	v_mov_b32_e32 v3, s11
	s_lshl_b64 s[30:31], s[0:1], 6
	v_mov_b32_e32 v7, 0
	v_and_b32_e32 v10, 31, v2
	v_lshrrev_b32_e32 v14, 3, v2
	v_lshrrev_b32_e32 v13, 5, v2
	v_lshlrev_b32_e32 v15, 2, v6
	v_lshlrev_b32_e32 v11, 2, v0
	v_or_b32_e32 v2, s10, v10
	v_lshlrev_b32_e32 v16, 2, v10
	v_add_co_u32 v8, s0, v14, s2
	v_add_co_ci_u32_e64 v9, null, 0, s3, s0
	v_lshl_or_b32 v15, v14, 5, v15
	v_lshlrev_b32_e32 v18, 1, v14
	s_waitcnt lgkmcnt(0)
	v_mad_u64_u32 v[4:5], null, s24, v6, 0
	v_cmp_gt_i64_e64 s0, s[20:21], v[2:3]
	v_lshl_or_b32 v14, v13, 7, v16
	v_mad_u64_u32 v[16:17], null, s14, v13, 0
	s_mul_i32 s9, s27, s8
	s_mul_hi_u32 s27, s26, s8
	v_mov_b32_e32 v2, v5
	s_mul_i32 s26, s26, s8
	s_add_i32 s27, s27, s9
	s_mul_i32 s17, s17, s8
	s_lshl_b64 s[26:27], s[26:27], 1
	v_mad_u64_u32 v[2:3], null, s25, v6, v[2:3]
	v_mov_b32_e32 v3, v17
	s_mul_hi_u32 s33, s16, s8
	s_add_u32 s9, s30, s26
	s_mul_i32 s16, s16, s8
	s_addc_u32 s26, s31, s27
	s_add_i32 s17, s33, s17
	v_mov_b32_e32 v5, v2
	v_mad_u64_u32 v[2:3], null, s15, v13, v[3:4]
	s_lshl_b64 s[16:17], s[16:17], 1
	v_cmp_gt_i64_e64 s1, s[22:23], v[8:9]
	v_lshlrev_b64 v[3:4], 1, v[4:5]
	v_lshlrev_b32_e32 v8, 1, v10
	v_lshl_add_u32 v12, v1, 5, 0x400
	v_add_nc_u32_e32 v15, 0x400, v15
	v_mov_b32_e32 v17, v2
	v_mov_b32_e32 v10, 0
	v_add_co_u32 v5, vcc_lo, s9, v3
	v_add_co_ci_u32_e64 v4, null, s26, v4, vcc_lo
	v_lshlrev_b64 v[2:3], 1, v[16:17]
	s_lshl_b64 s[26:27], s[6:7], 6
	s_lshl_b64 s[6:7], s[24:25], 4
	s_add_u32 s9, s26, s16
	s_addc_u32 s16, s27, s17
	v_add_co_u32 v2, vcc_lo, s9, v2
	v_add_co_ci_u32_e64 v3, null, s16, v3, vcc_lo
	v_add_co_u32 v5, vcc_lo, v5, v18
	v_add_co_ci_u32_e64 v4, null, 0, v4, vcc_lo
	;; [unrolled: 2-line block ×5, first 2 shown]
	v_mov_b32_e32 v8, 0
	v_mov_b32_e32 v9, 0
	s_lshl_b64 s[12:13], s[14:15], 4
	s_mov_b64 s[14:15], 0
	s_branch .LBB470_3
.LBB470_2:                              ;   in Loop: Header=BB470_3 Depth=1
	s_or_b32 exec_lo, exec_lo, s9
	ds_write_b32 v15, v17
	s_waitcnt lgkmcnt(0)
	s_barrier
	buffer_gl0_inv
	ds_read_b128 v[16:19], v12
	ds_read2_b32 v[32:33], v11 offset1:16
	ds_read_b128 v[20:23], v12 offset:512
	ds_read2_b32 v[34:35], v11 offset0:32 offset1:48
	ds_read2_b32 v[36:37], v11 offset0:64 offset1:80
	ds_read2_b32 v[38:39], v11 offset0:96 offset1:112
	ds_read_b128 v[24:27], v12 offset:16
	ds_read2_b32 v[40:41], v11 offset0:128 offset1:144
	ds_read_b128 v[28:31], v12 offset:528
	ds_read2_b32 v[42:43], v11 offset0:160 offset1:176
	s_add_u32 s14, s14, 8
	s_addc_u32 s15, s15, 0
	v_add_co_u32 v2, vcc_lo, v2, s6
	v_cmp_lt_i64_e64 s9, s[14:15], s[28:29]
	v_add_co_ci_u32_e64 v3, null, s7, v3, vcc_lo
	v_add_co_u32 v4, vcc_lo, v4, s12
	v_add_co_ci_u32_e64 v5, null, s13, v5, vcc_lo
	s_waitcnt lgkmcnt(8)
	v_fmac_f32_e32 v10, v32, v16
	v_fmac_f32_e32 v9, v33, v16
	s_waitcnt lgkmcnt(7)
	v_fmac_f32_e32 v8, v32, v20
	v_fmac_f32_e32 v7, v33, v20
	ds_read2_b32 v[32:33], v11 offset0:192 offset1:208
	s_waitcnt lgkmcnt(7)
	v_fmac_f32_e32 v10, v34, v17
	v_fmac_f32_e32 v9, v35, v17
	v_fmac_f32_e32 v8, v34, v21
	v_fmac_f32_e32 v7, v35, v21
	ds_read2_b32 v[16:17], v11 offset0:224 offset1:240
	s_waitcnt lgkmcnt(7)
	v_fmac_f32_e32 v10, v36, v18
	v_fmac_f32_e32 v9, v37, v18
	;; [unrolled: 1-line block ×4, first 2 shown]
	s_and_b32 vcc_lo, exec_lo, s9
	s_waitcnt lgkmcnt(6)
	v_fmac_f32_e32 v10, v38, v19
	v_fmac_f32_e32 v9, v39, v19
	;; [unrolled: 1-line block ×4, first 2 shown]
	s_waitcnt lgkmcnt(0)
	v_fmac_f32_e32 v10, v40, v24
	v_fmac_f32_e32 v9, v41, v24
	;; [unrolled: 1-line block ×4, first 2 shown]
	s_barrier
	v_fmac_f32_e32 v10, v42, v25
	v_fmac_f32_e32 v9, v43, v25
	v_fmac_f32_e32 v8, v42, v29
	v_fmac_f32_e32 v7, v43, v29
	buffer_gl0_inv
	v_fmac_f32_e32 v10, v32, v26
	v_fmac_f32_e32 v9, v33, v26
	;; [unrolled: 1-line block ×8, first 2 shown]
	s_cbranch_vccz .LBB470_7
.LBB470_3:                              ; =>This Inner Loop Header: Depth=1
	v_add_co_u32 v16, s9, v13, s14
	v_add_co_ci_u32_e64 v17, null, 0, s15, s9
	v_cmp_gt_i64_e32 vcc_lo, s[28:29], v[16:17]
	v_mov_b32_e32 v16, 0
	s_and_b32 s16, s0, vcc_lo
	s_and_saveexec_b32 s9, s16
	s_cbranch_execz .LBB470_5
; %bb.4:                                ;   in Loop: Header=BB470_3 Depth=1
	global_load_ushort v16, v[4:5], off
	s_waitcnt vmcnt(0)
	v_lshlrev_b32_e32 v16, 16, v16
.LBB470_5:                              ;   in Loop: Header=BB470_3 Depth=1
	s_or_b32 exec_lo, exec_lo, s9
	v_add_co_u32 v17, s9, v6, s14
	v_add_co_ci_u32_e64 v18, null, 0, s15, s9
	ds_write_b32 v14, v16
	v_cmp_gt_i64_e32 vcc_lo, s[28:29], v[17:18]
	v_mov_b32_e32 v17, 0
	s_and_b32 s16, vcc_lo, s1
	s_and_saveexec_b32 s9, s16
	s_cbranch_execz .LBB470_2
; %bb.6:                                ;   in Loop: Header=BB470_3 Depth=1
	global_load_ushort v16, v[2:3], off
	s_waitcnt vmcnt(0)
	v_lshlrev_b32_e32 v17, 16, v16
	s_branch .LBB470_2
.LBB470_7:
	s_clause 0x3
	s_load_dwordx4 s[24:27], s[4:5], 0x78
	s_load_dword s6, s[4:5], 0x50
	s_load_dwordx8 s[12:19], s[4:5], 0x58
	s_load_dword s4, s[4:5], 0x18
	v_add_co_u32 v1, s0, s2, v1
	v_add_co_ci_u32_e64 v2, null, s3, 0, s0
	s_waitcnt lgkmcnt(0)
	s_mul_i32 s1, s27, s8
	s_mul_hi_u32 s2, s26, s8
	s_mul_i32 s0, s26, s8
	s_add_i32 s1, s2, s1
	v_cmp_neq_f32_e64 s2, s6, 0
	s_lshl_b64 s[26:27], s[0:1], 2
	v_cmp_gt_i64_e64 s0, s[22:23], v[1:2]
	s_add_u32 s3, s18, s26
	s_addc_u32 s5, s19, s27
	s_and_b32 vcc_lo, exec_lo, s2
	s_cbranch_vccnz .LBB470_20
; %bb.8:
	s_and_saveexec_b32 s7, s0
	s_cbranch_execz .LBB470_18
; %bb.9:
	v_mul_lo_u32 v5, v2, s24
	v_mul_lo_u32 v6, v1, s25
	v_mad_u64_u32 v[3:4], null, v1, s24, 0
	v_add3_u32 v4, v4, v6, v5
	v_add_co_u32 v5, s1, s10, v0
	v_add_co_ci_u32_e64 v6, null, s11, 0, s1
	v_lshlrev_b64 v[11:12], 2, v[3:4]
	v_cmp_gt_i64_e32 vcc_lo, s[20:21], v[5:6]
	v_lshlrev_b64 v[3:4], 2, v[5:6]
	v_add_co_u32 v11, s1, s3, v11
	v_add_co_ci_u32_e64 v12, null, s5, v12, s1
	s_and_saveexec_b32 s2, vcc_lo
	s_cbranch_execz .LBB470_11
; %bb.10:
	v_add_co_u32 v13, s1, v11, v3
	v_add_co_ci_u32_e64 v14, null, v12, v4, s1
	v_mul_f32_e32 v15, s4, v10
	global_store_dword v[13:14], v15, off
.LBB470_11:
	s_or_b32 exec_lo, exec_lo, s2
	v_add_co_u32 v5, s1, v5, 16
	v_add_co_ci_u32_e64 v6, null, 0, v6, s1
	v_cmp_gt_i64_e64 s1, s[20:21], v[5:6]
	s_and_saveexec_b32 s9, s1
	s_cbranch_execz .LBB470_13
; %bb.12:
	v_add_co_u32 v5, s2, v11, v3
	v_add_co_ci_u32_e64 v6, null, v12, v4, s2
	v_mul_f32_e32 v13, s4, v9
	global_store_dword v[5:6], v13, off offset:64
.LBB470_13:
	s_or_b32 exec_lo, exec_lo, s9
	v_add_co_u32 v5, s2, v1, 16
	v_add_co_ci_u32_e64 v6, null, 0, v2, s2
	v_cmp_gt_i64_e64 s2, s[22:23], v[5:6]
	s_and_b32 exec_lo, exec_lo, s2
	s_cbranch_execz .LBB470_18
; %bb.14:
	s_lshl_b64 s[18:19], s[24:25], 6
	v_add_co_u32 v5, s2, v11, s18
	v_add_co_ci_u32_e64 v6, null, s19, v12, s2
	v_add_co_u32 v3, s2, v5, v3
	v_add_co_ci_u32_e64 v4, null, v6, v4, s2
	s_and_saveexec_b32 s2, vcc_lo
	s_cbranch_execz .LBB470_16
; %bb.15:
	v_mul_f32_e32 v5, s4, v8
	global_store_dword v[3:4], v5, off
.LBB470_16:
	s_or_b32 exec_lo, exec_lo, s2
	s_and_b32 exec_lo, exec_lo, s1
	s_cbranch_execz .LBB470_18
; %bb.17:
	v_mul_f32_e32 v5, s4, v7
	global_store_dword v[3:4], v5, off offset:64
.LBB470_18:
	s_or_b32 exec_lo, exec_lo, s7
	s_cbranch_execz .LBB470_21
.LBB470_19:
	s_endpgm
.LBB470_20:
.LBB470_21:
	s_and_saveexec_b32 s1, s0
	s_cbranch_execz .LBB470_19
; %bb.22:
	v_mul_lo_u32 v5, v2, s14
	v_mul_lo_u32 v6, v1, s15
	v_mad_u64_u32 v[3:4], null, v1, s14, 0
	v_mul_lo_u32 v13, v2, s24
	v_mul_lo_u32 v14, v1, s25
	v_mad_u64_u32 v[11:12], null, v1, s24, 0
	s_mul_i32 s0, s17, s8
	s_mul_hi_u32 s1, s16, s8
	v_add3_u32 v4, v4, v6, v5
	s_add_i32 s1, s1, s0
	s_mul_i32 s0, s16, s8
	v_add_co_u32 v5, s2, s10, v0
	v_add3_u32 v12, v12, v14, v13
	v_lshlrev_b64 v[3:4], 2, v[3:4]
	s_lshl_b64 s[0:1], s[0:1], 2
	v_add_co_ci_u32_e64 v6, null, s11, 0, s2
	v_lshlrev_b64 v[12:13], 2, v[11:12]
	s_add_u32 s0, s12, s0
	s_addc_u32 s1, s13, s1
	v_add_co_u32 v0, s0, s0, v3
	v_add_co_ci_u32_e64 v11, null, s1, v4, s0
	v_add_co_u32 v12, s0, s3, v12
	v_cmp_gt_i64_e32 vcc_lo, s[20:21], v[5:6]
	v_lshlrev_b64 v[3:4], 2, v[5:6]
	v_add_co_ci_u32_e64 v13, null, s5, v13, s0
	s_and_saveexec_b32 s1, vcc_lo
	s_cbranch_execz .LBB470_24
; %bb.23:
	v_add_co_u32 v14, s0, v0, v3
	v_add_co_ci_u32_e64 v15, null, v11, v4, s0
	global_load_dword v14, v[14:15], off
	s_waitcnt vmcnt(0)
	v_mul_f32_e32 v16, s6, v14
	v_add_co_u32 v14, s0, v12, v3
	v_add_co_ci_u32_e64 v15, null, v13, v4, s0
	v_fmac_f32_e32 v16, s4, v10
	global_store_dword v[14:15], v16, off
.LBB470_24:
	s_or_b32 exec_lo, exec_lo, s1
	v_add_co_u32 v5, s0, v5, 16
	v_add_co_ci_u32_e64 v6, null, 0, v6, s0
	v_cmp_gt_i64_e64 s0, s[20:21], v[5:6]
	s_and_saveexec_b32 s2, s0
	s_cbranch_execz .LBB470_26
; %bb.25:
	v_add_co_u32 v5, s1, v0, v3
	v_add_co_ci_u32_e64 v6, null, v11, v4, s1
	global_load_dword v5, v[5:6], off offset:64
	s_waitcnt vmcnt(0)
	v_mul_f32_e32 v10, s6, v5
	v_add_co_u32 v5, s1, v12, v3
	v_add_co_ci_u32_e64 v6, null, v13, v4, s1
	v_fmac_f32_e32 v10, s4, v9
	global_store_dword v[5:6], v10, off offset:64
.LBB470_26:
	s_or_b32 exec_lo, exec_lo, s2
	v_add_co_u32 v1, s1, v1, 16
	v_add_co_ci_u32_e64 v2, null, 0, v2, s1
	v_cmp_gt_i64_e64 s1, s[22:23], v[1:2]
	s_and_b32 exec_lo, exec_lo, s1
	s_cbranch_execz .LBB470_19
; %bb.27:
	s_lshl_b64 s[2:3], s[14:15], 6
	v_add_co_u32 v0, s1, v0, s2
	v_add_co_ci_u32_e64 v1, null, s3, v11, s1
	s_lshl_b64 s[2:3], s[24:25], 6
	v_add_co_u32 v2, s1, v12, s2
	v_add_co_ci_u32_e64 v5, null, s3, v13, s1
	v_add_co_u32 v0, s1, v0, v3
	v_add_co_ci_u32_e64 v1, null, v1, v4, s1
	;; [unrolled: 2-line block ×3, first 2 shown]
	s_and_saveexec_b32 s1, vcc_lo
	s_cbranch_execz .LBB470_29
; %bb.28:
	global_load_dword v4, v[0:1], off
	s_waitcnt vmcnt(0)
	v_mul_f32_e32 v4, s6, v4
	v_fmac_f32_e32 v4, s4, v8
	global_store_dword v[2:3], v4, off
.LBB470_29:
	s_or_b32 exec_lo, exec_lo, s1
	s_and_b32 exec_lo, exec_lo, s0
	s_cbranch_execz .LBB470_19
; %bb.30:
	global_load_dword v0, v[0:1], off offset:64
	s_waitcnt vmcnt(0)
	v_mul_f32_e32 v0, s6, v0
	v_fmac_f32_e32 v0, s4, v7
	global_store_dword v[2:3], v0, off offset:64
	s_endpgm
	.section	.rodata,"a",@progbits
	.p2align	6, 0x0
	.amdhsa_kernel _ZN12_GLOBAL__N_135rocblas_gemm_batched_general_kernelIfLi16ELi16ELi32ELi32ELi8ELi32ELi8ELi8ELi32ELc78ELc67EK16rocblas_bfloat16KffEEvlllT_PT11_llS6_llS4_PT12_llPT13_lli
		.amdhsa_group_segment_fixed_size 2048
		.amdhsa_private_segment_fixed_size 0
		.amdhsa_kernarg_size 140
		.amdhsa_user_sgpr_count 6
		.amdhsa_user_sgpr_private_segment_buffer 1
		.amdhsa_user_sgpr_dispatch_ptr 0
		.amdhsa_user_sgpr_queue_ptr 0
		.amdhsa_user_sgpr_kernarg_segment_ptr 1
		.amdhsa_user_sgpr_dispatch_id 0
		.amdhsa_user_sgpr_flat_scratch_init 0
		.amdhsa_user_sgpr_private_segment_size 0
		.amdhsa_wavefront_size32 1
		.amdhsa_uses_dynamic_stack 0
		.amdhsa_system_sgpr_private_segment_wavefront_offset 0
		.amdhsa_system_sgpr_workgroup_id_x 1
		.amdhsa_system_sgpr_workgroup_id_y 1
		.amdhsa_system_sgpr_workgroup_id_z 1
		.amdhsa_system_sgpr_workgroup_info 0
		.amdhsa_system_vgpr_workitem_id 1
		.amdhsa_next_free_vgpr 44
		.amdhsa_next_free_sgpr 34
		.amdhsa_reserve_vcc 1
		.amdhsa_reserve_flat_scratch 0
		.amdhsa_float_round_mode_32 0
		.amdhsa_float_round_mode_16_64 0
		.amdhsa_float_denorm_mode_32 3
		.amdhsa_float_denorm_mode_16_64 3
		.amdhsa_dx10_clamp 1
		.amdhsa_ieee_mode 1
		.amdhsa_fp16_overflow 0
		.amdhsa_workgroup_processor_mode 1
		.amdhsa_memory_ordered 1
		.amdhsa_forward_progress 1
		.amdhsa_shared_vgpr_count 0
		.amdhsa_exception_fp_ieee_invalid_op 0
		.amdhsa_exception_fp_denorm_src 0
		.amdhsa_exception_fp_ieee_div_zero 0
		.amdhsa_exception_fp_ieee_overflow 0
		.amdhsa_exception_fp_ieee_underflow 0
		.amdhsa_exception_fp_ieee_inexact 0
		.amdhsa_exception_int_div_zero 0
	.end_amdhsa_kernel
	.section	.text._ZN12_GLOBAL__N_135rocblas_gemm_batched_general_kernelIfLi16ELi16ELi32ELi32ELi8ELi32ELi8ELi8ELi32ELc78ELc67EK16rocblas_bfloat16KffEEvlllT_PT11_llS6_llS4_PT12_llPT13_lli,"axG",@progbits,_ZN12_GLOBAL__N_135rocblas_gemm_batched_general_kernelIfLi16ELi16ELi32ELi32ELi8ELi32ELi8ELi8ELi32ELc78ELc67EK16rocblas_bfloat16KffEEvlllT_PT11_llS6_llS4_PT12_llPT13_lli,comdat
.Lfunc_end470:
	.size	_ZN12_GLOBAL__N_135rocblas_gemm_batched_general_kernelIfLi16ELi16ELi32ELi32ELi8ELi32ELi8ELi8ELi32ELc78ELc67EK16rocblas_bfloat16KffEEvlllT_PT11_llS6_llS4_PT12_llPT13_lli, .Lfunc_end470-_ZN12_GLOBAL__N_135rocblas_gemm_batched_general_kernelIfLi16ELi16ELi32ELi32ELi8ELi32ELi8ELi8ELi32ELc78ELc67EK16rocblas_bfloat16KffEEvlllT_PT11_llS6_llS4_PT12_llPT13_lli
                                        ; -- End function
	.set _ZN12_GLOBAL__N_135rocblas_gemm_batched_general_kernelIfLi16ELi16ELi32ELi32ELi8ELi32ELi8ELi8ELi32ELc78ELc67EK16rocblas_bfloat16KffEEvlllT_PT11_llS6_llS4_PT12_llPT13_lli.num_vgpr, 44
	.set _ZN12_GLOBAL__N_135rocblas_gemm_batched_general_kernelIfLi16ELi16ELi32ELi32ELi8ELi32ELi8ELi8ELi32ELc78ELc67EK16rocblas_bfloat16KffEEvlllT_PT11_llS6_llS4_PT12_llPT13_lli.num_agpr, 0
	.set _ZN12_GLOBAL__N_135rocblas_gemm_batched_general_kernelIfLi16ELi16ELi32ELi32ELi8ELi32ELi8ELi8ELi32ELc78ELc67EK16rocblas_bfloat16KffEEvlllT_PT11_llS6_llS4_PT12_llPT13_lli.numbered_sgpr, 34
	.set _ZN12_GLOBAL__N_135rocblas_gemm_batched_general_kernelIfLi16ELi16ELi32ELi32ELi8ELi32ELi8ELi8ELi32ELc78ELc67EK16rocblas_bfloat16KffEEvlllT_PT11_llS6_llS4_PT12_llPT13_lli.num_named_barrier, 0
	.set _ZN12_GLOBAL__N_135rocblas_gemm_batched_general_kernelIfLi16ELi16ELi32ELi32ELi8ELi32ELi8ELi8ELi32ELc78ELc67EK16rocblas_bfloat16KffEEvlllT_PT11_llS6_llS4_PT12_llPT13_lli.private_seg_size, 0
	.set _ZN12_GLOBAL__N_135rocblas_gemm_batched_general_kernelIfLi16ELi16ELi32ELi32ELi8ELi32ELi8ELi8ELi32ELc78ELc67EK16rocblas_bfloat16KffEEvlllT_PT11_llS6_llS4_PT12_llPT13_lli.uses_vcc, 1
	.set _ZN12_GLOBAL__N_135rocblas_gemm_batched_general_kernelIfLi16ELi16ELi32ELi32ELi8ELi32ELi8ELi8ELi32ELc78ELc67EK16rocblas_bfloat16KffEEvlllT_PT11_llS6_llS4_PT12_llPT13_lli.uses_flat_scratch, 0
	.set _ZN12_GLOBAL__N_135rocblas_gemm_batched_general_kernelIfLi16ELi16ELi32ELi32ELi8ELi32ELi8ELi8ELi32ELc78ELc67EK16rocblas_bfloat16KffEEvlllT_PT11_llS6_llS4_PT12_llPT13_lli.has_dyn_sized_stack, 0
	.set _ZN12_GLOBAL__N_135rocblas_gemm_batched_general_kernelIfLi16ELi16ELi32ELi32ELi8ELi32ELi8ELi8ELi32ELc78ELc67EK16rocblas_bfloat16KffEEvlllT_PT11_llS6_llS4_PT12_llPT13_lli.has_recursion, 0
	.set _ZN12_GLOBAL__N_135rocblas_gemm_batched_general_kernelIfLi16ELi16ELi32ELi32ELi8ELi32ELi8ELi8ELi32ELc78ELc67EK16rocblas_bfloat16KffEEvlllT_PT11_llS6_llS4_PT12_llPT13_lli.has_indirect_call, 0
	.section	.AMDGPU.csdata,"",@progbits
; Kernel info:
; codeLenInByte = 1896
; TotalNumSgprs: 36
; NumVgprs: 44
; ScratchSize: 0
; MemoryBound: 0
; FloatMode: 240
; IeeeMode: 1
; LDSByteSize: 2048 bytes/workgroup (compile time only)
; SGPRBlocks: 0
; VGPRBlocks: 5
; NumSGPRsForWavesPerEU: 36
; NumVGPRsForWavesPerEU: 44
; Occupancy: 16
; WaveLimiterHint : 0
; COMPUTE_PGM_RSRC2:SCRATCH_EN: 0
; COMPUTE_PGM_RSRC2:USER_SGPR: 6
; COMPUTE_PGM_RSRC2:TRAP_HANDLER: 0
; COMPUTE_PGM_RSRC2:TGID_X_EN: 1
; COMPUTE_PGM_RSRC2:TGID_Y_EN: 1
; COMPUTE_PGM_RSRC2:TGID_Z_EN: 1
; COMPUTE_PGM_RSRC2:TIDIG_COMP_CNT: 1
	.section	.text._ZN12_GLOBAL__N_135rocblas_gemm_batched_general_kernelIfLi16ELi16ELi32ELi32ELi8ELi32ELi8ELi8ELi32ELc84ELc67EK16rocblas_bfloat16KffEEvlllT_PT11_llS6_llS4_PT12_llPT13_lli,"axG",@progbits,_ZN12_GLOBAL__N_135rocblas_gemm_batched_general_kernelIfLi16ELi16ELi32ELi32ELi8ELi32ELi8ELi8ELi32ELc84ELc67EK16rocblas_bfloat16KffEEvlllT_PT11_llS6_llS4_PT12_llPT13_lli,comdat
	.globl	_ZN12_GLOBAL__N_135rocblas_gemm_batched_general_kernelIfLi16ELi16ELi32ELi32ELi8ELi32ELi8ELi8ELi32ELc84ELc67EK16rocblas_bfloat16KffEEvlllT_PT11_llS6_llS4_PT12_llPT13_lli ; -- Begin function _ZN12_GLOBAL__N_135rocblas_gemm_batched_general_kernelIfLi16ELi16ELi32ELi32ELi8ELi32ELi8ELi8ELi32ELc84ELc67EK16rocblas_bfloat16KffEEvlllT_PT11_llS6_llS4_PT12_llPT13_lli
	.p2align	8
	.type	_ZN12_GLOBAL__N_135rocblas_gemm_batched_general_kernelIfLi16ELi16ELi32ELi32ELi8ELi32ELi8ELi8ELi32ELc84ELc67EK16rocblas_bfloat16KffEEvlllT_PT11_llS6_llS4_PT12_llPT13_lli,@function
_ZN12_GLOBAL__N_135rocblas_gemm_batched_general_kernelIfLi16ELi16ELi32ELi32ELi8ELi32ELi8ELi8ELi32ELc84ELc67EK16rocblas_bfloat16KffEEvlllT_PT11_llS6_llS4_PT12_llPT13_lli: ; @_ZN12_GLOBAL__N_135rocblas_gemm_batched_general_kernelIfLi16ELi16ELi32ELi32ELi8ELi32ELi8ELi8ELi32ELc84ELc67EK16rocblas_bfloat16KffEEvlllT_PT11_llS6_llS4_PT12_llPT13_lli
; %bb.0:
	s_clause 0x1
	s_load_dwordx2 s[10:11], s[4:5], 0x10
	s_load_dwordx4 s[20:23], s[4:5], 0x0
	s_mov_b32 s0, s7
	v_mov_b32_e32 v10, 0
	v_mov_b32_e32 v9, 0
	;; [unrolled: 1-line block ×4, first 2 shown]
	s_ashr_i32 s7, s6, 31
	s_ashr_i32 s1, s0, 31
	s_lshl_b64 s[6:7], s[6:7], 5
	s_waitcnt lgkmcnt(0)
	v_cmp_lt_i64_e64 s2, s[10:11], 1
	s_and_b32 vcc_lo, exec_lo, s2
	s_lshl_b64 s[2:3], s[0:1], 5
	s_cbranch_vccnz .LBB471_7
; %bb.1:
	s_clause 0x1
	s_load_dwordx4 s[24:27], s[4:5], 0x40
	s_load_dwordx8 s[12:19], s[4:5], 0x20
	v_lshl_add_u32 v2, v1, 4, v0
	v_and_b32_e32 v6, 7, v0
	v_mov_b32_e32 v3, s7
	s_lshl_b64 s[28:29], s[0:1], 6
	v_mov_b32_e32 v7, 0
	v_and_b32_e32 v14, 31, v2
	v_lshrrev_b32_e32 v10, 3, v2
	v_lshrrev_b32_e32 v13, 5, v2
	v_lshlrev_b32_e32 v15, 2, v6
	v_lshlrev_b32_e32 v11, 2, v0
	v_or_b32_e32 v2, s6, v14
	v_add_co_u32 v8, s0, v10, s2
	v_add_co_ci_u32_e64 v9, null, 0, s3, s0
	v_add_co_u32 v17, s0, s6, v14
	v_add_co_ci_u32_e64 v18, null, s7, 0, s0
	s_waitcnt lgkmcnt(0)
	v_mad_u64_u32 v[4:5], null, s24, v6, 0
	v_cmp_gt_i64_e64 s0, s[20:21], v[2:3]
	v_cmp_gt_i64_e64 s1, s[22:23], v[8:9]
	v_mul_lo_u32 v8, s15, v17
	v_mul_lo_u32 v9, s14, v18
	s_mul_i32 s9, s27, s8
	s_mul_hi_u32 s27, s26, s8
	v_mad_u64_u32 v[2:3], null, s25, v6, v[5:6]
	s_mul_i32 s26, s26, s8
	s_add_i32 s27, s27, s9
	s_mul_i32 s9, s17, s8
	s_mul_hi_u32 s17, s16, s8
	v_lshlrev_b32_e32 v16, 2, v14
	v_lshl_or_b32 v15, v10, 5, v15
	v_mov_b32_e32 v5, v2
	v_mad_u64_u32 v[2:3], null, s14, v17, 0
	s_lshl_b64 s[14:15], s[26:27], 1
	v_lshl_add_u32 v12, v1, 5, 0x400
	v_lshlrev_b64 v[4:5], 1, v[4:5]
	s_add_u32 s14, s28, s14
	s_addc_u32 s15, s29, s15
	v_lshl_or_b32 v14, v13, 7, v16
	v_add3_u32 v3, v3, v9, v8
	v_lshlrev_b32_e32 v8, 1, v10
	v_add_co_u32 v4, vcc_lo, s14, v4
	v_add_co_ci_u32_e64 v5, null, s15, v5, vcc_lo
	v_lshlrev_b64 v[2:3], 1, v[2:3]
	s_add_i32 s15, s17, s9
	s_mul_i32 s14, s16, s8
	v_lshlrev_b32_e32 v9, 1, v13
	s_lshl_b64 s[14:15], s[14:15], 1
	v_add_nc_u32_e32 v15, 0x400, v15
	v_add_co_u32 v2, vcc_lo, v2, s14
	v_add_co_ci_u32_e64 v3, null, s15, v3, vcc_lo
	v_add_co_u32 v4, vcc_lo, v4, v8
	v_add_co_ci_u32_e64 v5, null, 0, v5, vcc_lo
	;; [unrolled: 2-line block ×5, first 2 shown]
	v_mov_b32_e32 v8, 0
	v_mov_b32_e32 v9, 0
	;; [unrolled: 1-line block ×3, first 2 shown]
	s_lshl_b64 s[12:13], s[24:25], 4
	s_mov_b64 s[14:15], 0
	s_branch .LBB471_3
.LBB471_2:                              ;   in Loop: Header=BB471_3 Depth=1
	s_or_b32 exec_lo, exec_lo, s9
	ds_write_b32 v15, v17
	s_waitcnt lgkmcnt(0)
	s_barrier
	buffer_gl0_inv
	ds_read_b128 v[16:19], v12
	ds_read2_b32 v[32:33], v11 offset1:16
	ds_read_b128 v[20:23], v12 offset:512
	ds_read2_b32 v[34:35], v11 offset0:32 offset1:48
	ds_read2_b32 v[36:37], v11 offset0:64 offset1:80
	;; [unrolled: 1-line block ×3, first 2 shown]
	ds_read_b128 v[24:27], v12 offset:16
	ds_read2_b32 v[40:41], v11 offset0:128 offset1:144
	ds_read_b128 v[28:31], v12 offset:528
	ds_read2_b32 v[42:43], v11 offset0:160 offset1:176
	s_add_u32 s14, s14, 8
	s_addc_u32 s15, s15, 0
	v_add_co_u32 v2, vcc_lo, v2, s12
	v_cmp_lt_i64_e64 s9, s[14:15], s[10:11]
	v_add_co_ci_u32_e64 v3, null, s13, v3, vcc_lo
	v_add_co_u32 v4, vcc_lo, v4, 16
	v_add_co_ci_u32_e64 v5, null, 0, v5, vcc_lo
	s_waitcnt lgkmcnt(8)
	v_fmac_f32_e32 v10, v32, v16
	v_fmac_f32_e32 v9, v33, v16
	s_waitcnt lgkmcnt(7)
	v_fmac_f32_e32 v8, v32, v20
	v_fmac_f32_e32 v7, v33, v20
	ds_read2_b32 v[32:33], v11 offset0:192 offset1:208
	s_waitcnt lgkmcnt(7)
	v_fmac_f32_e32 v10, v34, v17
	v_fmac_f32_e32 v9, v35, v17
	;; [unrolled: 1-line block ×4, first 2 shown]
	ds_read2_b32 v[16:17], v11 offset0:224 offset1:240
	s_waitcnt lgkmcnt(7)
	v_fmac_f32_e32 v10, v36, v18
	v_fmac_f32_e32 v9, v37, v18
	;; [unrolled: 1-line block ×4, first 2 shown]
	s_and_b32 vcc_lo, exec_lo, s9
	s_waitcnt lgkmcnt(6)
	v_fmac_f32_e32 v10, v38, v19
	v_fmac_f32_e32 v9, v39, v19
	;; [unrolled: 1-line block ×4, first 2 shown]
	s_waitcnt lgkmcnt(0)
	v_fmac_f32_e32 v10, v40, v24
	v_fmac_f32_e32 v9, v41, v24
	;; [unrolled: 1-line block ×4, first 2 shown]
	s_barrier
	v_fmac_f32_e32 v10, v42, v25
	v_fmac_f32_e32 v9, v43, v25
	;; [unrolled: 1-line block ×4, first 2 shown]
	buffer_gl0_inv
	v_fmac_f32_e32 v10, v32, v26
	v_fmac_f32_e32 v9, v33, v26
	;; [unrolled: 1-line block ×8, first 2 shown]
	s_cbranch_vccz .LBB471_7
.LBB471_3:                              ; =>This Inner Loop Header: Depth=1
	v_add_co_u32 v16, s9, v13, s14
	v_add_co_ci_u32_e64 v17, null, 0, s15, s9
	v_cmp_gt_i64_e32 vcc_lo, s[10:11], v[16:17]
	v_mov_b32_e32 v16, 0
	s_and_b32 s16, s0, vcc_lo
	s_and_saveexec_b32 s9, s16
	s_cbranch_execz .LBB471_5
; %bb.4:                                ;   in Loop: Header=BB471_3 Depth=1
	global_load_ushort v16, v[4:5], off
	s_waitcnt vmcnt(0)
	v_lshlrev_b32_e32 v16, 16, v16
.LBB471_5:                              ;   in Loop: Header=BB471_3 Depth=1
	s_or_b32 exec_lo, exec_lo, s9
	v_add_co_u32 v17, s9, v6, s14
	v_add_co_ci_u32_e64 v18, null, 0, s15, s9
	ds_write_b32 v14, v16
	v_cmp_gt_i64_e32 vcc_lo, s[10:11], v[17:18]
	v_mov_b32_e32 v17, 0
	s_and_b32 s16, vcc_lo, s1
	s_and_saveexec_b32 s9, s16
	s_cbranch_execz .LBB471_2
; %bb.6:                                ;   in Loop: Header=BB471_3 Depth=1
	global_load_ushort v16, v[2:3], off
	s_waitcnt vmcnt(0)
	v_lshlrev_b32_e32 v17, 16, v16
	s_branch .LBB471_2
.LBB471_7:
	s_clause 0x3
	s_load_dwordx4 s[24:27], s[4:5], 0x78
	s_load_dword s9, s[4:5], 0x50
	s_load_dwordx8 s[12:19], s[4:5], 0x58
	s_load_dword s4, s[4:5], 0x18
	v_add_co_u32 v1, s0, s2, v1
	v_add_co_ci_u32_e64 v2, null, s3, 0, s0
	s_waitcnt lgkmcnt(0)
	s_mul_i32 s1, s27, s8
	s_mul_hi_u32 s2, s26, s8
	s_mul_i32 s0, s26, s8
	s_add_i32 s1, s2, s1
	v_cmp_neq_f32_e64 s2, s9, 0
	s_lshl_b64 s[10:11], s[0:1], 2
	v_cmp_gt_i64_e64 s0, s[22:23], v[1:2]
	s_add_u32 s3, s18, s10
	s_addc_u32 s5, s19, s11
	s_and_b32 vcc_lo, exec_lo, s2
	s_cbranch_vccnz .LBB471_20
; %bb.8:
	s_and_saveexec_b32 s10, s0
	s_cbranch_execz .LBB471_18
; %bb.9:
	v_mul_lo_u32 v5, v2, s24
	v_mul_lo_u32 v6, v1, s25
	v_mad_u64_u32 v[3:4], null, v1, s24, 0
	v_add3_u32 v4, v4, v6, v5
	v_add_co_u32 v5, s1, s6, v0
	v_add_co_ci_u32_e64 v6, null, s7, 0, s1
	v_lshlrev_b64 v[11:12], 2, v[3:4]
	v_cmp_gt_i64_e32 vcc_lo, s[20:21], v[5:6]
	v_lshlrev_b64 v[3:4], 2, v[5:6]
	v_add_co_u32 v11, s1, s3, v11
	v_add_co_ci_u32_e64 v12, null, s5, v12, s1
	s_and_saveexec_b32 s2, vcc_lo
	s_cbranch_execz .LBB471_11
; %bb.10:
	v_add_co_u32 v13, s1, v11, v3
	v_add_co_ci_u32_e64 v14, null, v12, v4, s1
	v_mul_f32_e32 v15, s4, v10
	global_store_dword v[13:14], v15, off
.LBB471_11:
	s_or_b32 exec_lo, exec_lo, s2
	v_add_co_u32 v5, s1, v5, 16
	v_add_co_ci_u32_e64 v6, null, 0, v6, s1
	v_cmp_gt_i64_e64 s1, s[20:21], v[5:6]
	s_and_saveexec_b32 s11, s1
	s_cbranch_execz .LBB471_13
; %bb.12:
	v_add_co_u32 v5, s2, v11, v3
	v_add_co_ci_u32_e64 v6, null, v12, v4, s2
	v_mul_f32_e32 v13, s4, v9
	global_store_dword v[5:6], v13, off offset:64
.LBB471_13:
	s_or_b32 exec_lo, exec_lo, s11
	v_add_co_u32 v5, s2, v1, 16
	v_add_co_ci_u32_e64 v6, null, 0, v2, s2
	v_cmp_gt_i64_e64 s2, s[22:23], v[5:6]
	s_and_b32 exec_lo, exec_lo, s2
	s_cbranch_execz .LBB471_18
; %bb.14:
	s_lshl_b64 s[18:19], s[24:25], 6
	v_add_co_u32 v5, s2, v11, s18
	v_add_co_ci_u32_e64 v6, null, s19, v12, s2
	v_add_co_u32 v3, s2, v5, v3
	v_add_co_ci_u32_e64 v4, null, v6, v4, s2
	s_and_saveexec_b32 s2, vcc_lo
	s_cbranch_execz .LBB471_16
; %bb.15:
	v_mul_f32_e32 v5, s4, v8
	global_store_dword v[3:4], v5, off
.LBB471_16:
	s_or_b32 exec_lo, exec_lo, s2
	s_and_b32 exec_lo, exec_lo, s1
	s_cbranch_execz .LBB471_18
; %bb.17:
	v_mul_f32_e32 v5, s4, v7
	global_store_dword v[3:4], v5, off offset:64
.LBB471_18:
	s_or_b32 exec_lo, exec_lo, s10
	s_cbranch_execz .LBB471_21
.LBB471_19:
	s_endpgm
.LBB471_20:
.LBB471_21:
	s_and_saveexec_b32 s1, s0
	s_cbranch_execz .LBB471_19
; %bb.22:
	v_mul_lo_u32 v5, v2, s14
	v_mul_lo_u32 v6, v1, s15
	v_mad_u64_u32 v[3:4], null, v1, s14, 0
	v_mul_lo_u32 v13, v2, s24
	v_mul_lo_u32 v14, v1, s25
	v_mad_u64_u32 v[11:12], null, v1, s24, 0
	s_mul_i32 s0, s17, s8
	s_mul_hi_u32 s1, s16, s8
	v_add3_u32 v4, v4, v6, v5
	s_add_i32 s1, s1, s0
	s_mul_i32 s0, s16, s8
	v_add_co_u32 v5, s2, s6, v0
	v_add3_u32 v12, v12, v14, v13
	v_lshlrev_b64 v[3:4], 2, v[3:4]
	s_lshl_b64 s[0:1], s[0:1], 2
	v_add_co_ci_u32_e64 v6, null, s7, 0, s2
	v_lshlrev_b64 v[12:13], 2, v[11:12]
	s_add_u32 s0, s12, s0
	s_addc_u32 s1, s13, s1
	v_add_co_u32 v0, s0, s0, v3
	v_add_co_ci_u32_e64 v11, null, s1, v4, s0
	v_add_co_u32 v12, s0, s3, v12
	v_cmp_gt_i64_e32 vcc_lo, s[20:21], v[5:6]
	v_lshlrev_b64 v[3:4], 2, v[5:6]
	v_add_co_ci_u32_e64 v13, null, s5, v13, s0
	s_and_saveexec_b32 s1, vcc_lo
	s_cbranch_execz .LBB471_24
; %bb.23:
	v_add_co_u32 v14, s0, v0, v3
	v_add_co_ci_u32_e64 v15, null, v11, v4, s0
	global_load_dword v14, v[14:15], off
	s_waitcnt vmcnt(0)
	v_mul_f32_e32 v16, s9, v14
	v_add_co_u32 v14, s0, v12, v3
	v_add_co_ci_u32_e64 v15, null, v13, v4, s0
	v_fmac_f32_e32 v16, s4, v10
	global_store_dword v[14:15], v16, off
.LBB471_24:
	s_or_b32 exec_lo, exec_lo, s1
	v_add_co_u32 v5, s0, v5, 16
	v_add_co_ci_u32_e64 v6, null, 0, v6, s0
	v_cmp_gt_i64_e64 s0, s[20:21], v[5:6]
	s_and_saveexec_b32 s2, s0
	s_cbranch_execz .LBB471_26
; %bb.25:
	v_add_co_u32 v5, s1, v0, v3
	v_add_co_ci_u32_e64 v6, null, v11, v4, s1
	global_load_dword v5, v[5:6], off offset:64
	s_waitcnt vmcnt(0)
	v_mul_f32_e32 v10, s9, v5
	v_add_co_u32 v5, s1, v12, v3
	v_add_co_ci_u32_e64 v6, null, v13, v4, s1
	v_fmac_f32_e32 v10, s4, v9
	global_store_dword v[5:6], v10, off offset:64
.LBB471_26:
	s_or_b32 exec_lo, exec_lo, s2
	v_add_co_u32 v1, s1, v1, 16
	v_add_co_ci_u32_e64 v2, null, 0, v2, s1
	v_cmp_gt_i64_e64 s1, s[22:23], v[1:2]
	s_and_b32 exec_lo, exec_lo, s1
	s_cbranch_execz .LBB471_19
; %bb.27:
	s_lshl_b64 s[2:3], s[14:15], 6
	v_add_co_u32 v0, s1, v0, s2
	v_add_co_ci_u32_e64 v1, null, s3, v11, s1
	s_lshl_b64 s[2:3], s[24:25], 6
	v_add_co_u32 v2, s1, v12, s2
	v_add_co_ci_u32_e64 v5, null, s3, v13, s1
	v_add_co_u32 v0, s1, v0, v3
	v_add_co_ci_u32_e64 v1, null, v1, v4, s1
	;; [unrolled: 2-line block ×3, first 2 shown]
	s_and_saveexec_b32 s1, vcc_lo
	s_cbranch_execz .LBB471_29
; %bb.28:
	global_load_dword v4, v[0:1], off
	s_waitcnt vmcnt(0)
	v_mul_f32_e32 v4, s9, v4
	v_fmac_f32_e32 v4, s4, v8
	global_store_dword v[2:3], v4, off
.LBB471_29:
	s_or_b32 exec_lo, exec_lo, s1
	s_and_b32 exec_lo, exec_lo, s0
	s_cbranch_execz .LBB471_19
; %bb.30:
	global_load_dword v0, v[0:1], off offset:64
	s_waitcnt vmcnt(0)
	v_mul_f32_e32 v0, s9, v0
	v_fmac_f32_e32 v0, s4, v7
	global_store_dword v[2:3], v0, off offset:64
	s_endpgm
	.section	.rodata,"a",@progbits
	.p2align	6, 0x0
	.amdhsa_kernel _ZN12_GLOBAL__N_135rocblas_gemm_batched_general_kernelIfLi16ELi16ELi32ELi32ELi8ELi32ELi8ELi8ELi32ELc84ELc67EK16rocblas_bfloat16KffEEvlllT_PT11_llS6_llS4_PT12_llPT13_lli
		.amdhsa_group_segment_fixed_size 2048
		.amdhsa_private_segment_fixed_size 0
		.amdhsa_kernarg_size 140
		.amdhsa_user_sgpr_count 6
		.amdhsa_user_sgpr_private_segment_buffer 1
		.amdhsa_user_sgpr_dispatch_ptr 0
		.amdhsa_user_sgpr_queue_ptr 0
		.amdhsa_user_sgpr_kernarg_segment_ptr 1
		.amdhsa_user_sgpr_dispatch_id 0
		.amdhsa_user_sgpr_flat_scratch_init 0
		.amdhsa_user_sgpr_private_segment_size 0
		.amdhsa_wavefront_size32 1
		.amdhsa_uses_dynamic_stack 0
		.amdhsa_system_sgpr_private_segment_wavefront_offset 0
		.amdhsa_system_sgpr_workgroup_id_x 1
		.amdhsa_system_sgpr_workgroup_id_y 1
		.amdhsa_system_sgpr_workgroup_id_z 1
		.amdhsa_system_sgpr_workgroup_info 0
		.amdhsa_system_vgpr_workitem_id 1
		.amdhsa_next_free_vgpr 44
		.amdhsa_next_free_sgpr 30
		.amdhsa_reserve_vcc 1
		.amdhsa_reserve_flat_scratch 0
		.amdhsa_float_round_mode_32 0
		.amdhsa_float_round_mode_16_64 0
		.amdhsa_float_denorm_mode_32 3
		.amdhsa_float_denorm_mode_16_64 3
		.amdhsa_dx10_clamp 1
		.amdhsa_ieee_mode 1
		.amdhsa_fp16_overflow 0
		.amdhsa_workgroup_processor_mode 1
		.amdhsa_memory_ordered 1
		.amdhsa_forward_progress 1
		.amdhsa_shared_vgpr_count 0
		.amdhsa_exception_fp_ieee_invalid_op 0
		.amdhsa_exception_fp_denorm_src 0
		.amdhsa_exception_fp_ieee_div_zero 0
		.amdhsa_exception_fp_ieee_overflow 0
		.amdhsa_exception_fp_ieee_underflow 0
		.amdhsa_exception_fp_ieee_inexact 0
		.amdhsa_exception_int_div_zero 0
	.end_amdhsa_kernel
	.section	.text._ZN12_GLOBAL__N_135rocblas_gemm_batched_general_kernelIfLi16ELi16ELi32ELi32ELi8ELi32ELi8ELi8ELi32ELc84ELc67EK16rocblas_bfloat16KffEEvlllT_PT11_llS6_llS4_PT12_llPT13_lli,"axG",@progbits,_ZN12_GLOBAL__N_135rocblas_gemm_batched_general_kernelIfLi16ELi16ELi32ELi32ELi8ELi32ELi8ELi8ELi32ELc84ELc67EK16rocblas_bfloat16KffEEvlllT_PT11_llS6_llS4_PT12_llPT13_lli,comdat
.Lfunc_end471:
	.size	_ZN12_GLOBAL__N_135rocblas_gemm_batched_general_kernelIfLi16ELi16ELi32ELi32ELi8ELi32ELi8ELi8ELi32ELc84ELc67EK16rocblas_bfloat16KffEEvlllT_PT11_llS6_llS4_PT12_llPT13_lli, .Lfunc_end471-_ZN12_GLOBAL__N_135rocblas_gemm_batched_general_kernelIfLi16ELi16ELi32ELi32ELi8ELi32ELi8ELi8ELi32ELc84ELc67EK16rocblas_bfloat16KffEEvlllT_PT11_llS6_llS4_PT12_llPT13_lli
                                        ; -- End function
	.set _ZN12_GLOBAL__N_135rocblas_gemm_batched_general_kernelIfLi16ELi16ELi32ELi32ELi8ELi32ELi8ELi8ELi32ELc84ELc67EK16rocblas_bfloat16KffEEvlllT_PT11_llS6_llS4_PT12_llPT13_lli.num_vgpr, 44
	.set _ZN12_GLOBAL__N_135rocblas_gemm_batched_general_kernelIfLi16ELi16ELi32ELi32ELi8ELi32ELi8ELi8ELi32ELc84ELc67EK16rocblas_bfloat16KffEEvlllT_PT11_llS6_llS4_PT12_llPT13_lli.num_agpr, 0
	.set _ZN12_GLOBAL__N_135rocblas_gemm_batched_general_kernelIfLi16ELi16ELi32ELi32ELi8ELi32ELi8ELi8ELi32ELc84ELc67EK16rocblas_bfloat16KffEEvlllT_PT11_llS6_llS4_PT12_llPT13_lli.numbered_sgpr, 30
	.set _ZN12_GLOBAL__N_135rocblas_gemm_batched_general_kernelIfLi16ELi16ELi32ELi32ELi8ELi32ELi8ELi8ELi32ELc84ELc67EK16rocblas_bfloat16KffEEvlllT_PT11_llS6_llS4_PT12_llPT13_lli.num_named_barrier, 0
	.set _ZN12_GLOBAL__N_135rocblas_gemm_batched_general_kernelIfLi16ELi16ELi32ELi32ELi8ELi32ELi8ELi8ELi32ELc84ELc67EK16rocblas_bfloat16KffEEvlllT_PT11_llS6_llS4_PT12_llPT13_lli.private_seg_size, 0
	.set _ZN12_GLOBAL__N_135rocblas_gemm_batched_general_kernelIfLi16ELi16ELi32ELi32ELi8ELi32ELi8ELi8ELi32ELc84ELc67EK16rocblas_bfloat16KffEEvlllT_PT11_llS6_llS4_PT12_llPT13_lli.uses_vcc, 1
	.set _ZN12_GLOBAL__N_135rocblas_gemm_batched_general_kernelIfLi16ELi16ELi32ELi32ELi8ELi32ELi8ELi8ELi32ELc84ELc67EK16rocblas_bfloat16KffEEvlllT_PT11_llS6_llS4_PT12_llPT13_lli.uses_flat_scratch, 0
	.set _ZN12_GLOBAL__N_135rocblas_gemm_batched_general_kernelIfLi16ELi16ELi32ELi32ELi8ELi32ELi8ELi8ELi32ELc84ELc67EK16rocblas_bfloat16KffEEvlllT_PT11_llS6_llS4_PT12_llPT13_lli.has_dyn_sized_stack, 0
	.set _ZN12_GLOBAL__N_135rocblas_gemm_batched_general_kernelIfLi16ELi16ELi32ELi32ELi8ELi32ELi8ELi8ELi32ELc84ELc67EK16rocblas_bfloat16KffEEvlllT_PT11_llS6_llS4_PT12_llPT13_lli.has_recursion, 0
	.set _ZN12_GLOBAL__N_135rocblas_gemm_batched_general_kernelIfLi16ELi16ELi32ELi32ELi8ELi32ELi8ELi8ELi32ELc84ELc67EK16rocblas_bfloat16KffEEvlllT_PT11_llS6_llS4_PT12_llPT13_lli.has_indirect_call, 0
	.section	.AMDGPU.csdata,"",@progbits
; Kernel info:
; codeLenInByte = 1900
; TotalNumSgprs: 32
; NumVgprs: 44
; ScratchSize: 0
; MemoryBound: 0
; FloatMode: 240
; IeeeMode: 1
; LDSByteSize: 2048 bytes/workgroup (compile time only)
; SGPRBlocks: 0
; VGPRBlocks: 5
; NumSGPRsForWavesPerEU: 32
; NumVGPRsForWavesPerEU: 44
; Occupancy: 16
; WaveLimiterHint : 0
; COMPUTE_PGM_RSRC2:SCRATCH_EN: 0
; COMPUTE_PGM_RSRC2:USER_SGPR: 6
; COMPUTE_PGM_RSRC2:TRAP_HANDLER: 0
; COMPUTE_PGM_RSRC2:TGID_X_EN: 1
; COMPUTE_PGM_RSRC2:TGID_Y_EN: 1
; COMPUTE_PGM_RSRC2:TGID_Z_EN: 1
; COMPUTE_PGM_RSRC2:TIDIG_COMP_CNT: 1
	.section	.text._ZN12_GLOBAL__N_120gemm_ex_scale_kernelILi32ELi32EiPKiPiEEviiT1_T2_lllT3_llli,"axG",@progbits,_ZN12_GLOBAL__N_120gemm_ex_scale_kernelILi32ELi32EiPKiPiEEviiT1_T2_lllT3_llli,comdat
	.globl	_ZN12_GLOBAL__N_120gemm_ex_scale_kernelILi32ELi32EiPKiPiEEviiT1_T2_lllT3_llli ; -- Begin function _ZN12_GLOBAL__N_120gemm_ex_scale_kernelILi32ELi32EiPKiPiEEviiT1_T2_lllT3_llli
	.p2align	8
	.type	_ZN12_GLOBAL__N_120gemm_ex_scale_kernelILi32ELi32EiPKiPiEEviiT1_T2_lllT3_llli,@function
_ZN12_GLOBAL__N_120gemm_ex_scale_kernelILi32ELi32EiPKiPiEEviiT1_T2_lllT3_llli: ; @_ZN12_GLOBAL__N_120gemm_ex_scale_kernelILi32ELi32EiPKiPiEEviiT1_T2_lllT3_llli
; %bb.0:
	s_load_dwordx4 s[0:3], s[4:5], 0x0
	v_lshl_add_u32 v0, s6, 5, v0
	v_lshl_add_u32 v2, s7, 5, v1
	s_waitcnt lgkmcnt(0)
	v_cmp_gt_u32_e32 vcc_lo, s0, v0
	v_cmp_gt_u32_e64 s0, s1, v2
	s_and_b32 s0, vcc_lo, s0
	s_and_saveexec_b32 s1, s0
	s_cbranch_execz .LBB472_5
; %bb.1:
	s_load_dwordx16 s[12:27], s[4:5], 0x10
	v_mov_b32_e32 v1, 0
	s_cmp_lg_u32 s2, 0
	s_mov_b32 s0, 0
	s_cbranch_scc0 .LBB472_6
; %bb.2:
	s_waitcnt lgkmcnt(0)
	v_mad_u64_u32 v[3:4], null, s16, v2, 0
	s_mul_i32 s1, s19, s8
	s_mul_hi_u32 s3, s18, s8
	s_mul_i32 s4, s18, s8
	s_add_i32 s5, s3, s1
	s_lshl_b64 s[4:5], s[4:5], 2
	v_mad_u64_u32 v[4:5], null, s17, v2, v[4:5]
	s_add_u32 s1, s12, s4
	s_addc_u32 s3, s13, s5
	s_lshl_b64 s[4:5], s[14:15], 2
	v_lshlrev_b64 v[5:6], 2, v[0:1]
	s_add_u32 s1, s1, s4
	s_addc_u32 s3, s3, s5
	v_lshlrev_b64 v[3:4], 2, v[3:4]
	v_add_co_u32 v3, vcc_lo, s1, v3
	v_add_co_ci_u32_e64 v4, null, s3, v4, vcc_lo
	v_add_co_u32 v3, vcc_lo, v3, v5
	v_add_co_ci_u32_e64 v4, null, v4, v6, vcc_lo
	global_load_dword v3, v[3:4], off
	s_waitcnt vmcnt(0)
	v_mul_lo_u32 v3, v3, s2
	s_andn2_b32 vcc_lo, exec_lo, s0
	s_cbranch_vccnz .LBB472_4
.LBB472_3:
	v_mov_b32_e32 v3, 0
.LBB472_4:
	s_waitcnt lgkmcnt(0)
	v_mad_u64_u32 v[4:5], null, s24, v2, 0
	s_mul_i32 s1, s27, s8
	s_mul_hi_u32 s2, s26, s8
	s_mul_i32 s0, s26, s8
	s_add_i32 s1, s2, s1
	v_lshlrev_b64 v[0:1], 2, v[0:1]
	s_lshl_b64 s[0:1], s[0:1], 2
	v_mad_u64_u32 v[5:6], null, s25, v2, v[5:6]
	s_add_u32 s2, s20, s0
	s_addc_u32 s3, s21, s1
	s_lshl_b64 s[0:1], s[22:23], 2
	s_add_u32 s0, s2, s0
	s_addc_u32 s1, s3, s1
	v_lshlrev_b64 v[4:5], 2, v[4:5]
	v_add_co_u32 v2, vcc_lo, s0, v4
	v_add_co_ci_u32_e64 v4, null, s1, v5, vcc_lo
	v_add_co_u32 v0, vcc_lo, v2, v0
	v_add_co_ci_u32_e64 v1, null, v4, v1, vcc_lo
	global_store_dword v[0:1], v3, off
.LBB472_5:
	s_endpgm
.LBB472_6:
                                        ; implicit-def: $vgpr3
	s_branch .LBB472_3
	.section	.rodata,"a",@progbits
	.p2align	6, 0x0
	.amdhsa_kernel _ZN12_GLOBAL__N_120gemm_ex_scale_kernelILi32ELi32EiPKiPiEEviiT1_T2_lllT3_llli
		.amdhsa_group_segment_fixed_size 0
		.amdhsa_private_segment_fixed_size 0
		.amdhsa_kernarg_size 84
		.amdhsa_user_sgpr_count 6
		.amdhsa_user_sgpr_private_segment_buffer 1
		.amdhsa_user_sgpr_dispatch_ptr 0
		.amdhsa_user_sgpr_queue_ptr 0
		.amdhsa_user_sgpr_kernarg_segment_ptr 1
		.amdhsa_user_sgpr_dispatch_id 0
		.amdhsa_user_sgpr_flat_scratch_init 0
		.amdhsa_user_sgpr_private_segment_size 0
		.amdhsa_wavefront_size32 1
		.amdhsa_uses_dynamic_stack 0
		.amdhsa_system_sgpr_private_segment_wavefront_offset 0
		.amdhsa_system_sgpr_workgroup_id_x 1
		.amdhsa_system_sgpr_workgroup_id_y 1
		.amdhsa_system_sgpr_workgroup_id_z 1
		.amdhsa_system_sgpr_workgroup_info 0
		.amdhsa_system_vgpr_workitem_id 1
		.amdhsa_next_free_vgpr 7
		.amdhsa_next_free_sgpr 28
		.amdhsa_reserve_vcc 1
		.amdhsa_reserve_flat_scratch 0
		.amdhsa_float_round_mode_32 0
		.amdhsa_float_round_mode_16_64 0
		.amdhsa_float_denorm_mode_32 3
		.amdhsa_float_denorm_mode_16_64 3
		.amdhsa_dx10_clamp 1
		.amdhsa_ieee_mode 1
		.amdhsa_fp16_overflow 0
		.amdhsa_workgroup_processor_mode 1
		.amdhsa_memory_ordered 1
		.amdhsa_forward_progress 1
		.amdhsa_shared_vgpr_count 0
		.amdhsa_exception_fp_ieee_invalid_op 0
		.amdhsa_exception_fp_denorm_src 0
		.amdhsa_exception_fp_ieee_div_zero 0
		.amdhsa_exception_fp_ieee_overflow 0
		.amdhsa_exception_fp_ieee_underflow 0
		.amdhsa_exception_fp_ieee_inexact 0
		.amdhsa_exception_int_div_zero 0
	.end_amdhsa_kernel
	.section	.text._ZN12_GLOBAL__N_120gemm_ex_scale_kernelILi32ELi32EiPKiPiEEviiT1_T2_lllT3_llli,"axG",@progbits,_ZN12_GLOBAL__N_120gemm_ex_scale_kernelILi32ELi32EiPKiPiEEviiT1_T2_lllT3_llli,comdat
.Lfunc_end472:
	.size	_ZN12_GLOBAL__N_120gemm_ex_scale_kernelILi32ELi32EiPKiPiEEviiT1_T2_lllT3_llli, .Lfunc_end472-_ZN12_GLOBAL__N_120gemm_ex_scale_kernelILi32ELi32EiPKiPiEEviiT1_T2_lllT3_llli
                                        ; -- End function
	.set _ZN12_GLOBAL__N_120gemm_ex_scale_kernelILi32ELi32EiPKiPiEEviiT1_T2_lllT3_llli.num_vgpr, 7
	.set _ZN12_GLOBAL__N_120gemm_ex_scale_kernelILi32ELi32EiPKiPiEEviiT1_T2_lllT3_llli.num_agpr, 0
	.set _ZN12_GLOBAL__N_120gemm_ex_scale_kernelILi32ELi32EiPKiPiEEviiT1_T2_lllT3_llli.numbered_sgpr, 28
	.set _ZN12_GLOBAL__N_120gemm_ex_scale_kernelILi32ELi32EiPKiPiEEviiT1_T2_lllT3_llli.num_named_barrier, 0
	.set _ZN12_GLOBAL__N_120gemm_ex_scale_kernelILi32ELi32EiPKiPiEEviiT1_T2_lllT3_llli.private_seg_size, 0
	.set _ZN12_GLOBAL__N_120gemm_ex_scale_kernelILi32ELi32EiPKiPiEEviiT1_T2_lllT3_llli.uses_vcc, 1
	.set _ZN12_GLOBAL__N_120gemm_ex_scale_kernelILi32ELi32EiPKiPiEEviiT1_T2_lllT3_llli.uses_flat_scratch, 0
	.set _ZN12_GLOBAL__N_120gemm_ex_scale_kernelILi32ELi32EiPKiPiEEviiT1_T2_lllT3_llli.has_dyn_sized_stack, 0
	.set _ZN12_GLOBAL__N_120gemm_ex_scale_kernelILi32ELi32EiPKiPiEEviiT1_T2_lllT3_llli.has_recursion, 0
	.set _ZN12_GLOBAL__N_120gemm_ex_scale_kernelILi32ELi32EiPKiPiEEviiT1_T2_lllT3_llli.has_indirect_call, 0
	.section	.AMDGPU.csdata,"",@progbits
; Kernel info:
; codeLenInByte = 340
; TotalNumSgprs: 30
; NumVgprs: 7
; ScratchSize: 0
; MemoryBound: 0
; FloatMode: 240
; IeeeMode: 1
; LDSByteSize: 0 bytes/workgroup (compile time only)
; SGPRBlocks: 0
; VGPRBlocks: 0
; NumSGPRsForWavesPerEU: 30
; NumVGPRsForWavesPerEU: 7
; Occupancy: 16
; WaveLimiterHint : 0
; COMPUTE_PGM_RSRC2:SCRATCH_EN: 0
; COMPUTE_PGM_RSRC2:USER_SGPR: 6
; COMPUTE_PGM_RSRC2:TRAP_HANDLER: 0
; COMPUTE_PGM_RSRC2:TGID_X_EN: 1
; COMPUTE_PGM_RSRC2:TGID_Y_EN: 1
; COMPUTE_PGM_RSRC2:TGID_Z_EN: 1
; COMPUTE_PGM_RSRC2:TIDIG_COMP_CNT: 1
	.section	.text._ZN12_GLOBAL__N_127rocblas_gemm_batched_kernelIiLi16ELi16ELi64ELi64ELi4ELi64ELi4ELi4ELi64ELc78ELc78EKaKiiEEvlllT_PT11_llS5_llS3_PT12_llPT13_lli,"axG",@progbits,_ZN12_GLOBAL__N_127rocblas_gemm_batched_kernelIiLi16ELi16ELi64ELi64ELi4ELi64ELi4ELi4ELi64ELc78ELc78EKaKiiEEvlllT_PT11_llS5_llS3_PT12_llPT13_lli,comdat
	.globl	_ZN12_GLOBAL__N_127rocblas_gemm_batched_kernelIiLi16ELi16ELi64ELi64ELi4ELi64ELi4ELi4ELi64ELc78ELc78EKaKiiEEvlllT_PT11_llS5_llS3_PT12_llPT13_lli ; -- Begin function _ZN12_GLOBAL__N_127rocblas_gemm_batched_kernelIiLi16ELi16ELi64ELi64ELi4ELi64ELi4ELi4ELi64ELc78ELc78EKaKiiEEvlllT_PT11_llS5_llS3_PT12_llPT13_lli
	.p2align	8
	.type	_ZN12_GLOBAL__N_127rocblas_gemm_batched_kernelIiLi16ELi16ELi64ELi64ELi4ELi64ELi4ELi4ELi64ELc78ELc78EKaKiiEEvlllT_PT11_llS5_llS3_PT12_llPT13_lli,@function
_ZN12_GLOBAL__N_127rocblas_gemm_batched_kernelIiLi16ELi16ELi64ELi64ELi4ELi64ELi4ELi4ELi64ELc78ELc78EKaKiiEEvlllT_PT11_llS5_llS3_PT12_llPT13_lli: ; @_ZN12_GLOBAL__N_127rocblas_gemm_batched_kernelIiLi16ELi16ELi64ELi64ELi4ELi64ELi4ELi4ELi64ELc78ELc78EKaKiiEEvlllT_PT11_llS5_llS3_PT12_llPT13_lli
; %bb.0:
	s_load_dwordx2 s[0:1], s[4:5], 0x10
	s_mov_b32 s2, s7
	v_mov_b32_e32 v10, 0
	v_mov_b32_e32 v13, 0
	v_mov_b32_e32 v11, 0
	v_mov_b32_e32 v12, 0
	v_mov_b32_e32 v19, 0
	v_mov_b32_e32 v20, 0
	v_mov_b32_e32 v21, 0
	v_mov_b32_e32 v18, 0
	v_mov_b32_e32 v23, 0
	v_mov_b32_e32 v24, 0
	v_mov_b32_e32 v25, 0
	v_mov_b32_e32 v26, 0
	v_mov_b32_e32 v27, 0
	v_mov_b32_e32 v28, 0
	v_mov_b32_e32 v29, 0
	v_mov_b32_e32 v22, 0
	s_ashr_i32 s7, s6, 31
	s_ashr_i32 s3, s2, 31
	s_waitcnt lgkmcnt(0)
	v_cmp_lt_i64_e64 s9, s[0:1], 1
	s_lshl_b64 s[10:11], s[6:7], 6
	s_lshl_b64 s[20:21], s[2:3], 6
	s_and_b32 vcc_lo, exec_lo, s9
	s_cbranch_vccnz .LBB473_3
; %bb.1:
	s_clause 0x1
	s_load_dwordx8 s[12:19], s[4:5], 0x20
	s_load_dwordx4 s[24:27], s[4:5], 0x40
	v_lshlrev_b32_e32 v7, 4, v1
	v_and_b32_e32 v11, 3, v0
	v_mov_b32_e32 v22, 0
	v_mov_b32_e32 v29, 0
	;; [unrolled: 1-line block ×3, first 2 shown]
	v_add_nc_u32_e32 v2, v7, v0
	v_lshlrev_b32_e32 v4, 2, v11
	v_add_nc_u32_e32 v7, 0x400, v7
	v_mov_b32_e32 v27, 0
	v_mov_b32_e32 v26, 0
	v_lshrrev_b32_e32 v3, 2, v2
	v_and_b32_e32 v12, 63, v2
	v_lshrrev_b32_e32 v10, 6, v2
	v_mov_b32_e32 v25, 0
	v_mov_b32_e32 v24, 0
	v_add_co_u32 v5, s2, v3, s20
	v_add_co_ci_u32_e64 v6, null, 0, s21, s2
	s_waitcnt lgkmcnt(0)
	s_mul_i32 s2, s17, s8
	s_mul_hi_u32 s3, s16, s8
	s_mul_i32 s9, s16, s8
	s_mul_i32 s7, s27, s8
	s_mul_hi_u32 s16, s26, s8
	s_add_i32 s17, s3, s2
	s_add_i32 s7, s16, s7
	s_lshl_b64 s[2:3], s[14:15], 2
	s_add_u32 s16, s10, s9
	v_lshlrev_b32_e32 v13, 2, v12
	s_mul_i32 s6, s26, s8
	s_addc_u32 s17, s11, s17
	v_lshl_or_b32 v14, v3, 4, v4
	v_mad_u64_u32 v[2:3], null, s14, v10, s[16:17]
	v_mad_u64_u32 v[8:9], null, s24, v5, s[6:7]
	v_mul_lo_u32 v15, s24, v6
	v_mul_lo_u32 v16, s25, v5
	v_lshl_or_b32 v4, v10, 8, v13
	v_add_nc_u32_e32 v5, 0x400, v14
	v_lshlrev_b32_e32 v6, 2, v0
	v_mov_b32_e32 v23, 0
	v_mov_b32_e32 v18, 0
	;; [unrolled: 1-line block ×4, first 2 shown]
	v_add3_u32 v13, v16, v9, v15
	v_mad_u64_u32 v[9:10], null, s15, v10, v[3:4]
	v_add_co_u32 v3, vcc_lo, v8, v11
	v_add_co_ci_u32_e64 v10, null, 0, v13, vcc_lo
	v_add_co_u32 v2, vcc_lo, v2, v12
	v_add_co_ci_u32_e64 v11, null, 0, v9, vcc_lo
	;; [unrolled: 2-line block ×4, first 2 shown]
	v_mov_b32_e32 v19, 0
	v_mov_b32_e32 v12, 0
	;; [unrolled: 1-line block ×5, first 2 shown]
	s_mov_b64 s[6:7], 0
.LBB473_2:                              ; =>This Inner Loop Header: Depth=1
	global_load_sbyte v14, v[2:3], off
	s_waitcnt vmcnt(0)
	ds_write_b32 v4, v14
	v_add_co_u32 v14, vcc_lo, v8, s6
	v_add_co_ci_u32_e64 v15, null, s7, v9, vcc_lo
	s_add_u32 s6, s6, 4
	s_addc_u32 s7, s7, 0
	v_add_co_u32 v2, vcc_lo, v2, s2
	global_load_sbyte v14, v[14:15], off
	v_cmp_lt_i64_e64 s9, s[6:7], s[0:1]
	v_add_co_ci_u32_e64 v3, null, s3, v3, vcc_lo
	s_and_b32 vcc_lo, exec_lo, s9
	s_waitcnt vmcnt(0)
	ds_write_b32 v5, v14
	s_waitcnt lgkmcnt(0)
	s_barrier
	buffer_gl0_inv
	ds_read_b128 v[14:17], v7
	ds_read2_b32 v[42:43], v6 offset1:16
	ds_read_b128 v[30:33], v7 offset:256
	ds_read_b128 v[34:37], v7 offset:512
	;; [unrolled: 1-line block ×3, first 2 shown]
	ds_read2_b32 v[44:45], v6 offset0:32 offset1:48
	s_waitcnt lgkmcnt(4)
	v_mul_lo_u32 v46, v14, v42
	v_mul_lo_u32 v47, v14, v43
	s_waitcnt lgkmcnt(3)
	v_mul_lo_u32 v50, v30, v42
	v_mul_lo_u32 v51, v30, v43
	;; [unrolled: 3-line block ×4, first 2 shown]
	ds_read2_b32 v[42:43], v6 offset0:64 offset1:80
	s_waitcnt lgkmcnt(1)
	v_mul_lo_u32 v48, v14, v44
	v_mul_lo_u32 v49, v14, v45
	;; [unrolled: 1-line block ×8, first 2 shown]
	s_waitcnt lgkmcnt(0)
	v_mul_lo_u32 v14, v15, v42
	v_add3_u32 v45, v10, v46, v14
	v_mul_lo_u32 v10, v15, v43
	v_add3_u32 v46, v13, v47, v10
	ds_read2_b32 v[13:14], v6 offset0:96 offset1:112
	s_waitcnt lgkmcnt(0)
	v_mul_lo_u32 v10, v15, v13
	v_add3_u32 v47, v11, v48, v10
	v_mul_lo_u32 v10, v15, v14
	v_add3_u32 v48, v12, v49, v10
	;; [unrolled: 2-line block ×12, first 2 shown]
	v_mul_lo_u32 v10, v39, v13
	ds_read2_b32 v[12:13], v6 offset0:160 offset1:176
	v_add3_u32 v31, v29, v44, v10
	v_mul_lo_u32 v10, v39, v14
	ds_read2_b32 v[14:15], v6 offset0:192 offset1:208
	v_add3_u32 v22, v22, v38, v10
	ds_read2_b32 v[10:11], v6 offset0:128 offset1:144
	s_waitcnt lgkmcnt(2)
	v_mul_lo_u32 v34, v16, v12
	v_mul_lo_u32 v39, v32, v12
	;; [unrolled: 1-line block ×4, first 2 shown]
	s_waitcnt lgkmcnt(0)
	v_mul_lo_u32 v29, v16, v10
	v_mul_lo_u32 v30, v16, v11
	;; [unrolled: 1-line block ×14, first 2 shown]
	v_add3_u32 v10, v45, v29, v10
	v_add3_u32 v13, v46, v30, v11
	ds_read2_b32 v[29:30], v6 offset0:224 offset1:240
	s_waitcnt lgkmcnt(0)
	s_barrier
	buffer_gl0_inv
	v_mul_lo_u32 v12, v17, v30
	v_mul_lo_u32 v11, v17, v29
	v_add3_u32 v12, v48, v16, v12
	v_mul_lo_u32 v16, v33, v14
	v_add3_u32 v11, v47, v34, v11
	v_add3_u32 v19, v19, v35, v16
	v_mul_lo_u32 v16, v33, v15
	v_add3_u32 v20, v20, v38, v16
	v_mul_lo_u32 v16, v33, v29
	;; [unrolled: 2-line block ×4, first 2 shown]
	v_mul_lo_u32 v14, v41, v14
	v_add3_u32 v23, v23, v42, v16
	v_mul_lo_u32 v16, v37, v15
	v_add3_u32 v27, v27, v49, v14
	;; [unrolled: 2-line block ×7, first 2 shown]
	v_add3_u32 v22, v22, v40, v14
	s_cbranch_vccnz .LBB473_2
.LBB473_3:
	s_clause 0x3
	s_load_dwordx4 s[12:15], s[4:5], 0x78
	s_load_dword s16, s[4:5], 0x18
	s_load_dword s9, s[4:5], 0x50
	s_load_dwordx8 s[0:7], s[4:5], 0x58
	v_add_co_u32 v30, s17, s20, v1
	v_add_co_ci_u32_e64 v31, null, s21, 0, s17
	v_add_co_u32 v8, s10, s10, v0
	v_add_co_ci_u32_e64 v9, null, s11, 0, s10
	v_lshlrev_b64 v[8:9], 2, v[8:9]
	s_waitcnt lgkmcnt(0)
	s_mul_i32 s11, s15, s8
	s_mul_hi_u32 s15, s14, s8
	s_mul_i32 s10, s14, s8
	v_mul_lo_u32 v17, v10, s16
	v_mul_lo_u32 v16, v13, s16
	;; [unrolled: 1-line block ×7, first 2 shown]
	s_add_i32 s11, s15, s11
	v_mul_lo_u32 v13, v18, s16
	v_mul_lo_u32 v7, v23, s16
	;; [unrolled: 1-line block ×11, first 2 shown]
	s_lshl_b64 s[10:11], s[10:11], 2
	s_add_u32 s6, s6, s10
	s_addc_u32 s7, s7, s11
	s_cmp_eq_u32 s9, 0
	s_mov_b32 s10, 0
	s_cbranch_scc1 .LBB473_7
; %bb.4:
	v_mul_lo_u32 v22, v31, s2
	v_mul_lo_u32 v23, v30, s3
	v_mad_u64_u32 v[20:21], null, v30, s2, 0
	s_mul_i32 s5, s5, s8
	s_mul_hi_u32 s11, s4, s8
	s_mul_i32 s4, s4, s8
	s_add_i32 s5, s11, s5
	s_lshl_b64 s[4:5], s[4:5], 2
	v_add3_u32 v21, v21, v23, v22
	s_add_u32 s0, s0, s4
	s_addc_u32 s1, s1, s5
	v_mad_u64_u32 v[22:23], null, v30, s12, 0
	v_lshlrev_b64 v[20:21], 2, v[20:21]
	v_add3_u32 v23, v23, v19, v18
	v_add_co_u32 v27, vcc_lo, s0, v20
	v_add_co_ci_u32_e64 v28, null, s1, v21, vcc_lo
	v_lshlrev_b64 v[22:23], 2, v[22:23]
	v_add_co_u32 v20, vcc_lo, v27, v8
	v_add_co_ci_u32_e64 v21, null, v28, v9, vcc_lo
	s_lshl_b64 s[0:1], s[2:3], 6
	v_add_co_u32 v29, vcc_lo, s6, v22
	global_load_dword v24, v[20:21], off
	v_add_co_ci_u32_e64 v31, null, s7, v23, vcc_lo
	s_lshl_b64 s[2:3], s[12:13], 6
	s_waitcnt vmcnt(0)
	v_mad_u64_u32 v[22:23], null, v24, s9, v[17:18]
	v_add_co_u32 v23, vcc_lo, v29, v8
	v_add_co_ci_u32_e64 v24, null, v31, v9, vcc_lo
	v_add_co_u32 v32, vcc_lo, v27, s0
	v_add_co_ci_u32_e64 v28, null, s1, v28, vcc_lo
	global_store_dword v[23:24], v22, off
	global_load_dword v22, v[20:21], off offset:64
	s_waitcnt vmcnt(0)
	v_mad_u64_u32 v[25:26], null, v22, s9, v[16:17]
	global_store_dword v[23:24], v25, off offset:64
	global_load_dword v22, v[20:21], off offset:128
	s_waitcnt vmcnt(0)
	v_mad_u64_u32 v[25:26], null, v22, s9, v[15:16]
	global_store_dword v[23:24], v25, off offset:128
	global_load_dword v20, v[20:21], off offset:192
	s_waitcnt vmcnt(0)
	v_mad_u64_u32 v[20:21], null, v20, s9, v[14:15]
	v_add_co_u32 v21, vcc_lo, v32, v8
	v_add_co_ci_u32_e64 v22, null, v28, v9, vcc_lo
	v_add_co_u32 v29, vcc_lo, v29, s2
	global_store_dword v[23:24], v20, off offset:192
	global_load_dword v20, v[21:22], off
	v_add_co_ci_u32_e64 v31, null, s3, v31, vcc_lo
	s_waitcnt vmcnt(0)
	v_mad_u64_u32 v[23:24], null, v20, s9, v[12:13]
	v_add_co_u32 v24, vcc_lo, v29, v8
	v_add_co_ci_u32_e64 v25, null, v31, v9, vcc_lo
	v_add_co_u32 v32, vcc_lo, v32, s0
	v_add_co_ci_u32_e64 v28, null, s1, v28, vcc_lo
	global_store_dword v[24:25], v23, off
	global_load_dword v20, v[21:22], off offset:64
	s_waitcnt vmcnt(0)
	v_mad_u64_u32 v[26:27], null, v20, s9, v[11:12]
	global_store_dword v[24:25], v26, off offset:64
	global_load_dword v20, v[21:22], off offset:128
	s_waitcnt vmcnt(0)
	v_mad_u64_u32 v[26:27], null, v20, s9, v[10:11]
	global_store_dword v[24:25], v26, off offset:128
	global_load_dword v20, v[21:22], off offset:192
	s_waitcnt vmcnt(0)
	v_mad_u64_u32 v[20:21], null, v20, s9, v[13:14]
	v_add_co_u32 v21, vcc_lo, v32, v8
	v_add_co_ci_u32_e64 v22, null, v28, v9, vcc_lo
	v_add_co_u32 v29, vcc_lo, v29, s2
	global_store_dword v[24:25], v20, off offset:192
	global_load_dword v20, v[21:22], off
	v_add_co_ci_u32_e64 v31, null, s3, v31, vcc_lo
	s_waitcnt vmcnt(0)
	v_mad_u64_u32 v[23:24], null, v20, s9, v[7:8]
	v_add_co_u32 v24, vcc_lo, v29, v8
	v_add_co_ci_u32_e64 v25, null, v31, v9, vcc_lo
	global_store_dword v[24:25], v23, off
	global_load_dword v20, v[21:22], off offset:64
	s_waitcnt vmcnt(0)
	v_mad_u64_u32 v[26:27], null, v20, s9, v[6:7]
	global_store_dword v[24:25], v26, off offset:64
	global_load_dword v20, v[21:22], off offset:128
	s_waitcnt vmcnt(0)
	v_mad_u64_u32 v[26:27], null, v20, s9, v[5:6]
	global_store_dword v[24:25], v26, off offset:128
	global_load_dword v20, v[21:22], off offset:192
	v_add_co_u32 v22, vcc_lo, v32, s0
	v_add_co_ci_u32_e64 v23, null, s1, v28, vcc_lo
	s_waitcnt vmcnt(0)
	v_mad_u64_u32 v[20:21], null, v20, s9, v[4:5]
	v_add_co_u32 v21, vcc_lo, v22, v8
	v_add_co_ci_u32_e64 v22, null, v23, v9, vcc_lo
	global_store_dword v[24:25], v20, off offset:192
	global_load_dword v20, v[21:22], off
	v_add_co_u32 v25, vcc_lo, v29, s2
	v_add_co_ci_u32_e64 v26, null, s3, v31, vcc_lo
	s_waitcnt vmcnt(0)
	v_mad_u64_u32 v[23:24], null, v20, s9, v[3:4]
	v_add_co_u32 v24, vcc_lo, v25, v8
	v_add_co_ci_u32_e64 v25, null, v26, v9, vcc_lo
	global_store_dword v[24:25], v23, off
	global_load_dword v20, v[21:22], off offset:64
	s_waitcnt vmcnt(0)
	v_mad_u64_u32 v[26:27], null, v20, s9, v[2:3]
	global_store_dword v[24:25], v26, off offset:64
	global_load_dword v20, v[21:22], off offset:128
	s_waitcnt vmcnt(0)
	v_mad_u64_u32 v[26:27], null, v20, s9, v[1:2]
	global_store_dword v[24:25], v26, off offset:128
	;; [unrolled: 4-line block ×3, first 2 shown]
	s_andn2_b32 vcc_lo, exec_lo, s10
	s_cbranch_vccnz .LBB473_6
.LBB473_5:
	v_mad_u64_u32 v[20:21], null, v30, s12, 0
	s_lshl_b64 s[0:1], s[12:13], 6
	v_add3_u32 v21, v21, v19, v18
	v_lshlrev_b64 v[18:19], 2, v[20:21]
	v_add_co_u32 v20, vcc_lo, s6, v18
	v_add_co_ci_u32_e64 v21, null, s7, v19, vcc_lo
	v_add_co_u32 v18, vcc_lo, v20, v8
	v_add_co_ci_u32_e64 v19, null, v21, v9, vcc_lo
	v_add_co_u32 v20, vcc_lo, v20, s0
	v_add_co_ci_u32_e64 v21, null, s1, v21, vcc_lo
	global_store_dword v[18:19], v17, off
	global_store_dword v[18:19], v16, off offset:64
	global_store_dword v[18:19], v15, off offset:128
	;; [unrolled: 1-line block ×3, first 2 shown]
	v_add_co_u32 v14, vcc_lo, v20, v8
	v_add_co_ci_u32_e64 v15, null, v21, v9, vcc_lo
	v_add_co_u32 v16, vcc_lo, v20, s0
	v_add_co_ci_u32_e64 v17, null, s1, v21, vcc_lo
	global_store_dword v[14:15], v12, off
	global_store_dword v[14:15], v11, off offset:64
	global_store_dword v[14:15], v10, off offset:128
	;; [unrolled: 1-line block ×3, first 2 shown]
	v_add_co_u32 v12, vcc_lo, v16, s0
	v_add_co_ci_u32_e64 v13, null, s1, v17, vcc_lo
	v_add_co_u32 v10, vcc_lo, v16, v8
	v_add_co_ci_u32_e64 v11, null, v17, v9, vcc_lo
	;; [unrolled: 2-line block ×3, first 2 shown]
	global_store_dword v[10:11], v7, off
	global_store_dword v[10:11], v6, off offset:64
	global_store_dword v[10:11], v5, off offset:128
	;; [unrolled: 1-line block ×3, first 2 shown]
	global_store_dword v[8:9], v3, off
	global_store_dword v[8:9], v2, off offset:64
	global_store_dword v[8:9], v1, off offset:128
	global_store_dword v[8:9], v0, off offset:192
.LBB473_6:
	s_endpgm
.LBB473_7:
	s_branch .LBB473_5
	.section	.rodata,"a",@progbits
	.p2align	6, 0x0
	.amdhsa_kernel _ZN12_GLOBAL__N_127rocblas_gemm_batched_kernelIiLi16ELi16ELi64ELi64ELi4ELi64ELi4ELi4ELi64ELc78ELc78EKaKiiEEvlllT_PT11_llS5_llS3_PT12_llPT13_lli
		.amdhsa_group_segment_fixed_size 2048
		.amdhsa_private_segment_fixed_size 0
		.amdhsa_kernarg_size 140
		.amdhsa_user_sgpr_count 6
		.amdhsa_user_sgpr_private_segment_buffer 1
		.amdhsa_user_sgpr_dispatch_ptr 0
		.amdhsa_user_sgpr_queue_ptr 0
		.amdhsa_user_sgpr_kernarg_segment_ptr 1
		.amdhsa_user_sgpr_dispatch_id 0
		.amdhsa_user_sgpr_flat_scratch_init 0
		.amdhsa_user_sgpr_private_segment_size 0
		.amdhsa_wavefront_size32 1
		.amdhsa_uses_dynamic_stack 0
		.amdhsa_system_sgpr_private_segment_wavefront_offset 0
		.amdhsa_system_sgpr_workgroup_id_x 1
		.amdhsa_system_sgpr_workgroup_id_y 1
		.amdhsa_system_sgpr_workgroup_id_z 1
		.amdhsa_system_sgpr_workgroup_info 0
		.amdhsa_system_vgpr_workitem_id 1
		.amdhsa_next_free_vgpr 58
		.amdhsa_next_free_sgpr 28
		.amdhsa_reserve_vcc 1
		.amdhsa_reserve_flat_scratch 0
		.amdhsa_float_round_mode_32 0
		.amdhsa_float_round_mode_16_64 0
		.amdhsa_float_denorm_mode_32 3
		.amdhsa_float_denorm_mode_16_64 3
		.amdhsa_dx10_clamp 1
		.amdhsa_ieee_mode 1
		.amdhsa_fp16_overflow 0
		.amdhsa_workgroup_processor_mode 1
		.amdhsa_memory_ordered 1
		.amdhsa_forward_progress 1
		.amdhsa_shared_vgpr_count 0
		.amdhsa_exception_fp_ieee_invalid_op 0
		.amdhsa_exception_fp_denorm_src 0
		.amdhsa_exception_fp_ieee_div_zero 0
		.amdhsa_exception_fp_ieee_overflow 0
		.amdhsa_exception_fp_ieee_underflow 0
		.amdhsa_exception_fp_ieee_inexact 0
		.amdhsa_exception_int_div_zero 0
	.end_amdhsa_kernel
	.section	.text._ZN12_GLOBAL__N_127rocblas_gemm_batched_kernelIiLi16ELi16ELi64ELi64ELi4ELi64ELi4ELi4ELi64ELc78ELc78EKaKiiEEvlllT_PT11_llS5_llS3_PT12_llPT13_lli,"axG",@progbits,_ZN12_GLOBAL__N_127rocblas_gemm_batched_kernelIiLi16ELi16ELi64ELi64ELi4ELi64ELi4ELi4ELi64ELc78ELc78EKaKiiEEvlllT_PT11_llS5_llS3_PT12_llPT13_lli,comdat
.Lfunc_end473:
	.size	_ZN12_GLOBAL__N_127rocblas_gemm_batched_kernelIiLi16ELi16ELi64ELi64ELi4ELi64ELi4ELi4ELi64ELc78ELc78EKaKiiEEvlllT_PT11_llS5_llS3_PT12_llPT13_lli, .Lfunc_end473-_ZN12_GLOBAL__N_127rocblas_gemm_batched_kernelIiLi16ELi16ELi64ELi64ELi4ELi64ELi4ELi4ELi64ELc78ELc78EKaKiiEEvlllT_PT11_llS5_llS3_PT12_llPT13_lli
                                        ; -- End function
	.set _ZN12_GLOBAL__N_127rocblas_gemm_batched_kernelIiLi16ELi16ELi64ELi64ELi4ELi64ELi4ELi4ELi64ELc78ELc78EKaKiiEEvlllT_PT11_llS5_llS3_PT12_llPT13_lli.num_vgpr, 58
	.set _ZN12_GLOBAL__N_127rocblas_gemm_batched_kernelIiLi16ELi16ELi64ELi64ELi4ELi64ELi4ELi4ELi64ELc78ELc78EKaKiiEEvlllT_PT11_llS5_llS3_PT12_llPT13_lli.num_agpr, 0
	.set _ZN12_GLOBAL__N_127rocblas_gemm_batched_kernelIiLi16ELi16ELi64ELi64ELi4ELi64ELi4ELi4ELi64ELc78ELc78EKaKiiEEvlllT_PT11_llS5_llS3_PT12_llPT13_lli.numbered_sgpr, 28
	.set _ZN12_GLOBAL__N_127rocblas_gemm_batched_kernelIiLi16ELi16ELi64ELi64ELi4ELi64ELi4ELi4ELi64ELc78ELc78EKaKiiEEvlllT_PT11_llS5_llS3_PT12_llPT13_lli.num_named_barrier, 0
	.set _ZN12_GLOBAL__N_127rocblas_gemm_batched_kernelIiLi16ELi16ELi64ELi64ELi4ELi64ELi4ELi4ELi64ELc78ELc78EKaKiiEEvlllT_PT11_llS5_llS3_PT12_llPT13_lli.private_seg_size, 0
	.set _ZN12_GLOBAL__N_127rocblas_gemm_batched_kernelIiLi16ELi16ELi64ELi64ELi4ELi64ELi4ELi4ELi64ELc78ELc78EKaKiiEEvlllT_PT11_llS5_llS3_PT12_llPT13_lli.uses_vcc, 1
	.set _ZN12_GLOBAL__N_127rocblas_gemm_batched_kernelIiLi16ELi16ELi64ELi64ELi4ELi64ELi4ELi4ELi64ELc78ELc78EKaKiiEEvlllT_PT11_llS5_llS3_PT12_llPT13_lli.uses_flat_scratch, 0
	.set _ZN12_GLOBAL__N_127rocblas_gemm_batched_kernelIiLi16ELi16ELi64ELi64ELi4ELi64ELi4ELi4ELi64ELc78ELc78EKaKiiEEvlllT_PT11_llS5_llS3_PT12_llPT13_lli.has_dyn_sized_stack, 0
	.set _ZN12_GLOBAL__N_127rocblas_gemm_batched_kernelIiLi16ELi16ELi64ELi64ELi4ELi64ELi4ELi4ELi64ELc78ELc78EKaKiiEEvlllT_PT11_llS5_llS3_PT12_llPT13_lli.has_recursion, 0
	.set _ZN12_GLOBAL__N_127rocblas_gemm_batched_kernelIiLi16ELi16ELi64ELi64ELi4ELi64ELi4ELi4ELi64ELc78ELc78EKaKiiEEvlllT_PT11_llS5_llS3_PT12_llPT13_lli.has_indirect_call, 0
	.section	.AMDGPU.csdata,"",@progbits
; Kernel info:
; codeLenInByte = 2840
; TotalNumSgprs: 30
; NumVgprs: 58
; ScratchSize: 0
; MemoryBound: 0
; FloatMode: 240
; IeeeMode: 1
; LDSByteSize: 2048 bytes/workgroup (compile time only)
; SGPRBlocks: 0
; VGPRBlocks: 7
; NumSGPRsForWavesPerEU: 30
; NumVGPRsForWavesPerEU: 58
; Occupancy: 16
; WaveLimiterHint : 0
; COMPUTE_PGM_RSRC2:SCRATCH_EN: 0
; COMPUTE_PGM_RSRC2:USER_SGPR: 6
; COMPUTE_PGM_RSRC2:TRAP_HANDLER: 0
; COMPUTE_PGM_RSRC2:TGID_X_EN: 1
; COMPUTE_PGM_RSRC2:TGID_Y_EN: 1
; COMPUTE_PGM_RSRC2:TGID_Z_EN: 1
; COMPUTE_PGM_RSRC2:TIDIG_COMP_CNT: 1
	.section	.text._ZN12_GLOBAL__N_127rocblas_gemm_batched_kernelIiLi16ELi16ELi64ELi64ELi4ELi64ELi4ELi4ELi64ELc84ELc78EKaKiiEEvlllT_PT11_llS5_llS3_PT12_llPT13_lli,"axG",@progbits,_ZN12_GLOBAL__N_127rocblas_gemm_batched_kernelIiLi16ELi16ELi64ELi64ELi4ELi64ELi4ELi4ELi64ELc84ELc78EKaKiiEEvlllT_PT11_llS5_llS3_PT12_llPT13_lli,comdat
	.globl	_ZN12_GLOBAL__N_127rocblas_gemm_batched_kernelIiLi16ELi16ELi64ELi64ELi4ELi64ELi4ELi4ELi64ELc84ELc78EKaKiiEEvlllT_PT11_llS5_llS3_PT12_llPT13_lli ; -- Begin function _ZN12_GLOBAL__N_127rocblas_gemm_batched_kernelIiLi16ELi16ELi64ELi64ELi4ELi64ELi4ELi4ELi64ELc84ELc78EKaKiiEEvlllT_PT11_llS5_llS3_PT12_llPT13_lli
	.p2align	8
	.type	_ZN12_GLOBAL__N_127rocblas_gemm_batched_kernelIiLi16ELi16ELi64ELi64ELi4ELi64ELi4ELi4ELi64ELc84ELc78EKaKiiEEvlllT_PT11_llS5_llS3_PT12_llPT13_lli,@function
_ZN12_GLOBAL__N_127rocblas_gemm_batched_kernelIiLi16ELi16ELi64ELi64ELi4ELi64ELi4ELi4ELi64ELc84ELc78EKaKiiEEvlllT_PT11_llS5_llS3_PT12_llPT13_lli: ; @_ZN12_GLOBAL__N_127rocblas_gemm_batched_kernelIiLi16ELi16ELi64ELi64ELi4ELi64ELi4ELi4ELi64ELc84ELc78EKaKiiEEvlllT_PT11_llS5_llS3_PT12_llPT13_lli
; %bb.0:
	s_load_dwordx2 s[0:1], s[4:5], 0x10
	s_mov_b32 s2, s7
	v_mov_b32_e32 v11, 0
	v_mov_b32_e32 v14, 0
	;; [unrolled: 1-line block ×16, first 2 shown]
	s_ashr_i32 s7, s6, 31
	s_ashr_i32 s3, s2, 31
	s_waitcnt lgkmcnt(0)
	v_cmp_lt_i64_e64 s9, s[0:1], 1
	s_lshl_b64 s[10:11], s[6:7], 6
	s_lshl_b64 s[20:21], s[2:3], 6
	s_and_b32 vcc_lo, exec_lo, s9
	s_cbranch_vccnz .LBB474_3
; %bb.1:
	s_clause 0x1
	s_load_dwordx8 s[12:19], s[4:5], 0x20
	s_load_dwordx4 s[24:27], s[4:5], 0x40
	v_lshlrev_b32_e32 v11, 4, v1
	v_and_b32_e32 v12, 3, v0
	v_mov_b32_e32 v3, 0
	v_add_nc_u32_e32 v2, v11, v0
	v_lshlrev_b32_e32 v5, 2, v12
	v_mov_b32_e32 v29, v3
	v_mov_b32_e32 v28, v3
	;; [unrolled: 1-line block ×3, first 2 shown]
	v_lshrrev_b32_e32 v4, 2, v2
	v_and_b32_e32 v6, 63, v2
	v_lshrrev_b32_e32 v2, 6, v2
	v_mov_b32_e32 v26, v3
	v_mov_b32_e32 v25, v3
	v_add_co_u32 v9, s2, v4, s20
	v_add_co_ci_u32_e64 v10, null, 0, s21, s2
	v_lshlrev_b32_e32 v13, 2, v6
	s_waitcnt lgkmcnt(0)
	s_mul_i32 s3, s17, s8
	s_mul_hi_u32 s6, s16, s8
	s_mul_i32 s7, s16, s8
	s_mul_i32 s9, s27, s8
	s_mul_hi_u32 s16, s26, s8
	s_mul_i32 s2, s26, s8
	s_add_i32 s6, s6, s3
	s_add_i32 s3, s16, s9
	v_mul_lo_u32 v10, s24, v10
	v_mad_u64_u32 v[7:8], null, s24, v9, s[2:3]
	v_mul_lo_u32 v9, s25, v9
	v_lshl_or_b32 v5, v4, 4, v5
	v_lshl_or_b32 v4, v2, 8, v13
	v_add_co_u32 v13, s2, s10, v6
	v_add_co_ci_u32_e64 v14, null, s11, 0, s2
	v_add_co_u32 v7, vcc_lo, v7, v12
	v_add3_u32 v8, v9, v8, v10
	v_mad_u64_u32 v[9:10], null, s14, v13, v[2:3]
	v_mul_lo_u32 v14, s14, v14
	v_mul_lo_u32 v13, s15, v13
	v_add_co_ci_u32_e64 v8, null, 0, v8, vcc_lo
	v_add_co_u32 v7, vcc_lo, s18, v7
	s_add_u32 s2, s12, s7
	v_add_co_ci_u32_e64 v8, null, s19, v8, vcc_lo
	v_add3_u32 v10, v13, v10, v14
	s_addc_u32 s3, s13, s6
	v_add_co_u32 v9, vcc_lo, s2, v9
	v_add_nc_u32_e32 v5, 0x400, v5
	v_lshlrev_b32_e32 v6, 2, v0
	v_add_nc_u32_e32 v2, 0x400, v11
	v_add_co_ci_u32_e64 v10, null, s3, v10, vcc_lo
	v_mov_b32_e32 v24, v3
	v_mov_b32_e32 v23, v3
	;; [unrolled: 1-line block ×10, first 2 shown]
	s_mov_b64 s[2:3], 0
.LBB474_2:                              ; =>This Inner Loop Header: Depth=1
	v_add_co_u32 v15, vcc_lo, v9, s2
	v_add_co_ci_u32_e64 v16, null, s3, v10, vcc_lo
	global_load_sbyte v15, v[15:16], off
	s_waitcnt vmcnt(0)
	ds_write_b32 v4, v15
	v_add_co_u32 v15, vcc_lo, v7, s2
	v_add_co_ci_u32_e64 v16, null, s3, v8, vcc_lo
	s_add_u32 s2, s2, 4
	s_addc_u32 s3, s3, 0
	global_load_sbyte v15, v[15:16], off
	v_cmp_lt_i64_e64 s6, s[2:3], s[0:1]
	s_and_b32 vcc_lo, exec_lo, s6
	s_waitcnt vmcnt(0)
	ds_write_b32 v5, v15
	s_waitcnt lgkmcnt(0)
	s_barrier
	buffer_gl0_inv
	ds_read_b128 v[15:18], v2
	ds_read2_b32 v[42:43], v6 offset1:16
	ds_read_b128 v[30:33], v2 offset:256
	ds_read_b128 v[34:37], v2 offset:512
	;; [unrolled: 1-line block ×3, first 2 shown]
	ds_read2_b32 v[44:45], v6 offset0:32 offset1:48
	s_waitcnt lgkmcnt(4)
	v_mul_lo_u32 v46, v15, v42
	v_mul_lo_u32 v47, v15, v43
	s_waitcnt lgkmcnt(3)
	v_mul_lo_u32 v50, v30, v42
	v_mul_lo_u32 v51, v30, v43
	;; [unrolled: 3-line block ×4, first 2 shown]
	ds_read2_b32 v[42:43], v6 offset0:64 offset1:80
	s_waitcnt lgkmcnt(1)
	v_mul_lo_u32 v48, v15, v44
	v_mul_lo_u32 v49, v15, v45
	;; [unrolled: 1-line block ×8, first 2 shown]
	s_waitcnt lgkmcnt(0)
	v_mul_lo_u32 v15, v16, v42
	v_add3_u32 v45, v11, v46, v15
	v_mul_lo_u32 v11, v16, v43
	v_add3_u32 v46, v14, v47, v11
	ds_read2_b32 v[14:15], v6 offset0:96 offset1:112
	s_waitcnt lgkmcnt(0)
	v_mul_lo_u32 v11, v16, v14
	v_add3_u32 v47, v12, v48, v11
	v_mul_lo_u32 v11, v16, v15
	v_add3_u32 v48, v13, v49, v11
	;; [unrolled: 2-line block ×12, first 2 shown]
	v_mul_lo_u32 v11, v39, v14
	ds_read2_b32 v[13:14], v6 offset0:160 offset1:176
	v_add3_u32 v31, v29, v44, v11
	v_mul_lo_u32 v11, v39, v15
	ds_read2_b32 v[15:16], v6 offset0:192 offset1:208
	v_add3_u32 v3, v3, v38, v11
	ds_read2_b32 v[11:12], v6 offset0:128 offset1:144
	s_waitcnt lgkmcnt(2)
	v_mul_lo_u32 v34, v17, v13
	v_mul_lo_u32 v39, v32, v13
	;; [unrolled: 1-line block ×4, first 2 shown]
	s_waitcnt lgkmcnt(0)
	v_mul_lo_u32 v29, v17, v11
	v_mul_lo_u32 v30, v17, v12
	;; [unrolled: 1-line block ×14, first 2 shown]
	v_add3_u32 v11, v45, v29, v11
	v_add3_u32 v14, v46, v30, v12
	ds_read2_b32 v[29:30], v6 offset0:224 offset1:240
	s_waitcnt lgkmcnt(0)
	s_barrier
	buffer_gl0_inv
	v_mul_lo_u32 v13, v18, v30
	v_mul_lo_u32 v12, v18, v29
	v_add3_u32 v13, v48, v17, v13
	v_mul_lo_u32 v17, v33, v15
	v_add3_u32 v12, v47, v34, v12
	v_add3_u32 v20, v20, v35, v17
	v_mul_lo_u32 v17, v33, v16
	v_add3_u32 v21, v21, v38, v17
	v_mul_lo_u32 v17, v33, v29
	;; [unrolled: 2-line block ×4, first 2 shown]
	v_mul_lo_u32 v15, v41, v15
	v_add3_u32 v23, v23, v42, v17
	v_mul_lo_u32 v17, v37, v16
	v_add3_u32 v27, v27, v49, v15
	;; [unrolled: 2-line block ×7, first 2 shown]
	v_add3_u32 v3, v3, v40, v15
	s_cbranch_vccnz .LBB474_2
.LBB474_3:
	s_clause 0x3
	s_load_dwordx4 s[12:15], s[4:5], 0x78
	s_load_dword s16, s[4:5], 0x18
	s_load_dword s9, s[4:5], 0x50
	s_load_dwordx8 s[0:7], s[4:5], 0x58
	v_add_co_u32 v30, s17, s20, v1
	v_add_co_ci_u32_e64 v31, null, s21, 0, s17
	v_add_co_u32 v9, s10, s10, v0
	v_add_co_ci_u32_e64 v10, null, s11, 0, s10
	v_lshlrev_b64 v[9:10], 2, v[9:10]
	s_waitcnt lgkmcnt(0)
	s_mul_i32 s11, s15, s8
	s_mul_hi_u32 s15, s14, s8
	s_mul_i32 s10, s14, s8
	v_mul_lo_u32 v18, v11, s16
	v_mul_lo_u32 v17, v14, s16
	;; [unrolled: 1-line block ×7, first 2 shown]
	s_add_i32 s11, s15, s11
	v_mul_lo_u32 v14, v19, s16
	v_mul_lo_u32 v8, v23, s16
	;; [unrolled: 1-line block ×11, first 2 shown]
	s_lshl_b64 s[10:11], s[10:11], 2
	s_add_u32 s6, s6, s10
	s_addc_u32 s7, s7, s11
	s_cmp_eq_u32 s9, 0
	s_mov_b32 s10, 0
	s_cbranch_scc1 .LBB474_7
; %bb.4:
	v_mul_lo_u32 v22, v31, s2
	v_mul_lo_u32 v23, v30, s3
	v_mad_u64_u32 v[20:21], null, v30, s2, 0
	s_mul_i32 s5, s5, s8
	s_mul_hi_u32 s11, s4, s8
	s_mul_i32 s4, s4, s8
	s_add_i32 s5, s11, s5
	s_lshl_b64 s[4:5], s[4:5], 2
	v_add3_u32 v21, v21, v23, v22
	s_add_u32 s0, s0, s4
	s_addc_u32 s1, s1, s5
	v_mad_u64_u32 v[22:23], null, v30, s12, 0
	v_lshlrev_b64 v[20:21], 2, v[20:21]
	v_add3_u32 v23, v23, v19, v3
	v_add_co_u32 v27, vcc_lo, s0, v20
	v_add_co_ci_u32_e64 v28, null, s1, v21, vcc_lo
	v_lshlrev_b64 v[22:23], 2, v[22:23]
	v_add_co_u32 v20, vcc_lo, v27, v9
	v_add_co_ci_u32_e64 v21, null, v28, v10, vcc_lo
	s_lshl_b64 s[0:1], s[2:3], 6
	v_add_co_u32 v29, vcc_lo, s6, v22
	global_load_dword v24, v[20:21], off
	v_add_co_ci_u32_e64 v31, null, s7, v23, vcc_lo
	s_lshl_b64 s[2:3], s[12:13], 6
	s_waitcnt vmcnt(0)
	v_mad_u64_u32 v[22:23], null, v24, s9, v[18:19]
	v_add_co_u32 v23, vcc_lo, v29, v9
	v_add_co_ci_u32_e64 v24, null, v31, v10, vcc_lo
	v_add_co_u32 v32, vcc_lo, v27, s0
	v_add_co_ci_u32_e64 v28, null, s1, v28, vcc_lo
	global_store_dword v[23:24], v22, off
	global_load_dword v22, v[20:21], off offset:64
	s_waitcnt vmcnt(0)
	v_mad_u64_u32 v[25:26], null, v22, s9, v[17:18]
	global_store_dword v[23:24], v25, off offset:64
	global_load_dword v22, v[20:21], off offset:128
	s_waitcnt vmcnt(0)
	v_mad_u64_u32 v[25:26], null, v22, s9, v[16:17]
	global_store_dword v[23:24], v25, off offset:128
	global_load_dword v20, v[20:21], off offset:192
	s_waitcnt vmcnt(0)
	v_mad_u64_u32 v[20:21], null, v20, s9, v[15:16]
	v_add_co_u32 v21, vcc_lo, v32, v9
	v_add_co_ci_u32_e64 v22, null, v28, v10, vcc_lo
	v_add_co_u32 v29, vcc_lo, v29, s2
	global_store_dword v[23:24], v20, off offset:192
	global_load_dword v20, v[21:22], off
	v_add_co_ci_u32_e64 v31, null, s3, v31, vcc_lo
	s_waitcnt vmcnt(0)
	v_mad_u64_u32 v[23:24], null, v20, s9, v[13:14]
	v_add_co_u32 v24, vcc_lo, v29, v9
	v_add_co_ci_u32_e64 v25, null, v31, v10, vcc_lo
	v_add_co_u32 v32, vcc_lo, v32, s0
	v_add_co_ci_u32_e64 v28, null, s1, v28, vcc_lo
	global_store_dword v[24:25], v23, off
	global_load_dword v20, v[21:22], off offset:64
	s_waitcnt vmcnt(0)
	v_mad_u64_u32 v[26:27], null, v20, s9, v[12:13]
	global_store_dword v[24:25], v26, off offset:64
	global_load_dword v20, v[21:22], off offset:128
	s_waitcnt vmcnt(0)
	v_mad_u64_u32 v[26:27], null, v20, s9, v[11:12]
	global_store_dword v[24:25], v26, off offset:128
	global_load_dword v20, v[21:22], off offset:192
	s_waitcnt vmcnt(0)
	v_mad_u64_u32 v[20:21], null, v20, s9, v[14:15]
	v_add_co_u32 v21, vcc_lo, v32, v9
	v_add_co_ci_u32_e64 v22, null, v28, v10, vcc_lo
	v_add_co_u32 v29, vcc_lo, v29, s2
	global_store_dword v[24:25], v20, off offset:192
	global_load_dword v20, v[21:22], off
	v_add_co_ci_u32_e64 v31, null, s3, v31, vcc_lo
	s_waitcnt vmcnt(0)
	v_mad_u64_u32 v[23:24], null, v20, s9, v[8:9]
	v_add_co_u32 v24, vcc_lo, v29, v9
	v_add_co_ci_u32_e64 v25, null, v31, v10, vcc_lo
	global_store_dword v[24:25], v23, off
	global_load_dword v20, v[21:22], off offset:64
	s_waitcnt vmcnt(0)
	v_mad_u64_u32 v[26:27], null, v20, s9, v[7:8]
	global_store_dword v[24:25], v26, off offset:64
	global_load_dword v20, v[21:22], off offset:128
	s_waitcnt vmcnt(0)
	v_mad_u64_u32 v[26:27], null, v20, s9, v[6:7]
	global_store_dword v[24:25], v26, off offset:128
	global_load_dword v20, v[21:22], off offset:192
	v_add_co_u32 v22, vcc_lo, v32, s0
	v_add_co_ci_u32_e64 v23, null, s1, v28, vcc_lo
	s_waitcnt vmcnt(0)
	v_mad_u64_u32 v[20:21], null, v20, s9, v[5:6]
	v_add_co_u32 v21, vcc_lo, v22, v9
	v_add_co_ci_u32_e64 v22, null, v23, v10, vcc_lo
	global_store_dword v[24:25], v20, off offset:192
	global_load_dword v20, v[21:22], off
	v_add_co_u32 v25, vcc_lo, v29, s2
	v_add_co_ci_u32_e64 v26, null, s3, v31, vcc_lo
	s_waitcnt vmcnt(0)
	v_mad_u64_u32 v[23:24], null, v20, s9, v[4:5]
	v_add_co_u32 v24, vcc_lo, v25, v9
	v_add_co_ci_u32_e64 v25, null, v26, v10, vcc_lo
	global_store_dword v[24:25], v23, off
	global_load_dword v20, v[21:22], off offset:64
	s_waitcnt vmcnt(0)
	v_mad_u64_u32 v[26:27], null, v20, s9, v[2:3]
	global_store_dword v[24:25], v26, off offset:64
	global_load_dword v20, v[21:22], off offset:128
	s_waitcnt vmcnt(0)
	v_mad_u64_u32 v[26:27], null, v20, s9, v[1:2]
	global_store_dword v[24:25], v26, off offset:128
	;; [unrolled: 4-line block ×3, first 2 shown]
	s_andn2_b32 vcc_lo, exec_lo, s10
	s_cbranch_vccnz .LBB474_6
.LBB474_5:
	v_mad_u64_u32 v[20:21], null, v30, s12, 0
	s_lshl_b64 s[0:1], s[12:13], 6
	v_add3_u32 v21, v21, v19, v3
	v_lshlrev_b64 v[19:20], 2, v[20:21]
	v_add_co_u32 v3, vcc_lo, s6, v19
	v_add_co_ci_u32_e64 v21, null, s7, v20, vcc_lo
	v_add_co_u32 v19, vcc_lo, v3, v9
	v_add_co_ci_u32_e64 v20, null, v21, v10, vcc_lo
	;; [unrolled: 2-line block ×3, first 2 shown]
	global_store_dword v[19:20], v18, off
	global_store_dword v[19:20], v17, off offset:64
	global_store_dword v[19:20], v16, off offset:128
	global_store_dword v[19:20], v15, off offset:192
	v_add_co_u32 v15, vcc_lo, v3, v9
	v_add_co_ci_u32_e64 v16, null, v21, v10, vcc_lo
	v_add_co_u32 v3, vcc_lo, v3, s0
	v_add_co_ci_u32_e64 v17, null, s1, v21, vcc_lo
	global_store_dword v[15:16], v13, off
	global_store_dword v[15:16], v12, off offset:64
	global_store_dword v[15:16], v11, off offset:128
	;; [unrolled: 1-line block ×3, first 2 shown]
	v_add_co_u32 v13, vcc_lo, v3, s0
	v_add_co_ci_u32_e64 v14, null, s1, v17, vcc_lo
	v_add_co_u32 v11, vcc_lo, v3, v9
	v_add_co_ci_u32_e64 v12, null, v17, v10, vcc_lo
	;; [unrolled: 2-line block ×3, first 2 shown]
	global_store_dword v[11:12], v8, off
	global_store_dword v[11:12], v7, off offset:64
	global_store_dword v[11:12], v6, off offset:128
	;; [unrolled: 1-line block ×3, first 2 shown]
	global_store_dword v[9:10], v4, off
	global_store_dword v[9:10], v2, off offset:64
	global_store_dword v[9:10], v1, off offset:128
	;; [unrolled: 1-line block ×3, first 2 shown]
.LBB474_6:
	s_endpgm
.LBB474_7:
	s_branch .LBB474_5
	.section	.rodata,"a",@progbits
	.p2align	6, 0x0
	.amdhsa_kernel _ZN12_GLOBAL__N_127rocblas_gemm_batched_kernelIiLi16ELi16ELi64ELi64ELi4ELi64ELi4ELi4ELi64ELc84ELc78EKaKiiEEvlllT_PT11_llS5_llS3_PT12_llPT13_lli
		.amdhsa_group_segment_fixed_size 2048
		.amdhsa_private_segment_fixed_size 0
		.amdhsa_kernarg_size 140
		.amdhsa_user_sgpr_count 6
		.amdhsa_user_sgpr_private_segment_buffer 1
		.amdhsa_user_sgpr_dispatch_ptr 0
		.amdhsa_user_sgpr_queue_ptr 0
		.amdhsa_user_sgpr_kernarg_segment_ptr 1
		.amdhsa_user_sgpr_dispatch_id 0
		.amdhsa_user_sgpr_flat_scratch_init 0
		.amdhsa_user_sgpr_private_segment_size 0
		.amdhsa_wavefront_size32 1
		.amdhsa_uses_dynamic_stack 0
		.amdhsa_system_sgpr_private_segment_wavefront_offset 0
		.amdhsa_system_sgpr_workgroup_id_x 1
		.amdhsa_system_sgpr_workgroup_id_y 1
		.amdhsa_system_sgpr_workgroup_id_z 1
		.amdhsa_system_sgpr_workgroup_info 0
		.amdhsa_system_vgpr_workitem_id 1
		.amdhsa_next_free_vgpr 58
		.amdhsa_next_free_sgpr 28
		.amdhsa_reserve_vcc 1
		.amdhsa_reserve_flat_scratch 0
		.amdhsa_float_round_mode_32 0
		.amdhsa_float_round_mode_16_64 0
		.amdhsa_float_denorm_mode_32 3
		.amdhsa_float_denorm_mode_16_64 3
		.amdhsa_dx10_clamp 1
		.amdhsa_ieee_mode 1
		.amdhsa_fp16_overflow 0
		.amdhsa_workgroup_processor_mode 1
		.amdhsa_memory_ordered 1
		.amdhsa_forward_progress 1
		.amdhsa_shared_vgpr_count 0
		.amdhsa_exception_fp_ieee_invalid_op 0
		.amdhsa_exception_fp_denorm_src 0
		.amdhsa_exception_fp_ieee_div_zero 0
		.amdhsa_exception_fp_ieee_overflow 0
		.amdhsa_exception_fp_ieee_underflow 0
		.amdhsa_exception_fp_ieee_inexact 0
		.amdhsa_exception_int_div_zero 0
	.end_amdhsa_kernel
	.section	.text._ZN12_GLOBAL__N_127rocblas_gemm_batched_kernelIiLi16ELi16ELi64ELi64ELi4ELi64ELi4ELi4ELi64ELc84ELc78EKaKiiEEvlllT_PT11_llS5_llS3_PT12_llPT13_lli,"axG",@progbits,_ZN12_GLOBAL__N_127rocblas_gemm_batched_kernelIiLi16ELi16ELi64ELi64ELi4ELi64ELi4ELi4ELi64ELc84ELc78EKaKiiEEvlllT_PT11_llS5_llS3_PT12_llPT13_lli,comdat
.Lfunc_end474:
	.size	_ZN12_GLOBAL__N_127rocblas_gemm_batched_kernelIiLi16ELi16ELi64ELi64ELi4ELi64ELi4ELi4ELi64ELc84ELc78EKaKiiEEvlllT_PT11_llS5_llS3_PT12_llPT13_lli, .Lfunc_end474-_ZN12_GLOBAL__N_127rocblas_gemm_batched_kernelIiLi16ELi16ELi64ELi64ELi4ELi64ELi4ELi4ELi64ELc84ELc78EKaKiiEEvlllT_PT11_llS5_llS3_PT12_llPT13_lli
                                        ; -- End function
	.set _ZN12_GLOBAL__N_127rocblas_gemm_batched_kernelIiLi16ELi16ELi64ELi64ELi4ELi64ELi4ELi4ELi64ELc84ELc78EKaKiiEEvlllT_PT11_llS5_llS3_PT12_llPT13_lli.num_vgpr, 58
	.set _ZN12_GLOBAL__N_127rocblas_gemm_batched_kernelIiLi16ELi16ELi64ELi64ELi4ELi64ELi4ELi4ELi64ELc84ELc78EKaKiiEEvlllT_PT11_llS5_llS3_PT12_llPT13_lli.num_agpr, 0
	.set _ZN12_GLOBAL__N_127rocblas_gemm_batched_kernelIiLi16ELi16ELi64ELi64ELi4ELi64ELi4ELi4ELi64ELc84ELc78EKaKiiEEvlllT_PT11_llS5_llS3_PT12_llPT13_lli.numbered_sgpr, 28
	.set _ZN12_GLOBAL__N_127rocblas_gemm_batched_kernelIiLi16ELi16ELi64ELi64ELi4ELi64ELi4ELi4ELi64ELc84ELc78EKaKiiEEvlllT_PT11_llS5_llS3_PT12_llPT13_lli.num_named_barrier, 0
	.set _ZN12_GLOBAL__N_127rocblas_gemm_batched_kernelIiLi16ELi16ELi64ELi64ELi4ELi64ELi4ELi4ELi64ELc84ELc78EKaKiiEEvlllT_PT11_llS5_llS3_PT12_llPT13_lli.private_seg_size, 0
	.set _ZN12_GLOBAL__N_127rocblas_gemm_batched_kernelIiLi16ELi16ELi64ELi64ELi4ELi64ELi4ELi4ELi64ELc84ELc78EKaKiiEEvlllT_PT11_llS5_llS3_PT12_llPT13_lli.uses_vcc, 1
	.set _ZN12_GLOBAL__N_127rocblas_gemm_batched_kernelIiLi16ELi16ELi64ELi64ELi4ELi64ELi4ELi4ELi64ELc84ELc78EKaKiiEEvlllT_PT11_llS5_llS3_PT12_llPT13_lli.uses_flat_scratch, 0
	.set _ZN12_GLOBAL__N_127rocblas_gemm_batched_kernelIiLi16ELi16ELi64ELi64ELi4ELi64ELi4ELi4ELi64ELc84ELc78EKaKiiEEvlllT_PT11_llS5_llS3_PT12_llPT13_lli.has_dyn_sized_stack, 0
	.set _ZN12_GLOBAL__N_127rocblas_gemm_batched_kernelIiLi16ELi16ELi64ELi64ELi4ELi64ELi4ELi4ELi64ELc84ELc78EKaKiiEEvlllT_PT11_llS5_llS3_PT12_llPT13_lli.has_recursion, 0
	.set _ZN12_GLOBAL__N_127rocblas_gemm_batched_kernelIiLi16ELi16ELi64ELi64ELi4ELi64ELi4ELi4ELi64ELc84ELc78EKaKiiEEvlllT_PT11_llS5_llS3_PT12_llPT13_lli.has_indirect_call, 0
	.section	.AMDGPU.csdata,"",@progbits
; Kernel info:
; codeLenInByte = 2852
; TotalNumSgprs: 30
; NumVgprs: 58
; ScratchSize: 0
; MemoryBound: 0
; FloatMode: 240
; IeeeMode: 1
; LDSByteSize: 2048 bytes/workgroup (compile time only)
; SGPRBlocks: 0
; VGPRBlocks: 7
; NumSGPRsForWavesPerEU: 30
; NumVGPRsForWavesPerEU: 58
; Occupancy: 16
; WaveLimiterHint : 0
; COMPUTE_PGM_RSRC2:SCRATCH_EN: 0
; COMPUTE_PGM_RSRC2:USER_SGPR: 6
; COMPUTE_PGM_RSRC2:TRAP_HANDLER: 0
; COMPUTE_PGM_RSRC2:TGID_X_EN: 1
; COMPUTE_PGM_RSRC2:TGID_Y_EN: 1
; COMPUTE_PGM_RSRC2:TGID_Z_EN: 1
; COMPUTE_PGM_RSRC2:TIDIG_COMP_CNT: 1
	.section	.text._ZN12_GLOBAL__N_127rocblas_gemm_batched_kernelIiLi16ELi16ELi64ELi64ELi4ELi64ELi4ELi4ELi64ELc78ELc84EKaKiiEEvlllT_PT11_llS5_llS3_PT12_llPT13_lli,"axG",@progbits,_ZN12_GLOBAL__N_127rocblas_gemm_batched_kernelIiLi16ELi16ELi64ELi64ELi4ELi64ELi4ELi4ELi64ELc78ELc84EKaKiiEEvlllT_PT11_llS5_llS3_PT12_llPT13_lli,comdat
	.globl	_ZN12_GLOBAL__N_127rocblas_gemm_batched_kernelIiLi16ELi16ELi64ELi64ELi4ELi64ELi4ELi4ELi64ELc78ELc84EKaKiiEEvlllT_PT11_llS5_llS3_PT12_llPT13_lli ; -- Begin function _ZN12_GLOBAL__N_127rocblas_gemm_batched_kernelIiLi16ELi16ELi64ELi64ELi4ELi64ELi4ELi4ELi64ELc78ELc84EKaKiiEEvlllT_PT11_llS5_llS3_PT12_llPT13_lli
	.p2align	8
	.type	_ZN12_GLOBAL__N_127rocblas_gemm_batched_kernelIiLi16ELi16ELi64ELi64ELi4ELi64ELi4ELi4ELi64ELc78ELc84EKaKiiEEvlllT_PT11_llS5_llS3_PT12_llPT13_lli,@function
_ZN12_GLOBAL__N_127rocblas_gemm_batched_kernelIiLi16ELi16ELi64ELi64ELi4ELi64ELi4ELi4ELi64ELc78ELc84EKaKiiEEvlllT_PT11_llS5_llS3_PT12_llPT13_lli: ; @_ZN12_GLOBAL__N_127rocblas_gemm_batched_kernelIiLi16ELi16ELi64ELi64ELi4ELi64ELi4ELi4ELi64ELc78ELc84EKaKiiEEvlllT_PT11_llS5_llS3_PT12_llPT13_lli
; %bb.0:
	s_load_dwordx2 s[22:23], s[4:5], 0x10
	s_mov_b32 s0, s7
	v_mov_b32_e32 v13, 0
	v_mov_b32_e32 v15, 0
	;; [unrolled: 1-line block ×16, first 2 shown]
	s_ashr_i32 s7, s6, 31
	s_ashr_i32 s1, s0, 31
	s_waitcnt lgkmcnt(0)
	v_cmp_lt_i64_e64 s2, s[22:23], 1
	s_lshl_b64 s[10:11], s[6:7], 6
	s_lshl_b64 s[20:21], s[0:1], 6
	s_and_b32 vcc_lo, exec_lo, s2
	s_cbranch_vccnz .LBB475_3
; %bb.1:
	s_clause 0x1
	s_load_dwordx4 s[0:3], s[4:5], 0x40
	s_load_dwordx8 s[12:19], s[4:5], 0x20
	v_lshlrev_b32_e32 v2, 4, v1
	v_mov_b32_e32 v3, 0
	v_and_b32_e32 v13, 3, v0
	v_lshlrev_b32_e32 v8, 2, v0
	v_add_nc_u32_e32 v10, v2, v0
	v_add_nc_u32_e32 v9, 0x400, v2
	v_lshlrev_b32_e32 v15, 2, v13
	v_mov_b32_e32 v28, v3
	v_mov_b32_e32 v27, v3
	v_lshrrev_b32_e32 v2, 2, v10
	v_lshrrev_b32_e32 v18, 6, v10
	v_and_b32_e32 v29, 63, v10
	v_mov_b32_e32 v26, v3
	v_mov_b32_e32 v20, v3
	v_lshl_or_b32 v30, v2, 4, v15
	v_mov_b32_e32 v19, v3
	v_lshlrev_b32_e32 v10, 2, v29
	s_waitcnt lgkmcnt(0)
	v_mad_u64_u32 v[4:5], null, s2, s8, v[2:3]
	s_mul_i32 s2, s17, s8
	s_mul_hi_u32 s9, s16, s8
	s_mul_i32 s24, s16, s8
	s_lshl_b64 s[6:7], s[14:15], 2
	s_lshl_b64 s[16:17], s[0:1], 2
	s_add_i32 s9, s9, s2
	v_mad_u64_u32 v[5:6], null, s3, s8, v[5:6]
	s_add_u32 s18, s18, s20
	s_addc_u32 s19, s19, s21
	s_add_u32 s2, s10, s24
	s_addc_u32 s3, s11, s9
	v_lshl_or_b32 v2, v18, 8, v10
	v_mad_u64_u32 v[6:7], null, s14, v18, s[2:3]
	v_mad_u64_u32 v[16:17], null, s0, v13, v[4:5]
	v_mov_b32_e32 v22, v3
	v_mov_b32_e32 v21, v3
	;; [unrolled: 1-line block ×4, first 2 shown]
	v_mad_u64_u32 v[4:5], null, s15, v18, v[7:8]
	v_mov_b32_e32 v5, v17
	v_add_co_u32 v6, vcc_lo, v6, v29
	v_mov_b32_e32 v24, v3
	v_mov_b32_e32 v23, v3
	;; [unrolled: 1-line block ×3, first 2 shown]
	v_mad_u64_u32 v[17:18], null, s1, v13, v[5:6]
	v_add_co_ci_u32_e64 v7, null, 0, v4, vcc_lo
	v_add_co_u32 v4, vcc_lo, s12, v6
	v_mov_b32_e32 v12, v3
	v_add_co_ci_u32_e64 v5, null, s13, v7, vcc_lo
	v_add_co_u32 v6, vcc_lo, s18, v16
	v_mov_b32_e32 v15, v3
	v_add_nc_u32_e32 v10, 0x400, v30
	v_add_co_ci_u32_e64 v7, null, s19, v17, vcc_lo
	v_mov_b32_e32 v13, v3
	s_mov_b64 s[0:1], 0
.LBB475_2:                              ; =>This Inner Loop Header: Depth=1
	global_load_sbyte v16, v[4:5], off
	s_add_u32 s0, s0, 4
	s_addc_u32 s1, s1, 0
	v_cmp_lt_i64_e64 s2, s[0:1], s[22:23]
	s_waitcnt vmcnt(0)
	ds_write_b32 v2, v16
	global_load_sbyte v16, v[6:7], off
	v_add_co_u32 v6, vcc_lo, v6, s16
	v_add_co_ci_u32_e64 v7, null, s17, v7, vcc_lo
	v_add_co_u32 v4, vcc_lo, v4, s6
	v_add_co_ci_u32_e64 v5, null, s7, v5, vcc_lo
	s_and_b32 vcc_lo, exec_lo, s2
	s_waitcnt vmcnt(0)
	ds_write_b32 v10, v16
	s_waitcnt lgkmcnt(0)
	s_barrier
	buffer_gl0_inv
	ds_read_b128 v[29:32], v9
	ds_read2_b32 v[16:17], v8 offset1:16
	ds_read_b128 v[33:36], v9 offset:256
	ds_read_b128 v[37:40], v9 offset:512
	;; [unrolled: 1-line block ×3, first 2 shown]
	ds_read2_b32 v[45:46], v8 offset0:32 offset1:48
	s_waitcnt lgkmcnt(4)
	v_mul_lo_u32 v18, v29, v16
	v_mul_lo_u32 v47, v29, v17
	s_waitcnt lgkmcnt(3)
	v_mul_lo_u32 v49, v33, v16
	v_mul_lo_u32 v50, v33, v17
	;; [unrolled: 3-line block ×4, first 2 shown]
	ds_read2_b32 v[16:17], v8 offset0:64 offset1:80
	s_waitcnt lgkmcnt(1)
	v_mul_lo_u32 v48, v29, v45
	v_mul_lo_u32 v51, v33, v45
	;; [unrolled: 1-line block ×8, first 2 shown]
	s_waitcnt lgkmcnt(0)
	v_mul_lo_u32 v45, v30, v16
	v_add3_u32 v18, v13, v18, v45
	ds_read2_b32 v[45:46], v8 offset0:96 offset1:112
	v_mul_lo_u32 v13, v30, v17
	v_add3_u32 v15, v15, v47, v13
	s_waitcnt lgkmcnt(0)
	v_mul_lo_u32 v13, v30, v45
	v_add3_u32 v47, v12, v48, v13
	v_mul_lo_u32 v12, v30, v46
	v_add3_u32 v30, v11, v29, v12
	;; [unrolled: 2-line block ×6, first 2 shown]
	v_mul_lo_u32 v11, v38, v16
	ds_read2_b32 v[13:14], v8 offset0:160 offset1:176
	v_add3_u32 v21, v21, v52, v11
	v_mul_lo_u32 v11, v38, v17
	v_add3_u32 v22, v22, v53, v11
	v_mul_lo_u32 v11, v38, v45
	s_waitcnt lgkmcnt(0)
	v_mul_lo_u32 v48, v39, v13
	v_mul_lo_u32 v51, v43, v13
	v_add3_u32 v19, v19, v54, v11
	v_mul_lo_u32 v11, v38, v46
	v_add3_u32 v20, v20, v37, v11
	v_mul_lo_u32 v11, v42, v16
	v_mul_lo_u32 v37, v31, v13
	v_add3_u32 v26, v26, v55, v11
	v_mul_lo_u32 v11, v42, v17
	ds_read2_b32 v[16:17], v8 offset0:192 offset1:208
	v_add3_u32 v27, v27, v56, v11
	v_mul_lo_u32 v11, v42, v45
	v_add3_u32 v34, v28, v57, v11
	v_mul_lo_u32 v11, v42, v46
	v_mul_lo_u32 v42, v35, v13
	v_add3_u32 v3, v3, v41, v11
	ds_read2_b32 v[11:12], v8 offset0:128 offset1:144
	s_waitcnt lgkmcnt(0)
	v_mul_lo_u32 v28, v31, v11
	v_mul_lo_u32 v38, v35, v11
	;; [unrolled: 1-line block ×12, first 2 shown]
	v_add3_u32 v13, v18, v28, v11
	v_mul_lo_u32 v11, v32, v17
	v_mul_lo_u32 v43, v43, v14
	;; [unrolled: 1-line block ×5, first 2 shown]
	v_add3_u32 v15, v15, v29, v11
	ds_read2_b32 v[28:29], v8 offset0:224 offset1:240
	v_add3_u32 v23, v23, v38, v14
	v_mul_lo_u32 v14, v36, v17
	v_add3_u32 v21, v21, v45, v18
	v_mul_lo_u32 v18, v40, v17
	;; [unrolled: 2-line block ×3, first 2 shown]
	s_waitcnt lgkmcnt(0)
	s_barrier
	buffer_gl0_inv
	v_add3_u32 v24, v24, v41, v14
	v_add3_u32 v22, v22, v46, v18
	;; [unrolled: 1-line block ×3, first 2 shown]
	v_mul_lo_u32 v11, v32, v28
	v_mul_lo_u32 v14, v36, v28
	;; [unrolled: 1-line block ×4, first 2 shown]
	v_add3_u32 v12, v47, v37, v11
	v_mul_lo_u32 v11, v32, v29
	v_add3_u32 v25, v25, v42, v14
	v_mul_lo_u32 v14, v36, v29
	;; [unrolled: 2-line block ×4, first 2 shown]
	v_add3_u32 v11, v30, v31, v11
	v_add3_u32 v14, v33, v35, v14
	;; [unrolled: 1-line block ×4, first 2 shown]
	s_cbranch_vccnz .LBB475_2
.LBB475_3:
	s_clause 0x3
	s_load_dwordx4 s[12:15], s[4:5], 0x78
	s_load_dword s16, s[4:5], 0x18
	s_load_dword s9, s[4:5], 0x50
	s_load_dwordx8 s[0:7], s[4:5], 0x58
	v_add_co_u32 v29, s17, s20, v1
	v_add_co_ci_u32_e64 v30, null, s21, 0, s17
	v_add_co_u32 v9, s10, s10, v0
	v_add_co_ci_u32_e64 v10, null, s11, 0, s10
	v_lshlrev_b64 v[9:10], 2, v[9:10]
	s_waitcnt lgkmcnt(0)
	s_mul_i32 s11, s15, s8
	s_mul_hi_u32 s15, s14, s8
	s_mul_i32 s10, s14, s8
	v_mul_lo_u32 v18, v13, s16
	v_mul_lo_u32 v17, v15, s16
	;; [unrolled: 1-line block ×7, first 2 shown]
	s_add_i32 s11, s15, s11
	v_mul_lo_u32 v14, v14, s16
	v_mul_lo_u32 v8, v21, s16
	;; [unrolled: 1-line block ×11, first 2 shown]
	s_lshl_b64 s[10:11], s[10:11], 2
	s_add_u32 s6, s6, s10
	s_addc_u32 s7, s7, s11
	s_cmp_eq_u32 s9, 0
	s_mov_b32 s10, 0
	s_cbranch_scc1 .LBB475_7
; %bb.4:
	v_mul_lo_u32 v22, v30, s2
	v_mul_lo_u32 v23, v29, s3
	v_mad_u64_u32 v[20:21], null, v29, s2, 0
	s_mul_i32 s5, s5, s8
	s_mul_hi_u32 s11, s4, s8
	s_mul_i32 s4, s4, s8
	s_add_i32 s5, s11, s5
	s_lshl_b64 s[4:5], s[4:5], 2
	v_add3_u32 v21, v21, v23, v22
	s_add_u32 s0, s0, s4
	s_addc_u32 s1, s1, s5
	v_mad_u64_u32 v[22:23], null, v29, s12, 0
	v_lshlrev_b64 v[20:21], 2, v[20:21]
	v_add3_u32 v23, v23, v19, v3
	v_add_co_u32 v27, vcc_lo, s0, v20
	v_add_co_ci_u32_e64 v28, null, s1, v21, vcc_lo
	v_lshlrev_b64 v[22:23], 2, v[22:23]
	v_add_co_u32 v20, vcc_lo, v27, v9
	v_add_co_ci_u32_e64 v21, null, v28, v10, vcc_lo
	s_lshl_b64 s[0:1], s[2:3], 6
	v_add_co_u32 v30, vcc_lo, s6, v22
	global_load_dword v24, v[20:21], off
	v_add_co_ci_u32_e64 v31, null, s7, v23, vcc_lo
	s_lshl_b64 s[2:3], s[12:13], 6
	s_waitcnt vmcnt(0)
	v_mad_u64_u32 v[22:23], null, v24, s9, v[18:19]
	v_add_co_u32 v23, vcc_lo, v30, v9
	v_add_co_ci_u32_e64 v24, null, v31, v10, vcc_lo
	v_add_co_u32 v32, vcc_lo, v27, s0
	v_add_co_ci_u32_e64 v28, null, s1, v28, vcc_lo
	global_store_dword v[23:24], v22, off
	global_load_dword v22, v[20:21], off offset:64
	s_waitcnt vmcnt(0)
	v_mad_u64_u32 v[25:26], null, v22, s9, v[17:18]
	global_store_dword v[23:24], v25, off offset:64
	global_load_dword v22, v[20:21], off offset:128
	s_waitcnt vmcnt(0)
	v_mad_u64_u32 v[25:26], null, v22, s9, v[16:17]
	global_store_dword v[23:24], v25, off offset:128
	global_load_dword v20, v[20:21], off offset:192
	s_waitcnt vmcnt(0)
	v_mad_u64_u32 v[20:21], null, v20, s9, v[15:16]
	v_add_co_u32 v21, vcc_lo, v32, v9
	v_add_co_ci_u32_e64 v22, null, v28, v10, vcc_lo
	v_add_co_u32 v30, vcc_lo, v30, s2
	global_store_dword v[23:24], v20, off offset:192
	global_load_dword v20, v[21:22], off
	v_add_co_ci_u32_e64 v31, null, s3, v31, vcc_lo
	s_waitcnt vmcnt(0)
	v_mad_u64_u32 v[23:24], null, v20, s9, v[13:14]
	v_add_co_u32 v24, vcc_lo, v30, v9
	v_add_co_ci_u32_e64 v25, null, v31, v10, vcc_lo
	v_add_co_u32 v32, vcc_lo, v32, s0
	v_add_co_ci_u32_e64 v28, null, s1, v28, vcc_lo
	global_store_dword v[24:25], v23, off
	global_load_dword v20, v[21:22], off offset:64
	s_waitcnt vmcnt(0)
	v_mad_u64_u32 v[26:27], null, v20, s9, v[12:13]
	global_store_dword v[24:25], v26, off offset:64
	global_load_dword v20, v[21:22], off offset:128
	s_waitcnt vmcnt(0)
	v_mad_u64_u32 v[26:27], null, v20, s9, v[11:12]
	global_store_dword v[24:25], v26, off offset:128
	global_load_dword v20, v[21:22], off offset:192
	s_waitcnt vmcnt(0)
	v_mad_u64_u32 v[20:21], null, v20, s9, v[14:15]
	v_add_co_u32 v21, vcc_lo, v32, v9
	v_add_co_ci_u32_e64 v22, null, v28, v10, vcc_lo
	v_add_co_u32 v30, vcc_lo, v30, s2
	global_store_dword v[24:25], v20, off offset:192
	global_load_dword v20, v[21:22], off
	v_add_co_ci_u32_e64 v31, null, s3, v31, vcc_lo
	s_waitcnt vmcnt(0)
	v_mad_u64_u32 v[23:24], null, v20, s9, v[8:9]
	v_add_co_u32 v24, vcc_lo, v30, v9
	v_add_co_ci_u32_e64 v25, null, v31, v10, vcc_lo
	global_store_dword v[24:25], v23, off
	global_load_dword v20, v[21:22], off offset:64
	s_waitcnt vmcnt(0)
	v_mad_u64_u32 v[26:27], null, v20, s9, v[7:8]
	global_store_dword v[24:25], v26, off offset:64
	global_load_dword v20, v[21:22], off offset:128
	s_waitcnt vmcnt(0)
	v_mad_u64_u32 v[26:27], null, v20, s9, v[6:7]
	global_store_dword v[24:25], v26, off offset:128
	global_load_dword v20, v[21:22], off offset:192
	v_add_co_u32 v22, vcc_lo, v32, s0
	v_add_co_ci_u32_e64 v23, null, s1, v28, vcc_lo
	s_waitcnt vmcnt(0)
	v_mad_u64_u32 v[20:21], null, v20, s9, v[5:6]
	v_add_co_u32 v21, vcc_lo, v22, v9
	v_add_co_ci_u32_e64 v22, null, v23, v10, vcc_lo
	global_store_dword v[24:25], v20, off offset:192
	global_load_dword v20, v[21:22], off
	v_add_co_u32 v25, vcc_lo, v30, s2
	v_add_co_ci_u32_e64 v26, null, s3, v31, vcc_lo
	s_waitcnt vmcnt(0)
	v_mad_u64_u32 v[23:24], null, v20, s9, v[4:5]
	v_add_co_u32 v24, vcc_lo, v25, v9
	v_add_co_ci_u32_e64 v25, null, v26, v10, vcc_lo
	global_store_dword v[24:25], v23, off
	global_load_dword v20, v[21:22], off offset:64
	s_waitcnt vmcnt(0)
	v_mad_u64_u32 v[26:27], null, v20, s9, v[2:3]
	global_store_dword v[24:25], v26, off offset:64
	global_load_dword v20, v[21:22], off offset:128
	s_waitcnt vmcnt(0)
	v_mad_u64_u32 v[26:27], null, v20, s9, v[1:2]
	global_store_dword v[24:25], v26, off offset:128
	;; [unrolled: 4-line block ×3, first 2 shown]
	s_andn2_b32 vcc_lo, exec_lo, s10
	s_cbranch_vccnz .LBB475_6
.LBB475_5:
	v_mad_u64_u32 v[20:21], null, v29, s12, 0
	s_lshl_b64 s[0:1], s[12:13], 6
	v_add3_u32 v21, v21, v19, v3
	v_lshlrev_b64 v[19:20], 2, v[20:21]
	v_add_co_u32 v3, vcc_lo, s6, v19
	v_add_co_ci_u32_e64 v21, null, s7, v20, vcc_lo
	v_add_co_u32 v19, vcc_lo, v3, v9
	v_add_co_ci_u32_e64 v20, null, v21, v10, vcc_lo
	;; [unrolled: 2-line block ×3, first 2 shown]
	global_store_dword v[19:20], v18, off
	global_store_dword v[19:20], v17, off offset:64
	global_store_dword v[19:20], v16, off offset:128
	;; [unrolled: 1-line block ×3, first 2 shown]
	v_add_co_u32 v15, vcc_lo, v3, v9
	v_add_co_ci_u32_e64 v16, null, v21, v10, vcc_lo
	v_add_co_u32 v3, vcc_lo, v3, s0
	v_add_co_ci_u32_e64 v17, null, s1, v21, vcc_lo
	global_store_dword v[15:16], v13, off
	global_store_dword v[15:16], v12, off offset:64
	global_store_dword v[15:16], v11, off offset:128
	;; [unrolled: 1-line block ×3, first 2 shown]
	v_add_co_u32 v13, vcc_lo, v3, s0
	v_add_co_ci_u32_e64 v14, null, s1, v17, vcc_lo
	v_add_co_u32 v11, vcc_lo, v3, v9
	v_add_co_ci_u32_e64 v12, null, v17, v10, vcc_lo
	;; [unrolled: 2-line block ×3, first 2 shown]
	global_store_dword v[11:12], v8, off
	global_store_dword v[11:12], v7, off offset:64
	global_store_dword v[11:12], v6, off offset:128
	;; [unrolled: 1-line block ×3, first 2 shown]
	global_store_dword v[9:10], v4, off
	global_store_dword v[9:10], v2, off offset:64
	global_store_dword v[9:10], v1, off offset:128
	;; [unrolled: 1-line block ×3, first 2 shown]
.LBB475_6:
	s_endpgm
.LBB475_7:
	s_branch .LBB475_5
	.section	.rodata,"a",@progbits
	.p2align	6, 0x0
	.amdhsa_kernel _ZN12_GLOBAL__N_127rocblas_gemm_batched_kernelIiLi16ELi16ELi64ELi64ELi4ELi64ELi4ELi4ELi64ELc78ELc84EKaKiiEEvlllT_PT11_llS5_llS3_PT12_llPT13_lli
		.amdhsa_group_segment_fixed_size 2048
		.amdhsa_private_segment_fixed_size 0
		.amdhsa_kernarg_size 140
		.amdhsa_user_sgpr_count 6
		.amdhsa_user_sgpr_private_segment_buffer 1
		.amdhsa_user_sgpr_dispatch_ptr 0
		.amdhsa_user_sgpr_queue_ptr 0
		.amdhsa_user_sgpr_kernarg_segment_ptr 1
		.amdhsa_user_sgpr_dispatch_id 0
		.amdhsa_user_sgpr_flat_scratch_init 0
		.amdhsa_user_sgpr_private_segment_size 0
		.amdhsa_wavefront_size32 1
		.amdhsa_uses_dynamic_stack 0
		.amdhsa_system_sgpr_private_segment_wavefront_offset 0
		.amdhsa_system_sgpr_workgroup_id_x 1
		.amdhsa_system_sgpr_workgroup_id_y 1
		.amdhsa_system_sgpr_workgroup_id_z 1
		.amdhsa_system_sgpr_workgroup_info 0
		.amdhsa_system_vgpr_workitem_id 1
		.amdhsa_next_free_vgpr 58
		.amdhsa_next_free_sgpr 25
		.amdhsa_reserve_vcc 1
		.amdhsa_reserve_flat_scratch 0
		.amdhsa_float_round_mode_32 0
		.amdhsa_float_round_mode_16_64 0
		.amdhsa_float_denorm_mode_32 3
		.amdhsa_float_denorm_mode_16_64 3
		.amdhsa_dx10_clamp 1
		.amdhsa_ieee_mode 1
		.amdhsa_fp16_overflow 0
		.amdhsa_workgroup_processor_mode 1
		.amdhsa_memory_ordered 1
		.amdhsa_forward_progress 1
		.amdhsa_shared_vgpr_count 0
		.amdhsa_exception_fp_ieee_invalid_op 0
		.amdhsa_exception_fp_denorm_src 0
		.amdhsa_exception_fp_ieee_div_zero 0
		.amdhsa_exception_fp_ieee_overflow 0
		.amdhsa_exception_fp_ieee_underflow 0
		.amdhsa_exception_fp_ieee_inexact 0
		.amdhsa_exception_int_div_zero 0
	.end_amdhsa_kernel
	.section	.text._ZN12_GLOBAL__N_127rocblas_gemm_batched_kernelIiLi16ELi16ELi64ELi64ELi4ELi64ELi4ELi4ELi64ELc78ELc84EKaKiiEEvlllT_PT11_llS5_llS3_PT12_llPT13_lli,"axG",@progbits,_ZN12_GLOBAL__N_127rocblas_gemm_batched_kernelIiLi16ELi16ELi64ELi64ELi4ELi64ELi4ELi4ELi64ELc78ELc84EKaKiiEEvlllT_PT11_llS5_llS3_PT12_llPT13_lli,comdat
.Lfunc_end475:
	.size	_ZN12_GLOBAL__N_127rocblas_gemm_batched_kernelIiLi16ELi16ELi64ELi64ELi4ELi64ELi4ELi4ELi64ELc78ELc84EKaKiiEEvlllT_PT11_llS5_llS3_PT12_llPT13_lli, .Lfunc_end475-_ZN12_GLOBAL__N_127rocblas_gemm_batched_kernelIiLi16ELi16ELi64ELi64ELi4ELi64ELi4ELi4ELi64ELc78ELc84EKaKiiEEvlllT_PT11_llS5_llS3_PT12_llPT13_lli
                                        ; -- End function
	.set _ZN12_GLOBAL__N_127rocblas_gemm_batched_kernelIiLi16ELi16ELi64ELi64ELi4ELi64ELi4ELi4ELi64ELc78ELc84EKaKiiEEvlllT_PT11_llS5_llS3_PT12_llPT13_lli.num_vgpr, 58
	.set _ZN12_GLOBAL__N_127rocblas_gemm_batched_kernelIiLi16ELi16ELi64ELi64ELi4ELi64ELi4ELi4ELi64ELc78ELc84EKaKiiEEvlllT_PT11_llS5_llS3_PT12_llPT13_lli.num_agpr, 0
	.set _ZN12_GLOBAL__N_127rocblas_gemm_batched_kernelIiLi16ELi16ELi64ELi64ELi4ELi64ELi4ELi4ELi64ELc78ELc84EKaKiiEEvlllT_PT11_llS5_llS3_PT12_llPT13_lli.numbered_sgpr, 25
	.set _ZN12_GLOBAL__N_127rocblas_gemm_batched_kernelIiLi16ELi16ELi64ELi64ELi4ELi64ELi4ELi4ELi64ELc78ELc84EKaKiiEEvlllT_PT11_llS5_llS3_PT12_llPT13_lli.num_named_barrier, 0
	.set _ZN12_GLOBAL__N_127rocblas_gemm_batched_kernelIiLi16ELi16ELi64ELi64ELi4ELi64ELi4ELi4ELi64ELc78ELc84EKaKiiEEvlllT_PT11_llS5_llS3_PT12_llPT13_lli.private_seg_size, 0
	.set _ZN12_GLOBAL__N_127rocblas_gemm_batched_kernelIiLi16ELi16ELi64ELi64ELi4ELi64ELi4ELi4ELi64ELc78ELc84EKaKiiEEvlllT_PT11_llS5_llS3_PT12_llPT13_lli.uses_vcc, 1
	.set _ZN12_GLOBAL__N_127rocblas_gemm_batched_kernelIiLi16ELi16ELi64ELi64ELi4ELi64ELi4ELi4ELi64ELc78ELc84EKaKiiEEvlllT_PT11_llS5_llS3_PT12_llPT13_lli.uses_flat_scratch, 0
	.set _ZN12_GLOBAL__N_127rocblas_gemm_batched_kernelIiLi16ELi16ELi64ELi64ELi4ELi64ELi4ELi4ELi64ELc78ELc84EKaKiiEEvlllT_PT11_llS5_llS3_PT12_llPT13_lli.has_dyn_sized_stack, 0
	.set _ZN12_GLOBAL__N_127rocblas_gemm_batched_kernelIiLi16ELi16ELi64ELi64ELi4ELi64ELi4ELi4ELi64ELc78ELc84EKaKiiEEvlllT_PT11_llS5_llS3_PT12_llPT13_lli.has_recursion, 0
	.set _ZN12_GLOBAL__N_127rocblas_gemm_batched_kernelIiLi16ELi16ELi64ELi64ELi4ELi64ELi4ELi4ELi64ELc78ELc84EKaKiiEEvlllT_PT11_llS5_llS3_PT12_llPT13_lli.has_indirect_call, 0
	.section	.AMDGPU.csdata,"",@progbits
; Kernel info:
; codeLenInByte = 2808
; TotalNumSgprs: 27
; NumVgprs: 58
; ScratchSize: 0
; MemoryBound: 0
; FloatMode: 240
; IeeeMode: 1
; LDSByteSize: 2048 bytes/workgroup (compile time only)
; SGPRBlocks: 0
; VGPRBlocks: 7
; NumSGPRsForWavesPerEU: 27
; NumVGPRsForWavesPerEU: 58
; Occupancy: 16
; WaveLimiterHint : 0
; COMPUTE_PGM_RSRC2:SCRATCH_EN: 0
; COMPUTE_PGM_RSRC2:USER_SGPR: 6
; COMPUTE_PGM_RSRC2:TRAP_HANDLER: 0
; COMPUTE_PGM_RSRC2:TGID_X_EN: 1
; COMPUTE_PGM_RSRC2:TGID_Y_EN: 1
; COMPUTE_PGM_RSRC2:TGID_Z_EN: 1
; COMPUTE_PGM_RSRC2:TIDIG_COMP_CNT: 1
	.section	.text._ZN12_GLOBAL__N_127rocblas_gemm_batched_kernelIiLi16ELi16ELi64ELi64ELi4ELi64ELi4ELi4ELi64ELc84ELc84EKaKiiEEvlllT_PT11_llS5_llS3_PT12_llPT13_lli,"axG",@progbits,_ZN12_GLOBAL__N_127rocblas_gemm_batched_kernelIiLi16ELi16ELi64ELi64ELi4ELi64ELi4ELi4ELi64ELc84ELc84EKaKiiEEvlllT_PT11_llS5_llS3_PT12_llPT13_lli,comdat
	.globl	_ZN12_GLOBAL__N_127rocblas_gemm_batched_kernelIiLi16ELi16ELi64ELi64ELi4ELi64ELi4ELi4ELi64ELc84ELc84EKaKiiEEvlllT_PT11_llS5_llS3_PT12_llPT13_lli ; -- Begin function _ZN12_GLOBAL__N_127rocblas_gemm_batched_kernelIiLi16ELi16ELi64ELi64ELi4ELi64ELi4ELi4ELi64ELc84ELc84EKaKiiEEvlllT_PT11_llS5_llS3_PT12_llPT13_lli
	.p2align	8
	.type	_ZN12_GLOBAL__N_127rocblas_gemm_batched_kernelIiLi16ELi16ELi64ELi64ELi4ELi64ELi4ELi4ELi64ELc84ELc84EKaKiiEEvlllT_PT11_llS5_llS3_PT12_llPT13_lli,@function
_ZN12_GLOBAL__N_127rocblas_gemm_batched_kernelIiLi16ELi16ELi64ELi64ELi4ELi64ELi4ELi4ELi64ELc84ELc84EKaKiiEEvlllT_PT11_llS5_llS3_PT12_llPT13_lli: ; @_ZN12_GLOBAL__N_127rocblas_gemm_batched_kernelIiLi16ELi16ELi64ELi64ELi4ELi64ELi4ELi4ELi64ELc84ELc84EKaKiiEEvlllT_PT11_llS5_llS3_PT12_llPT13_lli
; %bb.0:
	s_load_dwordx2 s[22:23], s[4:5], 0x10
	s_mov_b32 s0, s7
	v_mov_b32_e32 v15, 0
	v_mov_b32_e32 v11, 0
	;; [unrolled: 1-line block ×16, first 2 shown]
	s_ashr_i32 s7, s6, 31
	s_ashr_i32 s1, s0, 31
	s_waitcnt lgkmcnt(0)
	v_cmp_lt_i64_e64 s2, s[22:23], 1
	s_lshl_b64 s[10:11], s[6:7], 6
	s_lshl_b64 s[20:21], s[0:1], 6
	s_and_b32 vcc_lo, exec_lo, s2
	s_cbranch_vccnz .LBB476_3
; %bb.1:
	s_load_dwordx4 s[0:3], s[4:5], 0x40
	v_lshlrev_b32_e32 v2, 4, v1
	v_mov_b32_e32 v3, 0
	s_load_dwordx8 s[12:19], s[4:5], 0x20
	v_and_b32_e32 v17, 3, v0
	v_lshlrev_b32_e32 v6, 2, v0
	v_add_nc_u32_e32 v4, v2, v0
	v_add_nc_u32_e32 v7, 0x400, v2
	v_mov_b32_e32 v9, v3
	v_lshlrev_b32_e32 v18, 2, v17
	v_mov_b32_e32 v5, v3
	v_lshrrev_b32_e32 v2, 2, v4
	v_and_b32_e32 v29, 63, v4
	v_lshrrev_b32_e32 v4, 6, v4
	v_mov_b32_e32 v28, v3
	v_mov_b32_e32 v27, v3
	;; [unrolled: 1-line block ×3, first 2 shown]
	v_lshlrev_b32_e32 v30, 2, v29
	v_mov_b32_e32 v22, v3
	v_mov_b32_e32 v25, v3
	s_waitcnt lgkmcnt(0)
	v_mad_u64_u32 v[12:13], null, s2, s8, v[2:3]
	v_mov_b32_e32 v24, v3
	s_mul_i32 s6, s17, s8
	s_mul_hi_u32 s7, s16, s8
	s_mul_i32 s9, s16, s8
	s_add_i32 s7, s7, s6
	v_mov_b32_e32 v23, v3
	v_mov_b32_e32 v8, v13
	;; [unrolled: 1-line block ×6, first 2 shown]
	v_mad_u64_u32 v[15:16], null, s3, s8, v[8:9]
	v_lshl_or_b32 v8, v2, 4, v18
	v_add_co_u32 v18, s2, s10, v29
	v_add_co_ci_u32_e64 v29, null, s11, 0, s2
	v_lshl_or_b32 v2, v4, 8, v30
	v_mov_b32_e32 v13, v15
	v_mad_u64_u32 v[4:5], null, s14, v18, v[4:5]
	v_mul_lo_u32 v18, s15, v18
	s_lshl_b64 s[2:3], s[0:1], 2
	v_mad_u64_u32 v[15:16], null, s0, v17, v[12:13]
	v_mul_lo_u32 v13, s14, v29
	s_add_u32 s0, s18, s20
	s_addc_u32 s6, s19, s21
	s_add_u32 s9, s12, s9
	s_addc_u32 s7, s13, s7
	v_mov_b32_e32 v10, v3
	v_mov_b32_e32 v12, v16
	;; [unrolled: 1-line block ×3, first 2 shown]
	v_add3_u32 v5, v18, v5, v13
	v_add_nc_u32_e32 v8, 0x400, v8
	v_mad_u64_u32 v[16:17], null, s1, v17, v[12:13]
	v_add_co_u32 v12, vcc_lo, s9, v4
	v_add_co_ci_u32_e64 v13, null, s7, v5, vcc_lo
	v_add_co_u32 v4, vcc_lo, s0, v15
	v_add_co_ci_u32_e64 v5, null, s6, v16, vcc_lo
	v_mov_b32_e32 v15, v3
	s_mov_b64 s[0:1], 0
.LBB476_2:                              ; =>This Inner Loop Header: Depth=1
	v_add_co_u32 v16, vcc_lo, v12, s0
	v_add_co_ci_u32_e64 v17, null, s1, v13, vcc_lo
	s_add_u32 s0, s0, 4
	s_addc_u32 s1, s1, 0
	v_cmp_lt_i64_e64 s6, s[0:1], s[22:23]
	global_load_sbyte v16, v[16:17], off
	s_waitcnt vmcnt(0)
	ds_write_b32 v2, v16
	global_load_sbyte v16, v[4:5], off
	v_add_co_u32 v4, vcc_lo, v4, s2
	v_add_co_ci_u32_e64 v5, null, s3, v5, vcc_lo
	s_and_b32 vcc_lo, exec_lo, s6
	s_waitcnt vmcnt(0)
	ds_write_b32 v8, v16
	s_waitcnt lgkmcnt(0)
	s_barrier
	buffer_gl0_inv
	ds_read_b128 v[29:32], v7
	ds_read2_b32 v[16:17], v6 offset1:16
	ds_read_b128 v[33:36], v7 offset:256
	ds_read_b128 v[37:40], v7 offset:512
	;; [unrolled: 1-line block ×3, first 2 shown]
	ds_read2_b32 v[45:46], v6 offset0:32 offset1:48
	s_waitcnt lgkmcnt(4)
	v_mul_lo_u32 v18, v29, v16
	v_mul_lo_u32 v47, v29, v17
	s_waitcnt lgkmcnt(3)
	v_mul_lo_u32 v49, v33, v16
	v_mul_lo_u32 v50, v33, v17
	;; [unrolled: 3-line block ×4, first 2 shown]
	ds_read2_b32 v[16:17], v6 offset0:64 offset1:80
	s_waitcnt lgkmcnt(1)
	v_mul_lo_u32 v48, v29, v45
	v_mul_lo_u32 v51, v33, v45
	;; [unrolled: 1-line block ×8, first 2 shown]
	s_waitcnt lgkmcnt(0)
	v_mul_lo_u32 v45, v30, v16
	v_add3_u32 v18, v15, v18, v45
	ds_read2_b32 v[45:46], v6 offset0:96 offset1:112
	v_mul_lo_u32 v15, v30, v17
	v_add3_u32 v11, v11, v47, v15
	s_waitcnt lgkmcnt(0)
	v_mul_lo_u32 v15, v30, v45
	v_add3_u32 v47, v10, v48, v15
	v_mul_lo_u32 v10, v30, v46
	v_add3_u32 v30, v9, v29, v10
	;; [unrolled: 2-line block ×6, first 2 shown]
	v_mul_lo_u32 v9, v38, v16
	ds_read2_b32 v[14:15], v6 offset0:160 offset1:176
	v_add3_u32 v23, v23, v52, v9
	v_mul_lo_u32 v9, v38, v17
	v_add3_u32 v24, v24, v53, v9
	v_mul_lo_u32 v9, v38, v45
	s_waitcnt lgkmcnt(0)
	v_mul_lo_u32 v48, v39, v14
	v_mul_lo_u32 v51, v43, v14
	v_add3_u32 v25, v25, v54, v9
	v_mul_lo_u32 v9, v38, v46
	v_add3_u32 v22, v22, v37, v9
	v_mul_lo_u32 v9, v42, v16
	v_mul_lo_u32 v37, v31, v14
	v_add3_u32 v26, v26, v55, v9
	v_mul_lo_u32 v9, v42, v17
	ds_read2_b32 v[16:17], v6 offset0:192 offset1:208
	v_add3_u32 v27, v27, v56, v9
	v_mul_lo_u32 v9, v42, v45
	v_add3_u32 v34, v28, v57, v9
	v_mul_lo_u32 v9, v42, v46
	v_mul_lo_u32 v42, v35, v14
	s_waitcnt lgkmcnt(0)
	v_mul_lo_u32 v14, v36, v16
	v_add3_u32 v3, v3, v41, v9
	ds_read2_b32 v[9:10], v6 offset0:128 offset1:144
	s_waitcnt lgkmcnt(0)
	v_mul_lo_u32 v28, v31, v9
	v_mul_lo_u32 v38, v35, v9
	;; [unrolled: 1-line block ×13, first 2 shown]
	v_add3_u32 v15, v18, v28, v9
	v_mul_lo_u32 v9, v32, v17
	v_mul_lo_u32 v18, v40, v16
	;; [unrolled: 1-line block ×3, first 2 shown]
	v_add3_u32 v19, v19, v38, v14
	v_mul_lo_u32 v14, v36, v17
	v_add3_u32 v11, v11, v29, v9
	ds_read2_b32 v[28:29], v6 offset0:224 offset1:240
	v_add3_u32 v23, v23, v45, v18
	v_mul_lo_u32 v18, v40, v17
	v_add3_u32 v26, v26, v49, v16
	v_mul_lo_u32 v16, v44, v17
	v_add3_u32 v20, v20, v41, v14
	s_waitcnt lgkmcnt(0)
	s_barrier
	buffer_gl0_inv
	v_add3_u32 v24, v24, v46, v18
	v_add3_u32 v27, v27, v50, v16
	v_mul_lo_u32 v9, v32, v28
	v_mul_lo_u32 v14, v36, v28
	;; [unrolled: 1-line block ×4, first 2 shown]
	v_add3_u32 v10, v47, v37, v9
	v_mul_lo_u32 v9, v32, v29
	v_add3_u32 v21, v21, v42, v14
	v_mul_lo_u32 v14, v36, v29
	v_add3_u32 v25, v25, v48, v18
	v_mul_lo_u32 v18, v40, v29
	v_add3_u32 v28, v34, v51, v16
	v_mul_lo_u32 v16, v44, v29
	v_add3_u32 v9, v30, v31, v9
	v_add3_u32 v14, v33, v35, v14
	;; [unrolled: 1-line block ×4, first 2 shown]
	s_cbranch_vccnz .LBB476_2
.LBB476_3:
	s_clause 0x3
	s_load_dwordx4 s[12:15], s[4:5], 0x78
	s_load_dword s16, s[4:5], 0x18
	s_load_dword s9, s[4:5], 0x50
	s_load_dwordx8 s[0:7], s[4:5], 0x58
	v_add_co_u32 v29, s17, s20, v1
	v_add_co_ci_u32_e64 v30, null, s21, 0, s17
	v_add_co_u32 v31, s10, s10, v0
	v_add_co_ci_u32_e64 v32, null, s11, 0, s10
	s_waitcnt lgkmcnt(0)
	s_mul_i32 s11, s15, s8
	s_mul_hi_u32 s15, s14, s8
	s_mul_i32 s10, s14, s8
	v_mul_lo_u32 v18, v15, s16
	v_mul_lo_u32 v17, v11, s16
	;; [unrolled: 1-line block ×7, first 2 shown]
	s_add_i32 s11, s15, s11
	v_mul_lo_u32 v14, v14, s16
	v_mul_lo_u32 v8, v23, s16
	;; [unrolled: 1-line block ×11, first 2 shown]
	s_lshl_b64 s[10:11], s[10:11], 2
	v_lshlrev_b64 v[9:10], 2, v[31:32]
	s_add_u32 s6, s6, s10
	s_addc_u32 s7, s7, s11
	s_cmp_eq_u32 s9, 0
	s_mov_b32 s10, 0
	s_cbranch_scc1 .LBB476_7
; %bb.4:
	v_mul_lo_u32 v22, v30, s2
	v_mul_lo_u32 v23, v29, s3
	v_mad_u64_u32 v[20:21], null, v29, s2, 0
	s_mul_i32 s5, s5, s8
	s_mul_hi_u32 s11, s4, s8
	s_mul_i32 s4, s4, s8
	s_add_i32 s5, s11, s5
	s_lshl_b64 s[4:5], s[4:5], 2
	v_add3_u32 v21, v21, v23, v22
	s_add_u32 s0, s0, s4
	s_addc_u32 s1, s1, s5
	v_mad_u64_u32 v[22:23], null, v29, s12, 0
	v_lshlrev_b64 v[20:21], 2, v[20:21]
	v_add3_u32 v23, v23, v19, v3
	v_add_co_u32 v27, vcc_lo, s0, v20
	v_add_co_ci_u32_e64 v28, null, s1, v21, vcc_lo
	v_lshlrev_b64 v[22:23], 2, v[22:23]
	v_add_co_u32 v20, vcc_lo, v27, v9
	v_add_co_ci_u32_e64 v21, null, v28, v10, vcc_lo
	s_lshl_b64 s[0:1], s[2:3], 6
	v_add_co_u32 v30, vcc_lo, s6, v22
	global_load_dword v24, v[20:21], off
	v_add_co_ci_u32_e64 v31, null, s7, v23, vcc_lo
	s_lshl_b64 s[2:3], s[12:13], 6
	s_waitcnt vmcnt(0)
	v_mad_u64_u32 v[22:23], null, v24, s9, v[18:19]
	v_add_co_u32 v23, vcc_lo, v30, v9
	v_add_co_ci_u32_e64 v24, null, v31, v10, vcc_lo
	v_add_co_u32 v32, vcc_lo, v27, s0
	v_add_co_ci_u32_e64 v28, null, s1, v28, vcc_lo
	global_store_dword v[23:24], v22, off
	global_load_dword v22, v[20:21], off offset:64
	s_waitcnt vmcnt(0)
	v_mad_u64_u32 v[25:26], null, v22, s9, v[17:18]
	global_store_dword v[23:24], v25, off offset:64
	global_load_dword v22, v[20:21], off offset:128
	s_waitcnt vmcnt(0)
	v_mad_u64_u32 v[25:26], null, v22, s9, v[16:17]
	global_store_dword v[23:24], v25, off offset:128
	global_load_dword v20, v[20:21], off offset:192
	s_waitcnt vmcnt(0)
	v_mad_u64_u32 v[20:21], null, v20, s9, v[15:16]
	v_add_co_u32 v21, vcc_lo, v32, v9
	v_add_co_ci_u32_e64 v22, null, v28, v10, vcc_lo
	v_add_co_u32 v30, vcc_lo, v30, s2
	global_store_dword v[23:24], v20, off offset:192
	global_load_dword v20, v[21:22], off
	v_add_co_ci_u32_e64 v31, null, s3, v31, vcc_lo
	s_waitcnt vmcnt(0)
	v_mad_u64_u32 v[23:24], null, v20, s9, v[13:14]
	v_add_co_u32 v24, vcc_lo, v30, v9
	v_add_co_ci_u32_e64 v25, null, v31, v10, vcc_lo
	v_add_co_u32 v32, vcc_lo, v32, s0
	v_add_co_ci_u32_e64 v28, null, s1, v28, vcc_lo
	global_store_dword v[24:25], v23, off
	global_load_dword v20, v[21:22], off offset:64
	s_waitcnt vmcnt(0)
	v_mad_u64_u32 v[26:27], null, v20, s9, v[12:13]
	global_store_dword v[24:25], v26, off offset:64
	global_load_dword v20, v[21:22], off offset:128
	s_waitcnt vmcnt(0)
	v_mad_u64_u32 v[26:27], null, v20, s9, v[11:12]
	global_store_dword v[24:25], v26, off offset:128
	global_load_dword v20, v[21:22], off offset:192
	s_waitcnt vmcnt(0)
	v_mad_u64_u32 v[20:21], null, v20, s9, v[14:15]
	v_add_co_u32 v21, vcc_lo, v32, v9
	v_add_co_ci_u32_e64 v22, null, v28, v10, vcc_lo
	v_add_co_u32 v30, vcc_lo, v30, s2
	global_store_dword v[24:25], v20, off offset:192
	global_load_dword v20, v[21:22], off
	v_add_co_ci_u32_e64 v31, null, s3, v31, vcc_lo
	s_waitcnt vmcnt(0)
	v_mad_u64_u32 v[23:24], null, v20, s9, v[8:9]
	v_add_co_u32 v24, vcc_lo, v30, v9
	v_add_co_ci_u32_e64 v25, null, v31, v10, vcc_lo
	global_store_dword v[24:25], v23, off
	global_load_dword v20, v[21:22], off offset:64
	s_waitcnt vmcnt(0)
	v_mad_u64_u32 v[26:27], null, v20, s9, v[7:8]
	global_store_dword v[24:25], v26, off offset:64
	global_load_dword v20, v[21:22], off offset:128
	s_waitcnt vmcnt(0)
	v_mad_u64_u32 v[26:27], null, v20, s9, v[6:7]
	global_store_dword v[24:25], v26, off offset:128
	global_load_dword v20, v[21:22], off offset:192
	v_add_co_u32 v22, vcc_lo, v32, s0
	v_add_co_ci_u32_e64 v23, null, s1, v28, vcc_lo
	s_waitcnt vmcnt(0)
	v_mad_u64_u32 v[20:21], null, v20, s9, v[5:6]
	v_add_co_u32 v21, vcc_lo, v22, v9
	v_add_co_ci_u32_e64 v22, null, v23, v10, vcc_lo
	global_store_dword v[24:25], v20, off offset:192
	global_load_dword v20, v[21:22], off
	v_add_co_u32 v25, vcc_lo, v30, s2
	v_add_co_ci_u32_e64 v26, null, s3, v31, vcc_lo
	s_waitcnt vmcnt(0)
	v_mad_u64_u32 v[23:24], null, v20, s9, v[4:5]
	v_add_co_u32 v24, vcc_lo, v25, v9
	v_add_co_ci_u32_e64 v25, null, v26, v10, vcc_lo
	global_store_dword v[24:25], v23, off
	global_load_dword v20, v[21:22], off offset:64
	s_waitcnt vmcnt(0)
	v_mad_u64_u32 v[26:27], null, v20, s9, v[2:3]
	global_store_dword v[24:25], v26, off offset:64
	global_load_dword v20, v[21:22], off offset:128
	s_waitcnt vmcnt(0)
	v_mad_u64_u32 v[26:27], null, v20, s9, v[1:2]
	global_store_dword v[24:25], v26, off offset:128
	;; [unrolled: 4-line block ×3, first 2 shown]
	s_andn2_b32 vcc_lo, exec_lo, s10
	s_cbranch_vccnz .LBB476_6
.LBB476_5:
	v_mad_u64_u32 v[20:21], null, v29, s12, 0
	s_lshl_b64 s[0:1], s[12:13], 6
	v_add3_u32 v21, v21, v19, v3
	v_lshlrev_b64 v[19:20], 2, v[20:21]
	v_add_co_u32 v3, vcc_lo, s6, v19
	v_add_co_ci_u32_e64 v21, null, s7, v20, vcc_lo
	v_add_co_u32 v19, vcc_lo, v3, v9
	v_add_co_ci_u32_e64 v20, null, v21, v10, vcc_lo
	;; [unrolled: 2-line block ×3, first 2 shown]
	global_store_dword v[19:20], v18, off
	global_store_dword v[19:20], v17, off offset:64
	global_store_dword v[19:20], v16, off offset:128
	;; [unrolled: 1-line block ×3, first 2 shown]
	v_add_co_u32 v15, vcc_lo, v3, v9
	v_add_co_ci_u32_e64 v16, null, v21, v10, vcc_lo
	v_add_co_u32 v3, vcc_lo, v3, s0
	v_add_co_ci_u32_e64 v17, null, s1, v21, vcc_lo
	global_store_dword v[15:16], v13, off
	global_store_dword v[15:16], v12, off offset:64
	global_store_dword v[15:16], v11, off offset:128
	;; [unrolled: 1-line block ×3, first 2 shown]
	v_add_co_u32 v13, vcc_lo, v3, s0
	v_add_co_ci_u32_e64 v14, null, s1, v17, vcc_lo
	v_add_co_u32 v11, vcc_lo, v3, v9
	v_add_co_ci_u32_e64 v12, null, v17, v10, vcc_lo
	;; [unrolled: 2-line block ×3, first 2 shown]
	global_store_dword v[11:12], v8, off
	global_store_dword v[11:12], v7, off offset:64
	global_store_dword v[11:12], v6, off offset:128
	;; [unrolled: 1-line block ×3, first 2 shown]
	global_store_dword v[9:10], v4, off
	global_store_dword v[9:10], v2, off offset:64
	global_store_dword v[9:10], v1, off offset:128
	;; [unrolled: 1-line block ×3, first 2 shown]
.LBB476_6:
	s_endpgm
.LBB476_7:
	s_branch .LBB476_5
	.section	.rodata,"a",@progbits
	.p2align	6, 0x0
	.amdhsa_kernel _ZN12_GLOBAL__N_127rocblas_gemm_batched_kernelIiLi16ELi16ELi64ELi64ELi4ELi64ELi4ELi4ELi64ELc84ELc84EKaKiiEEvlllT_PT11_llS5_llS3_PT12_llPT13_lli
		.amdhsa_group_segment_fixed_size 2048
		.amdhsa_private_segment_fixed_size 0
		.amdhsa_kernarg_size 140
		.amdhsa_user_sgpr_count 6
		.amdhsa_user_sgpr_private_segment_buffer 1
		.amdhsa_user_sgpr_dispatch_ptr 0
		.amdhsa_user_sgpr_queue_ptr 0
		.amdhsa_user_sgpr_kernarg_segment_ptr 1
		.amdhsa_user_sgpr_dispatch_id 0
		.amdhsa_user_sgpr_flat_scratch_init 0
		.amdhsa_user_sgpr_private_segment_size 0
		.amdhsa_wavefront_size32 1
		.amdhsa_uses_dynamic_stack 0
		.amdhsa_system_sgpr_private_segment_wavefront_offset 0
		.amdhsa_system_sgpr_workgroup_id_x 1
		.amdhsa_system_sgpr_workgroup_id_y 1
		.amdhsa_system_sgpr_workgroup_id_z 1
		.amdhsa_system_sgpr_workgroup_info 0
		.amdhsa_system_vgpr_workitem_id 1
		.amdhsa_next_free_vgpr 58
		.amdhsa_next_free_sgpr 24
		.amdhsa_reserve_vcc 1
		.amdhsa_reserve_flat_scratch 0
		.amdhsa_float_round_mode_32 0
		.amdhsa_float_round_mode_16_64 0
		.amdhsa_float_denorm_mode_32 3
		.amdhsa_float_denorm_mode_16_64 3
		.amdhsa_dx10_clamp 1
		.amdhsa_ieee_mode 1
		.amdhsa_fp16_overflow 0
		.amdhsa_workgroup_processor_mode 1
		.amdhsa_memory_ordered 1
		.amdhsa_forward_progress 1
		.amdhsa_shared_vgpr_count 0
		.amdhsa_exception_fp_ieee_invalid_op 0
		.amdhsa_exception_fp_denorm_src 0
		.amdhsa_exception_fp_ieee_div_zero 0
		.amdhsa_exception_fp_ieee_overflow 0
		.amdhsa_exception_fp_ieee_underflow 0
		.amdhsa_exception_fp_ieee_inexact 0
		.amdhsa_exception_int_div_zero 0
	.end_amdhsa_kernel
	.section	.text._ZN12_GLOBAL__N_127rocblas_gemm_batched_kernelIiLi16ELi16ELi64ELi64ELi4ELi64ELi4ELi4ELi64ELc84ELc84EKaKiiEEvlllT_PT11_llS5_llS3_PT12_llPT13_lli,"axG",@progbits,_ZN12_GLOBAL__N_127rocblas_gemm_batched_kernelIiLi16ELi16ELi64ELi64ELi4ELi64ELi4ELi4ELi64ELc84ELc84EKaKiiEEvlllT_PT11_llS5_llS3_PT12_llPT13_lli,comdat
.Lfunc_end476:
	.size	_ZN12_GLOBAL__N_127rocblas_gemm_batched_kernelIiLi16ELi16ELi64ELi64ELi4ELi64ELi4ELi4ELi64ELc84ELc84EKaKiiEEvlllT_PT11_llS5_llS3_PT12_llPT13_lli, .Lfunc_end476-_ZN12_GLOBAL__N_127rocblas_gemm_batched_kernelIiLi16ELi16ELi64ELi64ELi4ELi64ELi4ELi4ELi64ELc84ELc84EKaKiiEEvlllT_PT11_llS5_llS3_PT12_llPT13_lli
                                        ; -- End function
	.set _ZN12_GLOBAL__N_127rocblas_gemm_batched_kernelIiLi16ELi16ELi64ELi64ELi4ELi64ELi4ELi4ELi64ELc84ELc84EKaKiiEEvlllT_PT11_llS5_llS3_PT12_llPT13_lli.num_vgpr, 58
	.set _ZN12_GLOBAL__N_127rocblas_gemm_batched_kernelIiLi16ELi16ELi64ELi64ELi4ELi64ELi4ELi4ELi64ELc84ELc84EKaKiiEEvlllT_PT11_llS5_llS3_PT12_llPT13_lli.num_agpr, 0
	.set _ZN12_GLOBAL__N_127rocblas_gemm_batched_kernelIiLi16ELi16ELi64ELi64ELi4ELi64ELi4ELi4ELi64ELc84ELc84EKaKiiEEvlllT_PT11_llS5_llS3_PT12_llPT13_lli.numbered_sgpr, 24
	.set _ZN12_GLOBAL__N_127rocblas_gemm_batched_kernelIiLi16ELi16ELi64ELi64ELi4ELi64ELi4ELi4ELi64ELc84ELc84EKaKiiEEvlllT_PT11_llS5_llS3_PT12_llPT13_lli.num_named_barrier, 0
	.set _ZN12_GLOBAL__N_127rocblas_gemm_batched_kernelIiLi16ELi16ELi64ELi64ELi4ELi64ELi4ELi4ELi64ELc84ELc84EKaKiiEEvlllT_PT11_llS5_llS3_PT12_llPT13_lli.private_seg_size, 0
	.set _ZN12_GLOBAL__N_127rocblas_gemm_batched_kernelIiLi16ELi16ELi64ELi64ELi4ELi64ELi4ELi4ELi64ELc84ELc84EKaKiiEEvlllT_PT11_llS5_llS3_PT12_llPT13_lli.uses_vcc, 1
	.set _ZN12_GLOBAL__N_127rocblas_gemm_batched_kernelIiLi16ELi16ELi64ELi64ELi4ELi64ELi4ELi4ELi64ELc84ELc84EKaKiiEEvlllT_PT11_llS5_llS3_PT12_llPT13_lli.uses_flat_scratch, 0
	.set _ZN12_GLOBAL__N_127rocblas_gemm_batched_kernelIiLi16ELi16ELi64ELi64ELi4ELi64ELi4ELi4ELi64ELc84ELc84EKaKiiEEvlllT_PT11_llS5_llS3_PT12_llPT13_lli.has_dyn_sized_stack, 0
	.set _ZN12_GLOBAL__N_127rocblas_gemm_batched_kernelIiLi16ELi16ELi64ELi64ELi4ELi64ELi4ELi4ELi64ELc84ELc84EKaKiiEEvlllT_PT11_llS5_llS3_PT12_llPT13_lli.has_recursion, 0
	.set _ZN12_GLOBAL__N_127rocblas_gemm_batched_kernelIiLi16ELi16ELi64ELi64ELi4ELi64ELi4ELi4ELi64ELc84ELc84EKaKiiEEvlllT_PT11_llS5_llS3_PT12_llPT13_lli.has_indirect_call, 0
	.section	.AMDGPU.csdata,"",@progbits
; Kernel info:
; codeLenInByte = 2832
; TotalNumSgprs: 26
; NumVgprs: 58
; ScratchSize: 0
; MemoryBound: 0
; FloatMode: 240
; IeeeMode: 1
; LDSByteSize: 2048 bytes/workgroup (compile time only)
; SGPRBlocks: 0
; VGPRBlocks: 7
; NumSGPRsForWavesPerEU: 26
; NumVGPRsForWavesPerEU: 58
; Occupancy: 16
; WaveLimiterHint : 0
; COMPUTE_PGM_RSRC2:SCRATCH_EN: 0
; COMPUTE_PGM_RSRC2:USER_SGPR: 6
; COMPUTE_PGM_RSRC2:TRAP_HANDLER: 0
; COMPUTE_PGM_RSRC2:TGID_X_EN: 1
; COMPUTE_PGM_RSRC2:TGID_Y_EN: 1
; COMPUTE_PGM_RSRC2:TGID_Z_EN: 1
; COMPUTE_PGM_RSRC2:TIDIG_COMP_CNT: 1
	.section	.text._ZN12_GLOBAL__N_127rocblas_gemm_batched_kernelIiLi16ELi16ELi64ELi64ELi4ELi64ELi4ELi4ELi64ELc67ELc67EKaKiiEEvlllT_PT11_llS5_llS3_PT12_llPT13_lli,"axG",@progbits,_ZN12_GLOBAL__N_127rocblas_gemm_batched_kernelIiLi16ELi16ELi64ELi64ELi4ELi64ELi4ELi4ELi64ELc67ELc67EKaKiiEEvlllT_PT11_llS5_llS3_PT12_llPT13_lli,comdat
	.globl	_ZN12_GLOBAL__N_127rocblas_gemm_batched_kernelIiLi16ELi16ELi64ELi64ELi4ELi64ELi4ELi4ELi64ELc67ELc67EKaKiiEEvlllT_PT11_llS5_llS3_PT12_llPT13_lli ; -- Begin function _ZN12_GLOBAL__N_127rocblas_gemm_batched_kernelIiLi16ELi16ELi64ELi64ELi4ELi64ELi4ELi4ELi64ELc67ELc67EKaKiiEEvlllT_PT11_llS5_llS3_PT12_llPT13_lli
	.p2align	8
	.type	_ZN12_GLOBAL__N_127rocblas_gemm_batched_kernelIiLi16ELi16ELi64ELi64ELi4ELi64ELi4ELi4ELi64ELc67ELc67EKaKiiEEvlllT_PT11_llS5_llS3_PT12_llPT13_lli,@function
_ZN12_GLOBAL__N_127rocblas_gemm_batched_kernelIiLi16ELi16ELi64ELi64ELi4ELi64ELi4ELi4ELi64ELc67ELc67EKaKiiEEvlllT_PT11_llS5_llS3_PT12_llPT13_lli: ; @_ZN12_GLOBAL__N_127rocblas_gemm_batched_kernelIiLi16ELi16ELi64ELi64ELi4ELi64ELi4ELi4ELi64ELc67ELc67EKaKiiEEvlllT_PT11_llS5_llS3_PT12_llPT13_lli
; %bb.0:
	s_load_dwordx2 s[22:23], s[4:5], 0x10
	s_mov_b32 s0, s7
	v_mov_b32_e32 v15, 0
	v_mov_b32_e32 v11, 0
	v_mov_b32_e32 v10, 0
	v_mov_b32_e32 v9, 0
	v_mov_b32_e32 v19, 0
	v_mov_b32_e32 v20, 0
	v_mov_b32_e32 v21, 0
	v_mov_b32_e32 v14, 0
	v_mov_b32_e32 v23, 0
	v_mov_b32_e32 v24, 0
	v_mov_b32_e32 v25, 0
	v_mov_b32_e32 v22, 0
	v_mov_b32_e32 v26, 0
	v_mov_b32_e32 v27, 0
	v_mov_b32_e32 v28, 0
	v_mov_b32_e32 v3, 0
	s_ashr_i32 s7, s6, 31
	s_ashr_i32 s1, s0, 31
	s_waitcnt lgkmcnt(0)
	v_cmp_lt_i64_e64 s2, s[22:23], 1
	s_lshl_b64 s[10:11], s[6:7], 6
	s_lshl_b64 s[20:21], s[0:1], 6
	s_and_b32 vcc_lo, exec_lo, s2
	s_cbranch_vccnz .LBB477_3
; %bb.1:
	s_load_dwordx4 s[0:3], s[4:5], 0x40
	v_lshlrev_b32_e32 v2, 4, v1
	v_mov_b32_e32 v3, 0
	s_load_dwordx8 s[12:19], s[4:5], 0x20
	v_and_b32_e32 v17, 3, v0
	v_lshlrev_b32_e32 v6, 2, v0
	v_add_nc_u32_e32 v4, v2, v0
	v_add_nc_u32_e32 v7, 0x400, v2
	v_mov_b32_e32 v9, v3
	v_lshlrev_b32_e32 v18, 2, v17
	v_mov_b32_e32 v5, v3
	v_lshrrev_b32_e32 v2, 2, v4
	v_and_b32_e32 v29, 63, v4
	v_lshrrev_b32_e32 v4, 6, v4
	v_mov_b32_e32 v28, v3
	v_mov_b32_e32 v27, v3
	v_mov_b32_e32 v26, v3
	v_lshlrev_b32_e32 v30, 2, v29
	v_mov_b32_e32 v22, v3
	v_mov_b32_e32 v25, v3
	s_waitcnt lgkmcnt(0)
	v_mad_u64_u32 v[12:13], null, s2, s8, v[2:3]
	v_mov_b32_e32 v24, v3
	s_mul_i32 s6, s17, s8
	s_mul_hi_u32 s7, s16, s8
	s_mul_i32 s9, s16, s8
	s_add_i32 s7, s7, s6
	v_mov_b32_e32 v23, v3
	v_mov_b32_e32 v8, v13
	;; [unrolled: 1-line block ×6, first 2 shown]
	v_mad_u64_u32 v[15:16], null, s3, s8, v[8:9]
	v_lshl_or_b32 v8, v2, 4, v18
	v_add_co_u32 v18, s2, s10, v29
	v_add_co_ci_u32_e64 v29, null, s11, 0, s2
	v_lshl_or_b32 v2, v4, 8, v30
	v_mov_b32_e32 v13, v15
	v_mad_u64_u32 v[4:5], null, s14, v18, v[4:5]
	v_mul_lo_u32 v18, s15, v18
	s_lshl_b64 s[2:3], s[0:1], 2
	v_mad_u64_u32 v[15:16], null, s0, v17, v[12:13]
	v_mul_lo_u32 v13, s14, v29
	s_add_u32 s0, s18, s20
	s_addc_u32 s6, s19, s21
	s_add_u32 s9, s12, s9
	s_addc_u32 s7, s13, s7
	v_mov_b32_e32 v10, v3
	v_mov_b32_e32 v12, v16
	;; [unrolled: 1-line block ×3, first 2 shown]
	v_add3_u32 v5, v18, v5, v13
	v_add_nc_u32_e32 v8, 0x400, v8
	v_mad_u64_u32 v[16:17], null, s1, v17, v[12:13]
	v_add_co_u32 v12, vcc_lo, s9, v4
	v_add_co_ci_u32_e64 v13, null, s7, v5, vcc_lo
	v_add_co_u32 v4, vcc_lo, s0, v15
	v_add_co_ci_u32_e64 v5, null, s6, v16, vcc_lo
	v_mov_b32_e32 v15, v3
	s_mov_b64 s[0:1], 0
.LBB477_2:                              ; =>This Inner Loop Header: Depth=1
	v_add_co_u32 v16, vcc_lo, v12, s0
	v_add_co_ci_u32_e64 v17, null, s1, v13, vcc_lo
	s_add_u32 s0, s0, 4
	s_addc_u32 s1, s1, 0
	v_cmp_lt_i64_e64 s6, s[0:1], s[22:23]
	global_load_sbyte v16, v[16:17], off
	s_waitcnt vmcnt(0)
	ds_write_b32 v2, v16
	global_load_sbyte v16, v[4:5], off
	v_add_co_u32 v4, vcc_lo, v4, s2
	v_add_co_ci_u32_e64 v5, null, s3, v5, vcc_lo
	s_and_b32 vcc_lo, exec_lo, s6
	s_waitcnt vmcnt(0)
	ds_write_b32 v8, v16
	s_waitcnt lgkmcnt(0)
	s_barrier
	buffer_gl0_inv
	ds_read_b128 v[29:32], v7
	ds_read2_b32 v[16:17], v6 offset1:16
	ds_read_b128 v[33:36], v7 offset:256
	ds_read_b128 v[37:40], v7 offset:512
	;; [unrolled: 1-line block ×3, first 2 shown]
	ds_read2_b32 v[45:46], v6 offset0:32 offset1:48
	s_waitcnt lgkmcnt(4)
	v_mul_lo_u32 v18, v29, v16
	v_mul_lo_u32 v47, v29, v17
	s_waitcnt lgkmcnt(3)
	v_mul_lo_u32 v49, v33, v16
	v_mul_lo_u32 v50, v33, v17
	;; [unrolled: 3-line block ×4, first 2 shown]
	ds_read2_b32 v[16:17], v6 offset0:64 offset1:80
	s_waitcnt lgkmcnt(1)
	v_mul_lo_u32 v48, v29, v45
	v_mul_lo_u32 v51, v33, v45
	;; [unrolled: 1-line block ×8, first 2 shown]
	s_waitcnt lgkmcnt(0)
	v_mul_lo_u32 v45, v30, v16
	v_add3_u32 v18, v15, v18, v45
	ds_read2_b32 v[45:46], v6 offset0:96 offset1:112
	v_mul_lo_u32 v15, v30, v17
	v_add3_u32 v11, v11, v47, v15
	s_waitcnt lgkmcnt(0)
	v_mul_lo_u32 v15, v30, v45
	v_add3_u32 v47, v10, v48, v15
	v_mul_lo_u32 v10, v30, v46
	v_add3_u32 v30, v9, v29, v10
	;; [unrolled: 2-line block ×6, first 2 shown]
	v_mul_lo_u32 v9, v38, v16
	ds_read2_b32 v[14:15], v6 offset0:160 offset1:176
	v_add3_u32 v23, v23, v52, v9
	v_mul_lo_u32 v9, v38, v17
	v_add3_u32 v24, v24, v53, v9
	v_mul_lo_u32 v9, v38, v45
	s_waitcnt lgkmcnt(0)
	v_mul_lo_u32 v48, v39, v14
	v_mul_lo_u32 v51, v43, v14
	v_add3_u32 v25, v25, v54, v9
	v_mul_lo_u32 v9, v38, v46
	v_add3_u32 v22, v22, v37, v9
	v_mul_lo_u32 v9, v42, v16
	v_mul_lo_u32 v37, v31, v14
	v_add3_u32 v26, v26, v55, v9
	v_mul_lo_u32 v9, v42, v17
	ds_read2_b32 v[16:17], v6 offset0:192 offset1:208
	v_add3_u32 v27, v27, v56, v9
	v_mul_lo_u32 v9, v42, v45
	v_add3_u32 v34, v28, v57, v9
	v_mul_lo_u32 v9, v42, v46
	v_mul_lo_u32 v42, v35, v14
	s_waitcnt lgkmcnt(0)
	v_mul_lo_u32 v14, v36, v16
	v_add3_u32 v3, v3, v41, v9
	ds_read2_b32 v[9:10], v6 offset0:128 offset1:144
	s_waitcnt lgkmcnt(0)
	v_mul_lo_u32 v28, v31, v9
	v_mul_lo_u32 v38, v35, v9
	;; [unrolled: 1-line block ×13, first 2 shown]
	v_add3_u32 v15, v18, v28, v9
	v_mul_lo_u32 v9, v32, v17
	v_mul_lo_u32 v18, v40, v16
	;; [unrolled: 1-line block ×3, first 2 shown]
	v_add3_u32 v19, v19, v38, v14
	v_mul_lo_u32 v14, v36, v17
	v_add3_u32 v11, v11, v29, v9
	ds_read2_b32 v[28:29], v6 offset0:224 offset1:240
	v_add3_u32 v23, v23, v45, v18
	v_mul_lo_u32 v18, v40, v17
	v_add3_u32 v26, v26, v49, v16
	v_mul_lo_u32 v16, v44, v17
	v_add3_u32 v20, v20, v41, v14
	s_waitcnt lgkmcnt(0)
	s_barrier
	buffer_gl0_inv
	v_add3_u32 v24, v24, v46, v18
	v_add3_u32 v27, v27, v50, v16
	v_mul_lo_u32 v9, v32, v28
	v_mul_lo_u32 v14, v36, v28
	;; [unrolled: 1-line block ×4, first 2 shown]
	v_add3_u32 v10, v47, v37, v9
	v_mul_lo_u32 v9, v32, v29
	v_add3_u32 v21, v21, v42, v14
	v_mul_lo_u32 v14, v36, v29
	;; [unrolled: 2-line block ×4, first 2 shown]
	v_add3_u32 v9, v30, v31, v9
	v_add3_u32 v14, v33, v35, v14
	;; [unrolled: 1-line block ×4, first 2 shown]
	s_cbranch_vccnz .LBB477_2
.LBB477_3:
	s_clause 0x3
	s_load_dwordx4 s[12:15], s[4:5], 0x78
	s_load_dword s16, s[4:5], 0x18
	s_load_dword s9, s[4:5], 0x50
	s_load_dwordx8 s[0:7], s[4:5], 0x58
	v_add_co_u32 v29, s17, s20, v1
	v_add_co_ci_u32_e64 v30, null, s21, 0, s17
	v_add_co_u32 v31, s10, s10, v0
	v_add_co_ci_u32_e64 v32, null, s11, 0, s10
	s_waitcnt lgkmcnt(0)
	s_mul_i32 s11, s15, s8
	s_mul_hi_u32 s15, s14, s8
	s_mul_i32 s10, s14, s8
	v_mul_lo_u32 v18, v15, s16
	v_mul_lo_u32 v17, v11, s16
	v_mul_lo_u32 v16, v10, s16
	v_mul_lo_u32 v15, v9, s16
	v_mul_lo_u32 v13, v19, s16
	v_mul_lo_u32 v12, v20, s16
	v_mul_lo_u32 v11, v21, s16
	s_add_i32 s11, s15, s11
	v_mul_lo_u32 v14, v14, s16
	v_mul_lo_u32 v8, v23, s16
	;; [unrolled: 1-line block ×11, first 2 shown]
	s_lshl_b64 s[10:11], s[10:11], 2
	v_lshlrev_b64 v[9:10], 2, v[31:32]
	s_add_u32 s6, s6, s10
	s_addc_u32 s7, s7, s11
	s_cmp_eq_u32 s9, 0
	s_mov_b32 s10, 0
	s_cbranch_scc1 .LBB477_7
; %bb.4:
	v_mul_lo_u32 v22, v30, s2
	v_mul_lo_u32 v23, v29, s3
	v_mad_u64_u32 v[20:21], null, v29, s2, 0
	s_mul_i32 s5, s5, s8
	s_mul_hi_u32 s11, s4, s8
	s_mul_i32 s4, s4, s8
	s_add_i32 s5, s11, s5
	s_lshl_b64 s[4:5], s[4:5], 2
	v_add3_u32 v21, v21, v23, v22
	s_add_u32 s0, s0, s4
	s_addc_u32 s1, s1, s5
	v_mad_u64_u32 v[22:23], null, v29, s12, 0
	v_lshlrev_b64 v[20:21], 2, v[20:21]
	v_add3_u32 v23, v23, v19, v3
	v_add_co_u32 v27, vcc_lo, s0, v20
	v_add_co_ci_u32_e64 v28, null, s1, v21, vcc_lo
	v_lshlrev_b64 v[22:23], 2, v[22:23]
	v_add_co_u32 v20, vcc_lo, v27, v9
	v_add_co_ci_u32_e64 v21, null, v28, v10, vcc_lo
	s_lshl_b64 s[0:1], s[2:3], 6
	v_add_co_u32 v30, vcc_lo, s6, v22
	global_load_dword v24, v[20:21], off
	v_add_co_ci_u32_e64 v31, null, s7, v23, vcc_lo
	s_lshl_b64 s[2:3], s[12:13], 6
	s_waitcnt vmcnt(0)
	v_mad_u64_u32 v[22:23], null, v24, s9, v[18:19]
	v_add_co_u32 v23, vcc_lo, v30, v9
	v_add_co_ci_u32_e64 v24, null, v31, v10, vcc_lo
	v_add_co_u32 v32, vcc_lo, v27, s0
	v_add_co_ci_u32_e64 v28, null, s1, v28, vcc_lo
	global_store_dword v[23:24], v22, off
	global_load_dword v22, v[20:21], off offset:64
	s_waitcnt vmcnt(0)
	v_mad_u64_u32 v[25:26], null, v22, s9, v[17:18]
	global_store_dword v[23:24], v25, off offset:64
	global_load_dword v22, v[20:21], off offset:128
	s_waitcnt vmcnt(0)
	v_mad_u64_u32 v[25:26], null, v22, s9, v[16:17]
	global_store_dword v[23:24], v25, off offset:128
	global_load_dword v20, v[20:21], off offset:192
	s_waitcnt vmcnt(0)
	v_mad_u64_u32 v[20:21], null, v20, s9, v[15:16]
	v_add_co_u32 v21, vcc_lo, v32, v9
	v_add_co_ci_u32_e64 v22, null, v28, v10, vcc_lo
	v_add_co_u32 v30, vcc_lo, v30, s2
	global_store_dword v[23:24], v20, off offset:192
	global_load_dword v20, v[21:22], off
	v_add_co_ci_u32_e64 v31, null, s3, v31, vcc_lo
	s_waitcnt vmcnt(0)
	v_mad_u64_u32 v[23:24], null, v20, s9, v[13:14]
	v_add_co_u32 v24, vcc_lo, v30, v9
	v_add_co_ci_u32_e64 v25, null, v31, v10, vcc_lo
	v_add_co_u32 v32, vcc_lo, v32, s0
	v_add_co_ci_u32_e64 v28, null, s1, v28, vcc_lo
	global_store_dword v[24:25], v23, off
	global_load_dword v20, v[21:22], off offset:64
	s_waitcnt vmcnt(0)
	v_mad_u64_u32 v[26:27], null, v20, s9, v[12:13]
	global_store_dword v[24:25], v26, off offset:64
	global_load_dword v20, v[21:22], off offset:128
	s_waitcnt vmcnt(0)
	v_mad_u64_u32 v[26:27], null, v20, s9, v[11:12]
	global_store_dword v[24:25], v26, off offset:128
	global_load_dword v20, v[21:22], off offset:192
	s_waitcnt vmcnt(0)
	v_mad_u64_u32 v[20:21], null, v20, s9, v[14:15]
	v_add_co_u32 v21, vcc_lo, v32, v9
	v_add_co_ci_u32_e64 v22, null, v28, v10, vcc_lo
	v_add_co_u32 v30, vcc_lo, v30, s2
	global_store_dword v[24:25], v20, off offset:192
	global_load_dword v20, v[21:22], off
	v_add_co_ci_u32_e64 v31, null, s3, v31, vcc_lo
	s_waitcnt vmcnt(0)
	v_mad_u64_u32 v[23:24], null, v20, s9, v[8:9]
	v_add_co_u32 v24, vcc_lo, v30, v9
	v_add_co_ci_u32_e64 v25, null, v31, v10, vcc_lo
	global_store_dword v[24:25], v23, off
	global_load_dword v20, v[21:22], off offset:64
	s_waitcnt vmcnt(0)
	v_mad_u64_u32 v[26:27], null, v20, s9, v[7:8]
	global_store_dword v[24:25], v26, off offset:64
	global_load_dword v20, v[21:22], off offset:128
	s_waitcnt vmcnt(0)
	v_mad_u64_u32 v[26:27], null, v20, s9, v[6:7]
	global_store_dword v[24:25], v26, off offset:128
	global_load_dword v20, v[21:22], off offset:192
	v_add_co_u32 v22, vcc_lo, v32, s0
	v_add_co_ci_u32_e64 v23, null, s1, v28, vcc_lo
	s_waitcnt vmcnt(0)
	v_mad_u64_u32 v[20:21], null, v20, s9, v[5:6]
	v_add_co_u32 v21, vcc_lo, v22, v9
	v_add_co_ci_u32_e64 v22, null, v23, v10, vcc_lo
	global_store_dword v[24:25], v20, off offset:192
	global_load_dword v20, v[21:22], off
	v_add_co_u32 v25, vcc_lo, v30, s2
	v_add_co_ci_u32_e64 v26, null, s3, v31, vcc_lo
	s_waitcnt vmcnt(0)
	v_mad_u64_u32 v[23:24], null, v20, s9, v[4:5]
	v_add_co_u32 v24, vcc_lo, v25, v9
	v_add_co_ci_u32_e64 v25, null, v26, v10, vcc_lo
	global_store_dword v[24:25], v23, off
	global_load_dword v20, v[21:22], off offset:64
	s_waitcnt vmcnt(0)
	v_mad_u64_u32 v[26:27], null, v20, s9, v[2:3]
	global_store_dword v[24:25], v26, off offset:64
	global_load_dword v20, v[21:22], off offset:128
	s_waitcnt vmcnt(0)
	v_mad_u64_u32 v[26:27], null, v20, s9, v[1:2]
	global_store_dword v[24:25], v26, off offset:128
	;; [unrolled: 4-line block ×3, first 2 shown]
	s_andn2_b32 vcc_lo, exec_lo, s10
	s_cbranch_vccnz .LBB477_6
.LBB477_5:
	v_mad_u64_u32 v[20:21], null, v29, s12, 0
	s_lshl_b64 s[0:1], s[12:13], 6
	v_add3_u32 v21, v21, v19, v3
	v_lshlrev_b64 v[19:20], 2, v[20:21]
	v_add_co_u32 v3, vcc_lo, s6, v19
	v_add_co_ci_u32_e64 v21, null, s7, v20, vcc_lo
	v_add_co_u32 v19, vcc_lo, v3, v9
	v_add_co_ci_u32_e64 v20, null, v21, v10, vcc_lo
	;; [unrolled: 2-line block ×3, first 2 shown]
	global_store_dword v[19:20], v18, off
	global_store_dword v[19:20], v17, off offset:64
	global_store_dword v[19:20], v16, off offset:128
	;; [unrolled: 1-line block ×3, first 2 shown]
	v_add_co_u32 v15, vcc_lo, v3, v9
	v_add_co_ci_u32_e64 v16, null, v21, v10, vcc_lo
	v_add_co_u32 v3, vcc_lo, v3, s0
	v_add_co_ci_u32_e64 v17, null, s1, v21, vcc_lo
	global_store_dword v[15:16], v13, off
	global_store_dword v[15:16], v12, off offset:64
	global_store_dword v[15:16], v11, off offset:128
	;; [unrolled: 1-line block ×3, first 2 shown]
	v_add_co_u32 v13, vcc_lo, v3, s0
	v_add_co_ci_u32_e64 v14, null, s1, v17, vcc_lo
	v_add_co_u32 v11, vcc_lo, v3, v9
	v_add_co_ci_u32_e64 v12, null, v17, v10, vcc_lo
	;; [unrolled: 2-line block ×3, first 2 shown]
	global_store_dword v[11:12], v8, off
	global_store_dword v[11:12], v7, off offset:64
	global_store_dword v[11:12], v6, off offset:128
	;; [unrolled: 1-line block ×3, first 2 shown]
	global_store_dword v[9:10], v4, off
	global_store_dword v[9:10], v2, off offset:64
	global_store_dword v[9:10], v1, off offset:128
	;; [unrolled: 1-line block ×3, first 2 shown]
.LBB477_6:
	s_endpgm
.LBB477_7:
	s_branch .LBB477_5
	.section	.rodata,"a",@progbits
	.p2align	6, 0x0
	.amdhsa_kernel _ZN12_GLOBAL__N_127rocblas_gemm_batched_kernelIiLi16ELi16ELi64ELi64ELi4ELi64ELi4ELi4ELi64ELc67ELc67EKaKiiEEvlllT_PT11_llS5_llS3_PT12_llPT13_lli
		.amdhsa_group_segment_fixed_size 2048
		.amdhsa_private_segment_fixed_size 0
		.amdhsa_kernarg_size 140
		.amdhsa_user_sgpr_count 6
		.amdhsa_user_sgpr_private_segment_buffer 1
		.amdhsa_user_sgpr_dispatch_ptr 0
		.amdhsa_user_sgpr_queue_ptr 0
		.amdhsa_user_sgpr_kernarg_segment_ptr 1
		.amdhsa_user_sgpr_dispatch_id 0
		.amdhsa_user_sgpr_flat_scratch_init 0
		.amdhsa_user_sgpr_private_segment_size 0
		.amdhsa_wavefront_size32 1
		.amdhsa_uses_dynamic_stack 0
		.amdhsa_system_sgpr_private_segment_wavefront_offset 0
		.amdhsa_system_sgpr_workgroup_id_x 1
		.amdhsa_system_sgpr_workgroup_id_y 1
		.amdhsa_system_sgpr_workgroup_id_z 1
		.amdhsa_system_sgpr_workgroup_info 0
		.amdhsa_system_vgpr_workitem_id 1
		.amdhsa_next_free_vgpr 58
		.amdhsa_next_free_sgpr 24
		.amdhsa_reserve_vcc 1
		.amdhsa_reserve_flat_scratch 0
		.amdhsa_float_round_mode_32 0
		.amdhsa_float_round_mode_16_64 0
		.amdhsa_float_denorm_mode_32 3
		.amdhsa_float_denorm_mode_16_64 3
		.amdhsa_dx10_clamp 1
		.amdhsa_ieee_mode 1
		.amdhsa_fp16_overflow 0
		.amdhsa_workgroup_processor_mode 1
		.amdhsa_memory_ordered 1
		.amdhsa_forward_progress 1
		.amdhsa_shared_vgpr_count 0
		.amdhsa_exception_fp_ieee_invalid_op 0
		.amdhsa_exception_fp_denorm_src 0
		.amdhsa_exception_fp_ieee_div_zero 0
		.amdhsa_exception_fp_ieee_overflow 0
		.amdhsa_exception_fp_ieee_underflow 0
		.amdhsa_exception_fp_ieee_inexact 0
		.amdhsa_exception_int_div_zero 0
	.end_amdhsa_kernel
	.section	.text._ZN12_GLOBAL__N_127rocblas_gemm_batched_kernelIiLi16ELi16ELi64ELi64ELi4ELi64ELi4ELi4ELi64ELc67ELc67EKaKiiEEvlllT_PT11_llS5_llS3_PT12_llPT13_lli,"axG",@progbits,_ZN12_GLOBAL__N_127rocblas_gemm_batched_kernelIiLi16ELi16ELi64ELi64ELi4ELi64ELi4ELi4ELi64ELc67ELc67EKaKiiEEvlllT_PT11_llS5_llS3_PT12_llPT13_lli,comdat
.Lfunc_end477:
	.size	_ZN12_GLOBAL__N_127rocblas_gemm_batched_kernelIiLi16ELi16ELi64ELi64ELi4ELi64ELi4ELi4ELi64ELc67ELc67EKaKiiEEvlllT_PT11_llS5_llS3_PT12_llPT13_lli, .Lfunc_end477-_ZN12_GLOBAL__N_127rocblas_gemm_batched_kernelIiLi16ELi16ELi64ELi64ELi4ELi64ELi4ELi4ELi64ELc67ELc67EKaKiiEEvlllT_PT11_llS5_llS3_PT12_llPT13_lli
                                        ; -- End function
	.set _ZN12_GLOBAL__N_127rocblas_gemm_batched_kernelIiLi16ELi16ELi64ELi64ELi4ELi64ELi4ELi4ELi64ELc67ELc67EKaKiiEEvlllT_PT11_llS5_llS3_PT12_llPT13_lli.num_vgpr, 58
	.set _ZN12_GLOBAL__N_127rocblas_gemm_batched_kernelIiLi16ELi16ELi64ELi64ELi4ELi64ELi4ELi4ELi64ELc67ELc67EKaKiiEEvlllT_PT11_llS5_llS3_PT12_llPT13_lli.num_agpr, 0
	.set _ZN12_GLOBAL__N_127rocblas_gemm_batched_kernelIiLi16ELi16ELi64ELi64ELi4ELi64ELi4ELi4ELi64ELc67ELc67EKaKiiEEvlllT_PT11_llS5_llS3_PT12_llPT13_lli.numbered_sgpr, 24
	.set _ZN12_GLOBAL__N_127rocblas_gemm_batched_kernelIiLi16ELi16ELi64ELi64ELi4ELi64ELi4ELi4ELi64ELc67ELc67EKaKiiEEvlllT_PT11_llS5_llS3_PT12_llPT13_lli.num_named_barrier, 0
	.set _ZN12_GLOBAL__N_127rocblas_gemm_batched_kernelIiLi16ELi16ELi64ELi64ELi4ELi64ELi4ELi4ELi64ELc67ELc67EKaKiiEEvlllT_PT11_llS5_llS3_PT12_llPT13_lli.private_seg_size, 0
	.set _ZN12_GLOBAL__N_127rocblas_gemm_batched_kernelIiLi16ELi16ELi64ELi64ELi4ELi64ELi4ELi4ELi64ELc67ELc67EKaKiiEEvlllT_PT11_llS5_llS3_PT12_llPT13_lli.uses_vcc, 1
	.set _ZN12_GLOBAL__N_127rocblas_gemm_batched_kernelIiLi16ELi16ELi64ELi64ELi4ELi64ELi4ELi4ELi64ELc67ELc67EKaKiiEEvlllT_PT11_llS5_llS3_PT12_llPT13_lli.uses_flat_scratch, 0
	.set _ZN12_GLOBAL__N_127rocblas_gemm_batched_kernelIiLi16ELi16ELi64ELi64ELi4ELi64ELi4ELi4ELi64ELc67ELc67EKaKiiEEvlllT_PT11_llS5_llS3_PT12_llPT13_lli.has_dyn_sized_stack, 0
	.set _ZN12_GLOBAL__N_127rocblas_gemm_batched_kernelIiLi16ELi16ELi64ELi64ELi4ELi64ELi4ELi4ELi64ELc67ELc67EKaKiiEEvlllT_PT11_llS5_llS3_PT12_llPT13_lli.has_recursion, 0
	.set _ZN12_GLOBAL__N_127rocblas_gemm_batched_kernelIiLi16ELi16ELi64ELi64ELi4ELi64ELi4ELi4ELi64ELc67ELc67EKaKiiEEvlllT_PT11_llS5_llS3_PT12_llPT13_lli.has_indirect_call, 0
	.section	.AMDGPU.csdata,"",@progbits
; Kernel info:
; codeLenInByte = 2832
; TotalNumSgprs: 26
; NumVgprs: 58
; ScratchSize: 0
; MemoryBound: 0
; FloatMode: 240
; IeeeMode: 1
; LDSByteSize: 2048 bytes/workgroup (compile time only)
; SGPRBlocks: 0
; VGPRBlocks: 7
; NumSGPRsForWavesPerEU: 26
; NumVGPRsForWavesPerEU: 58
; Occupancy: 16
; WaveLimiterHint : 0
; COMPUTE_PGM_RSRC2:SCRATCH_EN: 0
; COMPUTE_PGM_RSRC2:USER_SGPR: 6
; COMPUTE_PGM_RSRC2:TRAP_HANDLER: 0
; COMPUTE_PGM_RSRC2:TGID_X_EN: 1
; COMPUTE_PGM_RSRC2:TGID_Y_EN: 1
; COMPUTE_PGM_RSRC2:TGID_Z_EN: 1
; COMPUTE_PGM_RSRC2:TIDIG_COMP_CNT: 1
	.section	.text._ZN12_GLOBAL__N_127rocblas_gemm_batched_kernelIiLi16ELi16ELi64ELi64ELi4ELi64ELi4ELi4ELi64ELc67ELc78EKaKiiEEvlllT_PT11_llS5_llS3_PT12_llPT13_lli,"axG",@progbits,_ZN12_GLOBAL__N_127rocblas_gemm_batched_kernelIiLi16ELi16ELi64ELi64ELi4ELi64ELi4ELi4ELi64ELc67ELc78EKaKiiEEvlllT_PT11_llS5_llS3_PT12_llPT13_lli,comdat
	.globl	_ZN12_GLOBAL__N_127rocblas_gemm_batched_kernelIiLi16ELi16ELi64ELi64ELi4ELi64ELi4ELi4ELi64ELc67ELc78EKaKiiEEvlllT_PT11_llS5_llS3_PT12_llPT13_lli ; -- Begin function _ZN12_GLOBAL__N_127rocblas_gemm_batched_kernelIiLi16ELi16ELi64ELi64ELi4ELi64ELi4ELi4ELi64ELc67ELc78EKaKiiEEvlllT_PT11_llS5_llS3_PT12_llPT13_lli
	.p2align	8
	.type	_ZN12_GLOBAL__N_127rocblas_gemm_batched_kernelIiLi16ELi16ELi64ELi64ELi4ELi64ELi4ELi4ELi64ELc67ELc78EKaKiiEEvlllT_PT11_llS5_llS3_PT12_llPT13_lli,@function
_ZN12_GLOBAL__N_127rocblas_gemm_batched_kernelIiLi16ELi16ELi64ELi64ELi4ELi64ELi4ELi4ELi64ELc67ELc78EKaKiiEEvlllT_PT11_llS5_llS3_PT12_llPT13_lli: ; @_ZN12_GLOBAL__N_127rocblas_gemm_batched_kernelIiLi16ELi16ELi64ELi64ELi4ELi64ELi4ELi4ELi64ELc67ELc78EKaKiiEEvlllT_PT11_llS5_llS3_PT12_llPT13_lli
; %bb.0:
	s_load_dwordx2 s[0:1], s[4:5], 0x10
	s_mov_b32 s2, s7
	v_mov_b32_e32 v11, 0
	v_mov_b32_e32 v14, 0
	;; [unrolled: 1-line block ×16, first 2 shown]
	s_ashr_i32 s7, s6, 31
	s_ashr_i32 s3, s2, 31
	s_waitcnt lgkmcnt(0)
	v_cmp_lt_i64_e64 s9, s[0:1], 1
	s_lshl_b64 s[10:11], s[6:7], 6
	s_lshl_b64 s[20:21], s[2:3], 6
	s_and_b32 vcc_lo, exec_lo, s9
	s_cbranch_vccnz .LBB478_3
; %bb.1:
	s_clause 0x1
	s_load_dwordx8 s[12:19], s[4:5], 0x20
	s_load_dwordx4 s[24:27], s[4:5], 0x40
	v_lshlrev_b32_e32 v11, 4, v1
	v_and_b32_e32 v12, 3, v0
	v_mov_b32_e32 v3, 0
	v_add_nc_u32_e32 v2, v11, v0
	v_lshlrev_b32_e32 v5, 2, v12
	v_mov_b32_e32 v29, v3
	v_mov_b32_e32 v28, v3
	;; [unrolled: 1-line block ×3, first 2 shown]
	v_lshrrev_b32_e32 v4, 2, v2
	v_and_b32_e32 v6, 63, v2
	v_lshrrev_b32_e32 v2, 6, v2
	v_mov_b32_e32 v26, v3
	v_mov_b32_e32 v25, v3
	v_add_co_u32 v9, s2, v4, s20
	v_add_co_ci_u32_e64 v10, null, 0, s21, s2
	v_lshlrev_b32_e32 v13, 2, v6
	s_waitcnt lgkmcnt(0)
	s_mul_i32 s3, s17, s8
	s_mul_hi_u32 s6, s16, s8
	s_mul_i32 s7, s16, s8
	s_mul_i32 s9, s27, s8
	s_mul_hi_u32 s16, s26, s8
	s_mul_i32 s2, s26, s8
	s_add_i32 s6, s6, s3
	s_add_i32 s3, s16, s9
	v_mul_lo_u32 v10, s24, v10
	v_mad_u64_u32 v[7:8], null, s24, v9, s[2:3]
	v_mul_lo_u32 v9, s25, v9
	v_lshl_or_b32 v5, v4, 4, v5
	v_lshl_or_b32 v4, v2, 8, v13
	v_add_co_u32 v13, s2, s10, v6
	v_add_co_ci_u32_e64 v14, null, s11, 0, s2
	v_add_co_u32 v7, vcc_lo, v7, v12
	v_add3_u32 v8, v9, v8, v10
	v_mad_u64_u32 v[9:10], null, s14, v13, v[2:3]
	v_mul_lo_u32 v14, s14, v14
	v_mul_lo_u32 v13, s15, v13
	v_add_co_ci_u32_e64 v8, null, 0, v8, vcc_lo
	v_add_co_u32 v7, vcc_lo, s18, v7
	s_add_u32 s2, s12, s7
	v_add_co_ci_u32_e64 v8, null, s19, v8, vcc_lo
	v_add3_u32 v10, v13, v10, v14
	s_addc_u32 s3, s13, s6
	v_add_co_u32 v9, vcc_lo, s2, v9
	v_add_nc_u32_e32 v5, 0x400, v5
	v_lshlrev_b32_e32 v6, 2, v0
	v_add_nc_u32_e32 v2, 0x400, v11
	v_add_co_ci_u32_e64 v10, null, s3, v10, vcc_lo
	v_mov_b32_e32 v24, v3
	v_mov_b32_e32 v23, v3
	;; [unrolled: 1-line block ×10, first 2 shown]
	s_mov_b64 s[2:3], 0
.LBB478_2:                              ; =>This Inner Loop Header: Depth=1
	v_add_co_u32 v15, vcc_lo, v9, s2
	v_add_co_ci_u32_e64 v16, null, s3, v10, vcc_lo
	global_load_sbyte v15, v[15:16], off
	s_waitcnt vmcnt(0)
	ds_write_b32 v4, v15
	v_add_co_u32 v15, vcc_lo, v7, s2
	v_add_co_ci_u32_e64 v16, null, s3, v8, vcc_lo
	s_add_u32 s2, s2, 4
	s_addc_u32 s3, s3, 0
	global_load_sbyte v15, v[15:16], off
	v_cmp_lt_i64_e64 s6, s[2:3], s[0:1]
	s_and_b32 vcc_lo, exec_lo, s6
	s_waitcnt vmcnt(0)
	ds_write_b32 v5, v15
	s_waitcnt lgkmcnt(0)
	s_barrier
	buffer_gl0_inv
	ds_read_b128 v[15:18], v2
	ds_read2_b32 v[42:43], v6 offset1:16
	ds_read_b128 v[30:33], v2 offset:256
	ds_read_b128 v[34:37], v2 offset:512
	ds_read_b128 v[38:41], v2 offset:768
	ds_read2_b32 v[44:45], v6 offset0:32 offset1:48
	s_waitcnt lgkmcnt(4)
	v_mul_lo_u32 v46, v15, v42
	v_mul_lo_u32 v47, v15, v43
	s_waitcnt lgkmcnt(3)
	v_mul_lo_u32 v50, v30, v42
	v_mul_lo_u32 v51, v30, v43
	;; [unrolled: 3-line block ×4, first 2 shown]
	ds_read2_b32 v[42:43], v6 offset0:64 offset1:80
	s_waitcnt lgkmcnt(1)
	v_mul_lo_u32 v48, v15, v44
	v_mul_lo_u32 v49, v15, v45
	;; [unrolled: 1-line block ×8, first 2 shown]
	s_waitcnt lgkmcnt(0)
	v_mul_lo_u32 v15, v16, v42
	v_add3_u32 v45, v11, v46, v15
	v_mul_lo_u32 v11, v16, v43
	v_add3_u32 v46, v14, v47, v11
	ds_read2_b32 v[14:15], v6 offset0:96 offset1:112
	s_waitcnt lgkmcnt(0)
	v_mul_lo_u32 v11, v16, v14
	v_add3_u32 v47, v12, v48, v11
	v_mul_lo_u32 v11, v16, v15
	v_add3_u32 v48, v13, v49, v11
	;; [unrolled: 2-line block ×12, first 2 shown]
	v_mul_lo_u32 v11, v39, v14
	ds_read2_b32 v[13:14], v6 offset0:160 offset1:176
	v_add3_u32 v31, v29, v44, v11
	v_mul_lo_u32 v11, v39, v15
	ds_read2_b32 v[15:16], v6 offset0:192 offset1:208
	v_add3_u32 v3, v3, v38, v11
	ds_read2_b32 v[11:12], v6 offset0:128 offset1:144
	s_waitcnt lgkmcnt(2)
	v_mul_lo_u32 v34, v17, v13
	v_mul_lo_u32 v39, v32, v13
	;; [unrolled: 1-line block ×4, first 2 shown]
	s_waitcnt lgkmcnt(0)
	v_mul_lo_u32 v29, v17, v11
	v_mul_lo_u32 v30, v17, v12
	v_mul_lo_u32 v35, v32, v11
	v_mul_lo_u32 v38, v32, v12
	v_mul_lo_u32 v42, v36, v11
	v_mul_lo_u32 v43, v36, v12
	v_mul_lo_u32 v49, v40, v11
	v_mul_lo_u32 v50, v40, v12
	v_mul_lo_u32 v11, v18, v15
	v_mul_lo_u32 v12, v18, v16
	v_mul_lo_u32 v17, v17, v14
	v_mul_lo_u32 v32, v32, v14
	v_mul_lo_u32 v36, v36, v14
	v_mul_lo_u32 v40, v40, v14
	v_add3_u32 v11, v45, v29, v11
	v_add3_u32 v14, v46, v30, v12
	ds_read2_b32 v[29:30], v6 offset0:224 offset1:240
	s_waitcnt lgkmcnt(0)
	s_barrier
	buffer_gl0_inv
	v_mul_lo_u32 v13, v18, v30
	v_mul_lo_u32 v12, v18, v29
	v_add3_u32 v13, v48, v17, v13
	v_mul_lo_u32 v17, v33, v15
	v_add3_u32 v12, v47, v34, v12
	v_add3_u32 v20, v20, v35, v17
	v_mul_lo_u32 v17, v33, v16
	v_add3_u32 v21, v21, v38, v17
	v_mul_lo_u32 v17, v33, v29
	;; [unrolled: 2-line block ×4, first 2 shown]
	v_mul_lo_u32 v15, v41, v15
	v_add3_u32 v23, v23, v42, v17
	v_mul_lo_u32 v17, v37, v16
	v_add3_u32 v27, v27, v49, v15
	;; [unrolled: 2-line block ×7, first 2 shown]
	v_add3_u32 v3, v3, v40, v15
	s_cbranch_vccnz .LBB478_2
.LBB478_3:
	s_clause 0x3
	s_load_dwordx4 s[12:15], s[4:5], 0x78
	s_load_dword s16, s[4:5], 0x18
	s_load_dword s9, s[4:5], 0x50
	s_load_dwordx8 s[0:7], s[4:5], 0x58
	v_add_co_u32 v30, s17, s20, v1
	v_add_co_ci_u32_e64 v31, null, s21, 0, s17
	v_add_co_u32 v9, s10, s10, v0
	v_add_co_ci_u32_e64 v10, null, s11, 0, s10
	v_lshlrev_b64 v[9:10], 2, v[9:10]
	s_waitcnt lgkmcnt(0)
	s_mul_i32 s11, s15, s8
	s_mul_hi_u32 s15, s14, s8
	s_mul_i32 s10, s14, s8
	v_mul_lo_u32 v18, v11, s16
	v_mul_lo_u32 v17, v14, s16
	;; [unrolled: 1-line block ×7, first 2 shown]
	s_add_i32 s11, s15, s11
	v_mul_lo_u32 v14, v19, s16
	v_mul_lo_u32 v8, v23, s16
	;; [unrolled: 1-line block ×11, first 2 shown]
	s_lshl_b64 s[10:11], s[10:11], 2
	s_add_u32 s6, s6, s10
	s_addc_u32 s7, s7, s11
	s_cmp_eq_u32 s9, 0
	s_mov_b32 s10, 0
	s_cbranch_scc1 .LBB478_7
; %bb.4:
	v_mul_lo_u32 v22, v31, s2
	v_mul_lo_u32 v23, v30, s3
	v_mad_u64_u32 v[20:21], null, v30, s2, 0
	s_mul_i32 s5, s5, s8
	s_mul_hi_u32 s11, s4, s8
	s_mul_i32 s4, s4, s8
	s_add_i32 s5, s11, s5
	s_lshl_b64 s[4:5], s[4:5], 2
	v_add3_u32 v21, v21, v23, v22
	s_add_u32 s0, s0, s4
	s_addc_u32 s1, s1, s5
	v_mad_u64_u32 v[22:23], null, v30, s12, 0
	v_lshlrev_b64 v[20:21], 2, v[20:21]
	v_add3_u32 v23, v23, v19, v3
	v_add_co_u32 v27, vcc_lo, s0, v20
	v_add_co_ci_u32_e64 v28, null, s1, v21, vcc_lo
	v_lshlrev_b64 v[22:23], 2, v[22:23]
	v_add_co_u32 v20, vcc_lo, v27, v9
	v_add_co_ci_u32_e64 v21, null, v28, v10, vcc_lo
	s_lshl_b64 s[0:1], s[2:3], 6
	v_add_co_u32 v29, vcc_lo, s6, v22
	global_load_dword v24, v[20:21], off
	v_add_co_ci_u32_e64 v31, null, s7, v23, vcc_lo
	s_lshl_b64 s[2:3], s[12:13], 6
	s_waitcnt vmcnt(0)
	v_mad_u64_u32 v[22:23], null, v24, s9, v[18:19]
	v_add_co_u32 v23, vcc_lo, v29, v9
	v_add_co_ci_u32_e64 v24, null, v31, v10, vcc_lo
	v_add_co_u32 v32, vcc_lo, v27, s0
	v_add_co_ci_u32_e64 v28, null, s1, v28, vcc_lo
	global_store_dword v[23:24], v22, off
	global_load_dword v22, v[20:21], off offset:64
	s_waitcnt vmcnt(0)
	v_mad_u64_u32 v[25:26], null, v22, s9, v[17:18]
	global_store_dword v[23:24], v25, off offset:64
	global_load_dword v22, v[20:21], off offset:128
	s_waitcnt vmcnt(0)
	v_mad_u64_u32 v[25:26], null, v22, s9, v[16:17]
	global_store_dword v[23:24], v25, off offset:128
	global_load_dword v20, v[20:21], off offset:192
	s_waitcnt vmcnt(0)
	v_mad_u64_u32 v[20:21], null, v20, s9, v[15:16]
	v_add_co_u32 v21, vcc_lo, v32, v9
	v_add_co_ci_u32_e64 v22, null, v28, v10, vcc_lo
	v_add_co_u32 v29, vcc_lo, v29, s2
	global_store_dword v[23:24], v20, off offset:192
	global_load_dword v20, v[21:22], off
	v_add_co_ci_u32_e64 v31, null, s3, v31, vcc_lo
	s_waitcnt vmcnt(0)
	v_mad_u64_u32 v[23:24], null, v20, s9, v[13:14]
	v_add_co_u32 v24, vcc_lo, v29, v9
	v_add_co_ci_u32_e64 v25, null, v31, v10, vcc_lo
	v_add_co_u32 v32, vcc_lo, v32, s0
	v_add_co_ci_u32_e64 v28, null, s1, v28, vcc_lo
	global_store_dword v[24:25], v23, off
	global_load_dword v20, v[21:22], off offset:64
	s_waitcnt vmcnt(0)
	v_mad_u64_u32 v[26:27], null, v20, s9, v[12:13]
	global_store_dword v[24:25], v26, off offset:64
	global_load_dword v20, v[21:22], off offset:128
	s_waitcnt vmcnt(0)
	v_mad_u64_u32 v[26:27], null, v20, s9, v[11:12]
	global_store_dword v[24:25], v26, off offset:128
	global_load_dword v20, v[21:22], off offset:192
	s_waitcnt vmcnt(0)
	v_mad_u64_u32 v[20:21], null, v20, s9, v[14:15]
	v_add_co_u32 v21, vcc_lo, v32, v9
	v_add_co_ci_u32_e64 v22, null, v28, v10, vcc_lo
	v_add_co_u32 v29, vcc_lo, v29, s2
	global_store_dword v[24:25], v20, off offset:192
	global_load_dword v20, v[21:22], off
	v_add_co_ci_u32_e64 v31, null, s3, v31, vcc_lo
	s_waitcnt vmcnt(0)
	v_mad_u64_u32 v[23:24], null, v20, s9, v[8:9]
	v_add_co_u32 v24, vcc_lo, v29, v9
	v_add_co_ci_u32_e64 v25, null, v31, v10, vcc_lo
	global_store_dword v[24:25], v23, off
	global_load_dword v20, v[21:22], off offset:64
	s_waitcnt vmcnt(0)
	v_mad_u64_u32 v[26:27], null, v20, s9, v[7:8]
	global_store_dword v[24:25], v26, off offset:64
	global_load_dword v20, v[21:22], off offset:128
	s_waitcnt vmcnt(0)
	v_mad_u64_u32 v[26:27], null, v20, s9, v[6:7]
	global_store_dword v[24:25], v26, off offset:128
	global_load_dword v20, v[21:22], off offset:192
	v_add_co_u32 v22, vcc_lo, v32, s0
	v_add_co_ci_u32_e64 v23, null, s1, v28, vcc_lo
	s_waitcnt vmcnt(0)
	v_mad_u64_u32 v[20:21], null, v20, s9, v[5:6]
	v_add_co_u32 v21, vcc_lo, v22, v9
	v_add_co_ci_u32_e64 v22, null, v23, v10, vcc_lo
	global_store_dword v[24:25], v20, off offset:192
	global_load_dword v20, v[21:22], off
	v_add_co_u32 v25, vcc_lo, v29, s2
	v_add_co_ci_u32_e64 v26, null, s3, v31, vcc_lo
	s_waitcnt vmcnt(0)
	v_mad_u64_u32 v[23:24], null, v20, s9, v[4:5]
	v_add_co_u32 v24, vcc_lo, v25, v9
	v_add_co_ci_u32_e64 v25, null, v26, v10, vcc_lo
	global_store_dword v[24:25], v23, off
	global_load_dword v20, v[21:22], off offset:64
	s_waitcnt vmcnt(0)
	v_mad_u64_u32 v[26:27], null, v20, s9, v[2:3]
	global_store_dword v[24:25], v26, off offset:64
	global_load_dword v20, v[21:22], off offset:128
	s_waitcnt vmcnt(0)
	v_mad_u64_u32 v[26:27], null, v20, s9, v[1:2]
	global_store_dword v[24:25], v26, off offset:128
	;; [unrolled: 4-line block ×3, first 2 shown]
	s_andn2_b32 vcc_lo, exec_lo, s10
	s_cbranch_vccnz .LBB478_6
.LBB478_5:
	v_mad_u64_u32 v[20:21], null, v30, s12, 0
	s_lshl_b64 s[0:1], s[12:13], 6
	v_add3_u32 v21, v21, v19, v3
	v_lshlrev_b64 v[19:20], 2, v[20:21]
	v_add_co_u32 v3, vcc_lo, s6, v19
	v_add_co_ci_u32_e64 v21, null, s7, v20, vcc_lo
	v_add_co_u32 v19, vcc_lo, v3, v9
	v_add_co_ci_u32_e64 v20, null, v21, v10, vcc_lo
	;; [unrolled: 2-line block ×3, first 2 shown]
	global_store_dword v[19:20], v18, off
	global_store_dword v[19:20], v17, off offset:64
	global_store_dword v[19:20], v16, off offset:128
	;; [unrolled: 1-line block ×3, first 2 shown]
	v_add_co_u32 v15, vcc_lo, v3, v9
	v_add_co_ci_u32_e64 v16, null, v21, v10, vcc_lo
	v_add_co_u32 v3, vcc_lo, v3, s0
	v_add_co_ci_u32_e64 v17, null, s1, v21, vcc_lo
	global_store_dword v[15:16], v13, off
	global_store_dword v[15:16], v12, off offset:64
	global_store_dword v[15:16], v11, off offset:128
	;; [unrolled: 1-line block ×3, first 2 shown]
	v_add_co_u32 v13, vcc_lo, v3, s0
	v_add_co_ci_u32_e64 v14, null, s1, v17, vcc_lo
	v_add_co_u32 v11, vcc_lo, v3, v9
	v_add_co_ci_u32_e64 v12, null, v17, v10, vcc_lo
	;; [unrolled: 2-line block ×3, first 2 shown]
	global_store_dword v[11:12], v8, off
	global_store_dword v[11:12], v7, off offset:64
	global_store_dword v[11:12], v6, off offset:128
	;; [unrolled: 1-line block ×3, first 2 shown]
	global_store_dword v[9:10], v4, off
	global_store_dword v[9:10], v2, off offset:64
	global_store_dword v[9:10], v1, off offset:128
	;; [unrolled: 1-line block ×3, first 2 shown]
.LBB478_6:
	s_endpgm
.LBB478_7:
	s_branch .LBB478_5
	.section	.rodata,"a",@progbits
	.p2align	6, 0x0
	.amdhsa_kernel _ZN12_GLOBAL__N_127rocblas_gemm_batched_kernelIiLi16ELi16ELi64ELi64ELi4ELi64ELi4ELi4ELi64ELc67ELc78EKaKiiEEvlllT_PT11_llS5_llS3_PT12_llPT13_lli
		.amdhsa_group_segment_fixed_size 2048
		.amdhsa_private_segment_fixed_size 0
		.amdhsa_kernarg_size 140
		.amdhsa_user_sgpr_count 6
		.amdhsa_user_sgpr_private_segment_buffer 1
		.amdhsa_user_sgpr_dispatch_ptr 0
		.amdhsa_user_sgpr_queue_ptr 0
		.amdhsa_user_sgpr_kernarg_segment_ptr 1
		.amdhsa_user_sgpr_dispatch_id 0
		.amdhsa_user_sgpr_flat_scratch_init 0
		.amdhsa_user_sgpr_private_segment_size 0
		.amdhsa_wavefront_size32 1
		.amdhsa_uses_dynamic_stack 0
		.amdhsa_system_sgpr_private_segment_wavefront_offset 0
		.amdhsa_system_sgpr_workgroup_id_x 1
		.amdhsa_system_sgpr_workgroup_id_y 1
		.amdhsa_system_sgpr_workgroup_id_z 1
		.amdhsa_system_sgpr_workgroup_info 0
		.amdhsa_system_vgpr_workitem_id 1
		.amdhsa_next_free_vgpr 58
		.amdhsa_next_free_sgpr 28
		.amdhsa_reserve_vcc 1
		.amdhsa_reserve_flat_scratch 0
		.amdhsa_float_round_mode_32 0
		.amdhsa_float_round_mode_16_64 0
		.amdhsa_float_denorm_mode_32 3
		.amdhsa_float_denorm_mode_16_64 3
		.amdhsa_dx10_clamp 1
		.amdhsa_ieee_mode 1
		.amdhsa_fp16_overflow 0
		.amdhsa_workgroup_processor_mode 1
		.amdhsa_memory_ordered 1
		.amdhsa_forward_progress 1
		.amdhsa_shared_vgpr_count 0
		.amdhsa_exception_fp_ieee_invalid_op 0
		.amdhsa_exception_fp_denorm_src 0
		.amdhsa_exception_fp_ieee_div_zero 0
		.amdhsa_exception_fp_ieee_overflow 0
		.amdhsa_exception_fp_ieee_underflow 0
		.amdhsa_exception_fp_ieee_inexact 0
		.amdhsa_exception_int_div_zero 0
	.end_amdhsa_kernel
	.section	.text._ZN12_GLOBAL__N_127rocblas_gemm_batched_kernelIiLi16ELi16ELi64ELi64ELi4ELi64ELi4ELi4ELi64ELc67ELc78EKaKiiEEvlllT_PT11_llS5_llS3_PT12_llPT13_lli,"axG",@progbits,_ZN12_GLOBAL__N_127rocblas_gemm_batched_kernelIiLi16ELi16ELi64ELi64ELi4ELi64ELi4ELi4ELi64ELc67ELc78EKaKiiEEvlllT_PT11_llS5_llS3_PT12_llPT13_lli,comdat
.Lfunc_end478:
	.size	_ZN12_GLOBAL__N_127rocblas_gemm_batched_kernelIiLi16ELi16ELi64ELi64ELi4ELi64ELi4ELi4ELi64ELc67ELc78EKaKiiEEvlllT_PT11_llS5_llS3_PT12_llPT13_lli, .Lfunc_end478-_ZN12_GLOBAL__N_127rocblas_gemm_batched_kernelIiLi16ELi16ELi64ELi64ELi4ELi64ELi4ELi4ELi64ELc67ELc78EKaKiiEEvlllT_PT11_llS5_llS3_PT12_llPT13_lli
                                        ; -- End function
	.set _ZN12_GLOBAL__N_127rocblas_gemm_batched_kernelIiLi16ELi16ELi64ELi64ELi4ELi64ELi4ELi4ELi64ELc67ELc78EKaKiiEEvlllT_PT11_llS5_llS3_PT12_llPT13_lli.num_vgpr, 58
	.set _ZN12_GLOBAL__N_127rocblas_gemm_batched_kernelIiLi16ELi16ELi64ELi64ELi4ELi64ELi4ELi4ELi64ELc67ELc78EKaKiiEEvlllT_PT11_llS5_llS3_PT12_llPT13_lli.num_agpr, 0
	.set _ZN12_GLOBAL__N_127rocblas_gemm_batched_kernelIiLi16ELi16ELi64ELi64ELi4ELi64ELi4ELi4ELi64ELc67ELc78EKaKiiEEvlllT_PT11_llS5_llS3_PT12_llPT13_lli.numbered_sgpr, 28
	.set _ZN12_GLOBAL__N_127rocblas_gemm_batched_kernelIiLi16ELi16ELi64ELi64ELi4ELi64ELi4ELi4ELi64ELc67ELc78EKaKiiEEvlllT_PT11_llS5_llS3_PT12_llPT13_lli.num_named_barrier, 0
	.set _ZN12_GLOBAL__N_127rocblas_gemm_batched_kernelIiLi16ELi16ELi64ELi64ELi4ELi64ELi4ELi4ELi64ELc67ELc78EKaKiiEEvlllT_PT11_llS5_llS3_PT12_llPT13_lli.private_seg_size, 0
	.set _ZN12_GLOBAL__N_127rocblas_gemm_batched_kernelIiLi16ELi16ELi64ELi64ELi4ELi64ELi4ELi4ELi64ELc67ELc78EKaKiiEEvlllT_PT11_llS5_llS3_PT12_llPT13_lli.uses_vcc, 1
	.set _ZN12_GLOBAL__N_127rocblas_gemm_batched_kernelIiLi16ELi16ELi64ELi64ELi4ELi64ELi4ELi4ELi64ELc67ELc78EKaKiiEEvlllT_PT11_llS5_llS3_PT12_llPT13_lli.uses_flat_scratch, 0
	.set _ZN12_GLOBAL__N_127rocblas_gemm_batched_kernelIiLi16ELi16ELi64ELi64ELi4ELi64ELi4ELi4ELi64ELc67ELc78EKaKiiEEvlllT_PT11_llS5_llS3_PT12_llPT13_lli.has_dyn_sized_stack, 0
	.set _ZN12_GLOBAL__N_127rocblas_gemm_batched_kernelIiLi16ELi16ELi64ELi64ELi4ELi64ELi4ELi4ELi64ELc67ELc78EKaKiiEEvlllT_PT11_llS5_llS3_PT12_llPT13_lli.has_recursion, 0
	.set _ZN12_GLOBAL__N_127rocblas_gemm_batched_kernelIiLi16ELi16ELi64ELi64ELi4ELi64ELi4ELi4ELi64ELc67ELc78EKaKiiEEvlllT_PT11_llS5_llS3_PT12_llPT13_lli.has_indirect_call, 0
	.section	.AMDGPU.csdata,"",@progbits
; Kernel info:
; codeLenInByte = 2852
; TotalNumSgprs: 30
; NumVgprs: 58
; ScratchSize: 0
; MemoryBound: 0
; FloatMode: 240
; IeeeMode: 1
; LDSByteSize: 2048 bytes/workgroup (compile time only)
; SGPRBlocks: 0
; VGPRBlocks: 7
; NumSGPRsForWavesPerEU: 30
; NumVGPRsForWavesPerEU: 58
; Occupancy: 16
; WaveLimiterHint : 0
; COMPUTE_PGM_RSRC2:SCRATCH_EN: 0
; COMPUTE_PGM_RSRC2:USER_SGPR: 6
; COMPUTE_PGM_RSRC2:TRAP_HANDLER: 0
; COMPUTE_PGM_RSRC2:TGID_X_EN: 1
; COMPUTE_PGM_RSRC2:TGID_Y_EN: 1
; COMPUTE_PGM_RSRC2:TGID_Z_EN: 1
; COMPUTE_PGM_RSRC2:TIDIG_COMP_CNT: 1
	.section	.text._ZN12_GLOBAL__N_127rocblas_gemm_batched_kernelIiLi16ELi16ELi64ELi64ELi4ELi64ELi4ELi4ELi64ELc67ELc84EKaKiiEEvlllT_PT11_llS5_llS3_PT12_llPT13_lli,"axG",@progbits,_ZN12_GLOBAL__N_127rocblas_gemm_batched_kernelIiLi16ELi16ELi64ELi64ELi4ELi64ELi4ELi4ELi64ELc67ELc84EKaKiiEEvlllT_PT11_llS5_llS3_PT12_llPT13_lli,comdat
	.globl	_ZN12_GLOBAL__N_127rocblas_gemm_batched_kernelIiLi16ELi16ELi64ELi64ELi4ELi64ELi4ELi4ELi64ELc67ELc84EKaKiiEEvlllT_PT11_llS5_llS3_PT12_llPT13_lli ; -- Begin function _ZN12_GLOBAL__N_127rocblas_gemm_batched_kernelIiLi16ELi16ELi64ELi64ELi4ELi64ELi4ELi4ELi64ELc67ELc84EKaKiiEEvlllT_PT11_llS5_llS3_PT12_llPT13_lli
	.p2align	8
	.type	_ZN12_GLOBAL__N_127rocblas_gemm_batched_kernelIiLi16ELi16ELi64ELi64ELi4ELi64ELi4ELi4ELi64ELc67ELc84EKaKiiEEvlllT_PT11_llS5_llS3_PT12_llPT13_lli,@function
_ZN12_GLOBAL__N_127rocblas_gemm_batched_kernelIiLi16ELi16ELi64ELi64ELi4ELi64ELi4ELi4ELi64ELc67ELc84EKaKiiEEvlllT_PT11_llS5_llS3_PT12_llPT13_lli: ; @_ZN12_GLOBAL__N_127rocblas_gemm_batched_kernelIiLi16ELi16ELi64ELi64ELi4ELi64ELi4ELi4ELi64ELc67ELc84EKaKiiEEvlllT_PT11_llS5_llS3_PT12_llPT13_lli
; %bb.0:
	s_load_dwordx2 s[22:23], s[4:5], 0x10
	s_mov_b32 s0, s7
	v_mov_b32_e32 v15, 0
	v_mov_b32_e32 v11, 0
	;; [unrolled: 1-line block ×16, first 2 shown]
	s_ashr_i32 s7, s6, 31
	s_ashr_i32 s1, s0, 31
	s_waitcnt lgkmcnt(0)
	v_cmp_lt_i64_e64 s2, s[22:23], 1
	s_lshl_b64 s[10:11], s[6:7], 6
	s_lshl_b64 s[20:21], s[0:1], 6
	s_and_b32 vcc_lo, exec_lo, s2
	s_cbranch_vccnz .LBB479_3
; %bb.1:
	s_load_dwordx4 s[0:3], s[4:5], 0x40
	v_lshlrev_b32_e32 v2, 4, v1
	v_mov_b32_e32 v3, 0
	s_load_dwordx8 s[12:19], s[4:5], 0x20
	v_and_b32_e32 v17, 3, v0
	v_lshlrev_b32_e32 v6, 2, v0
	v_add_nc_u32_e32 v4, v2, v0
	v_add_nc_u32_e32 v7, 0x400, v2
	v_mov_b32_e32 v9, v3
	v_lshlrev_b32_e32 v18, 2, v17
	v_mov_b32_e32 v5, v3
	v_lshrrev_b32_e32 v2, 2, v4
	v_and_b32_e32 v29, 63, v4
	v_lshrrev_b32_e32 v4, 6, v4
	v_mov_b32_e32 v28, v3
	v_mov_b32_e32 v27, v3
	;; [unrolled: 1-line block ×3, first 2 shown]
	v_lshlrev_b32_e32 v30, 2, v29
	v_mov_b32_e32 v22, v3
	v_mov_b32_e32 v25, v3
	s_waitcnt lgkmcnt(0)
	v_mad_u64_u32 v[12:13], null, s2, s8, v[2:3]
	v_mov_b32_e32 v24, v3
	s_mul_i32 s6, s17, s8
	s_mul_hi_u32 s7, s16, s8
	s_mul_i32 s9, s16, s8
	s_add_i32 s7, s7, s6
	v_mov_b32_e32 v23, v3
	v_mov_b32_e32 v8, v13
	;; [unrolled: 1-line block ×6, first 2 shown]
	v_mad_u64_u32 v[15:16], null, s3, s8, v[8:9]
	v_lshl_or_b32 v8, v2, 4, v18
	v_add_co_u32 v18, s2, s10, v29
	v_add_co_ci_u32_e64 v29, null, s11, 0, s2
	v_lshl_or_b32 v2, v4, 8, v30
	v_mov_b32_e32 v13, v15
	v_mad_u64_u32 v[4:5], null, s14, v18, v[4:5]
	v_mul_lo_u32 v18, s15, v18
	s_lshl_b64 s[2:3], s[0:1], 2
	v_mad_u64_u32 v[15:16], null, s0, v17, v[12:13]
	v_mul_lo_u32 v13, s14, v29
	s_add_u32 s0, s18, s20
	s_addc_u32 s6, s19, s21
	s_add_u32 s9, s12, s9
	s_addc_u32 s7, s13, s7
	v_mov_b32_e32 v10, v3
	v_mov_b32_e32 v12, v16
	;; [unrolled: 1-line block ×3, first 2 shown]
	v_add3_u32 v5, v18, v5, v13
	v_add_nc_u32_e32 v8, 0x400, v8
	v_mad_u64_u32 v[16:17], null, s1, v17, v[12:13]
	v_add_co_u32 v12, vcc_lo, s9, v4
	v_add_co_ci_u32_e64 v13, null, s7, v5, vcc_lo
	v_add_co_u32 v4, vcc_lo, s0, v15
	v_add_co_ci_u32_e64 v5, null, s6, v16, vcc_lo
	v_mov_b32_e32 v15, v3
	s_mov_b64 s[0:1], 0
.LBB479_2:                              ; =>This Inner Loop Header: Depth=1
	v_add_co_u32 v16, vcc_lo, v12, s0
	v_add_co_ci_u32_e64 v17, null, s1, v13, vcc_lo
	s_add_u32 s0, s0, 4
	s_addc_u32 s1, s1, 0
	v_cmp_lt_i64_e64 s6, s[0:1], s[22:23]
	global_load_sbyte v16, v[16:17], off
	s_waitcnt vmcnt(0)
	ds_write_b32 v2, v16
	global_load_sbyte v16, v[4:5], off
	v_add_co_u32 v4, vcc_lo, v4, s2
	v_add_co_ci_u32_e64 v5, null, s3, v5, vcc_lo
	s_and_b32 vcc_lo, exec_lo, s6
	s_waitcnt vmcnt(0)
	ds_write_b32 v8, v16
	s_waitcnt lgkmcnt(0)
	s_barrier
	buffer_gl0_inv
	ds_read_b128 v[29:32], v7
	ds_read2_b32 v[16:17], v6 offset1:16
	ds_read_b128 v[33:36], v7 offset:256
	ds_read_b128 v[37:40], v7 offset:512
	;; [unrolled: 1-line block ×3, first 2 shown]
	ds_read2_b32 v[45:46], v6 offset0:32 offset1:48
	s_waitcnt lgkmcnt(4)
	v_mul_lo_u32 v18, v29, v16
	v_mul_lo_u32 v47, v29, v17
	s_waitcnt lgkmcnt(3)
	v_mul_lo_u32 v49, v33, v16
	v_mul_lo_u32 v50, v33, v17
	;; [unrolled: 3-line block ×4, first 2 shown]
	ds_read2_b32 v[16:17], v6 offset0:64 offset1:80
	s_waitcnt lgkmcnt(1)
	v_mul_lo_u32 v48, v29, v45
	v_mul_lo_u32 v51, v33, v45
	;; [unrolled: 1-line block ×8, first 2 shown]
	s_waitcnt lgkmcnt(0)
	v_mul_lo_u32 v45, v30, v16
	v_add3_u32 v18, v15, v18, v45
	ds_read2_b32 v[45:46], v6 offset0:96 offset1:112
	v_mul_lo_u32 v15, v30, v17
	v_add3_u32 v11, v11, v47, v15
	s_waitcnt lgkmcnt(0)
	v_mul_lo_u32 v15, v30, v45
	v_add3_u32 v47, v10, v48, v15
	v_mul_lo_u32 v10, v30, v46
	v_add3_u32 v30, v9, v29, v10
	;; [unrolled: 2-line block ×6, first 2 shown]
	v_mul_lo_u32 v9, v38, v16
	ds_read2_b32 v[14:15], v6 offset0:160 offset1:176
	v_add3_u32 v23, v23, v52, v9
	v_mul_lo_u32 v9, v38, v17
	v_add3_u32 v24, v24, v53, v9
	v_mul_lo_u32 v9, v38, v45
	s_waitcnt lgkmcnt(0)
	v_mul_lo_u32 v48, v39, v14
	v_mul_lo_u32 v51, v43, v14
	v_add3_u32 v25, v25, v54, v9
	v_mul_lo_u32 v9, v38, v46
	v_add3_u32 v22, v22, v37, v9
	v_mul_lo_u32 v9, v42, v16
	v_mul_lo_u32 v37, v31, v14
	v_add3_u32 v26, v26, v55, v9
	v_mul_lo_u32 v9, v42, v17
	ds_read2_b32 v[16:17], v6 offset0:192 offset1:208
	v_add3_u32 v27, v27, v56, v9
	v_mul_lo_u32 v9, v42, v45
	v_add3_u32 v34, v28, v57, v9
	v_mul_lo_u32 v9, v42, v46
	v_mul_lo_u32 v42, v35, v14
	s_waitcnt lgkmcnt(0)
	v_mul_lo_u32 v14, v36, v16
	v_add3_u32 v3, v3, v41, v9
	ds_read2_b32 v[9:10], v6 offset0:128 offset1:144
	s_waitcnt lgkmcnt(0)
	v_mul_lo_u32 v28, v31, v9
	v_mul_lo_u32 v38, v35, v9
	;; [unrolled: 1-line block ×13, first 2 shown]
	v_add3_u32 v15, v18, v28, v9
	v_mul_lo_u32 v9, v32, v17
	v_mul_lo_u32 v18, v40, v16
	v_mul_lo_u32 v16, v44, v16
	v_add3_u32 v19, v19, v38, v14
	v_mul_lo_u32 v14, v36, v17
	v_add3_u32 v11, v11, v29, v9
	ds_read2_b32 v[28:29], v6 offset0:224 offset1:240
	v_add3_u32 v23, v23, v45, v18
	v_mul_lo_u32 v18, v40, v17
	v_add3_u32 v26, v26, v49, v16
	v_mul_lo_u32 v16, v44, v17
	v_add3_u32 v20, v20, v41, v14
	s_waitcnt lgkmcnt(0)
	s_barrier
	buffer_gl0_inv
	v_add3_u32 v24, v24, v46, v18
	v_add3_u32 v27, v27, v50, v16
	v_mul_lo_u32 v9, v32, v28
	v_mul_lo_u32 v14, v36, v28
	;; [unrolled: 1-line block ×4, first 2 shown]
	v_add3_u32 v10, v47, v37, v9
	v_mul_lo_u32 v9, v32, v29
	v_add3_u32 v21, v21, v42, v14
	v_mul_lo_u32 v14, v36, v29
	v_add3_u32 v25, v25, v48, v18
	v_mul_lo_u32 v18, v40, v29
	v_add3_u32 v28, v34, v51, v16
	v_mul_lo_u32 v16, v44, v29
	v_add3_u32 v9, v30, v31, v9
	v_add3_u32 v14, v33, v35, v14
	;; [unrolled: 1-line block ×4, first 2 shown]
	s_cbranch_vccnz .LBB479_2
.LBB479_3:
	s_clause 0x3
	s_load_dwordx4 s[12:15], s[4:5], 0x78
	s_load_dword s16, s[4:5], 0x18
	s_load_dword s9, s[4:5], 0x50
	s_load_dwordx8 s[0:7], s[4:5], 0x58
	v_add_co_u32 v29, s17, s20, v1
	v_add_co_ci_u32_e64 v30, null, s21, 0, s17
	v_add_co_u32 v31, s10, s10, v0
	v_add_co_ci_u32_e64 v32, null, s11, 0, s10
	s_waitcnt lgkmcnt(0)
	s_mul_i32 s11, s15, s8
	s_mul_hi_u32 s15, s14, s8
	s_mul_i32 s10, s14, s8
	v_mul_lo_u32 v18, v15, s16
	v_mul_lo_u32 v17, v11, s16
	;; [unrolled: 1-line block ×7, first 2 shown]
	s_add_i32 s11, s15, s11
	v_mul_lo_u32 v14, v14, s16
	v_mul_lo_u32 v8, v23, s16
	;; [unrolled: 1-line block ×11, first 2 shown]
	s_lshl_b64 s[10:11], s[10:11], 2
	v_lshlrev_b64 v[9:10], 2, v[31:32]
	s_add_u32 s6, s6, s10
	s_addc_u32 s7, s7, s11
	s_cmp_eq_u32 s9, 0
	s_mov_b32 s10, 0
	s_cbranch_scc1 .LBB479_7
; %bb.4:
	v_mul_lo_u32 v22, v30, s2
	v_mul_lo_u32 v23, v29, s3
	v_mad_u64_u32 v[20:21], null, v29, s2, 0
	s_mul_i32 s5, s5, s8
	s_mul_hi_u32 s11, s4, s8
	s_mul_i32 s4, s4, s8
	s_add_i32 s5, s11, s5
	s_lshl_b64 s[4:5], s[4:5], 2
	v_add3_u32 v21, v21, v23, v22
	s_add_u32 s0, s0, s4
	s_addc_u32 s1, s1, s5
	v_mad_u64_u32 v[22:23], null, v29, s12, 0
	v_lshlrev_b64 v[20:21], 2, v[20:21]
	v_add3_u32 v23, v23, v19, v3
	v_add_co_u32 v27, vcc_lo, s0, v20
	v_add_co_ci_u32_e64 v28, null, s1, v21, vcc_lo
	v_lshlrev_b64 v[22:23], 2, v[22:23]
	v_add_co_u32 v20, vcc_lo, v27, v9
	v_add_co_ci_u32_e64 v21, null, v28, v10, vcc_lo
	s_lshl_b64 s[0:1], s[2:3], 6
	v_add_co_u32 v30, vcc_lo, s6, v22
	global_load_dword v24, v[20:21], off
	v_add_co_ci_u32_e64 v31, null, s7, v23, vcc_lo
	s_lshl_b64 s[2:3], s[12:13], 6
	s_waitcnt vmcnt(0)
	v_mad_u64_u32 v[22:23], null, v24, s9, v[18:19]
	v_add_co_u32 v23, vcc_lo, v30, v9
	v_add_co_ci_u32_e64 v24, null, v31, v10, vcc_lo
	v_add_co_u32 v32, vcc_lo, v27, s0
	v_add_co_ci_u32_e64 v28, null, s1, v28, vcc_lo
	global_store_dword v[23:24], v22, off
	global_load_dword v22, v[20:21], off offset:64
	s_waitcnt vmcnt(0)
	v_mad_u64_u32 v[25:26], null, v22, s9, v[17:18]
	global_store_dword v[23:24], v25, off offset:64
	global_load_dword v22, v[20:21], off offset:128
	s_waitcnt vmcnt(0)
	v_mad_u64_u32 v[25:26], null, v22, s9, v[16:17]
	global_store_dword v[23:24], v25, off offset:128
	global_load_dword v20, v[20:21], off offset:192
	s_waitcnt vmcnt(0)
	v_mad_u64_u32 v[20:21], null, v20, s9, v[15:16]
	v_add_co_u32 v21, vcc_lo, v32, v9
	v_add_co_ci_u32_e64 v22, null, v28, v10, vcc_lo
	v_add_co_u32 v30, vcc_lo, v30, s2
	global_store_dword v[23:24], v20, off offset:192
	global_load_dword v20, v[21:22], off
	v_add_co_ci_u32_e64 v31, null, s3, v31, vcc_lo
	s_waitcnt vmcnt(0)
	v_mad_u64_u32 v[23:24], null, v20, s9, v[13:14]
	v_add_co_u32 v24, vcc_lo, v30, v9
	v_add_co_ci_u32_e64 v25, null, v31, v10, vcc_lo
	v_add_co_u32 v32, vcc_lo, v32, s0
	v_add_co_ci_u32_e64 v28, null, s1, v28, vcc_lo
	global_store_dword v[24:25], v23, off
	global_load_dword v20, v[21:22], off offset:64
	s_waitcnt vmcnt(0)
	v_mad_u64_u32 v[26:27], null, v20, s9, v[12:13]
	global_store_dword v[24:25], v26, off offset:64
	global_load_dword v20, v[21:22], off offset:128
	s_waitcnt vmcnt(0)
	v_mad_u64_u32 v[26:27], null, v20, s9, v[11:12]
	global_store_dword v[24:25], v26, off offset:128
	global_load_dword v20, v[21:22], off offset:192
	s_waitcnt vmcnt(0)
	v_mad_u64_u32 v[20:21], null, v20, s9, v[14:15]
	v_add_co_u32 v21, vcc_lo, v32, v9
	v_add_co_ci_u32_e64 v22, null, v28, v10, vcc_lo
	v_add_co_u32 v30, vcc_lo, v30, s2
	global_store_dword v[24:25], v20, off offset:192
	global_load_dword v20, v[21:22], off
	v_add_co_ci_u32_e64 v31, null, s3, v31, vcc_lo
	s_waitcnt vmcnt(0)
	v_mad_u64_u32 v[23:24], null, v20, s9, v[8:9]
	v_add_co_u32 v24, vcc_lo, v30, v9
	v_add_co_ci_u32_e64 v25, null, v31, v10, vcc_lo
	global_store_dword v[24:25], v23, off
	global_load_dword v20, v[21:22], off offset:64
	s_waitcnt vmcnt(0)
	v_mad_u64_u32 v[26:27], null, v20, s9, v[7:8]
	global_store_dword v[24:25], v26, off offset:64
	global_load_dword v20, v[21:22], off offset:128
	s_waitcnt vmcnt(0)
	v_mad_u64_u32 v[26:27], null, v20, s9, v[6:7]
	global_store_dword v[24:25], v26, off offset:128
	global_load_dword v20, v[21:22], off offset:192
	v_add_co_u32 v22, vcc_lo, v32, s0
	v_add_co_ci_u32_e64 v23, null, s1, v28, vcc_lo
	s_waitcnt vmcnt(0)
	v_mad_u64_u32 v[20:21], null, v20, s9, v[5:6]
	v_add_co_u32 v21, vcc_lo, v22, v9
	v_add_co_ci_u32_e64 v22, null, v23, v10, vcc_lo
	global_store_dword v[24:25], v20, off offset:192
	global_load_dword v20, v[21:22], off
	v_add_co_u32 v25, vcc_lo, v30, s2
	v_add_co_ci_u32_e64 v26, null, s3, v31, vcc_lo
	s_waitcnt vmcnt(0)
	v_mad_u64_u32 v[23:24], null, v20, s9, v[4:5]
	v_add_co_u32 v24, vcc_lo, v25, v9
	v_add_co_ci_u32_e64 v25, null, v26, v10, vcc_lo
	global_store_dword v[24:25], v23, off
	global_load_dword v20, v[21:22], off offset:64
	s_waitcnt vmcnt(0)
	v_mad_u64_u32 v[26:27], null, v20, s9, v[2:3]
	global_store_dword v[24:25], v26, off offset:64
	global_load_dword v20, v[21:22], off offset:128
	s_waitcnt vmcnt(0)
	v_mad_u64_u32 v[26:27], null, v20, s9, v[1:2]
	global_store_dword v[24:25], v26, off offset:128
	;; [unrolled: 4-line block ×3, first 2 shown]
	s_andn2_b32 vcc_lo, exec_lo, s10
	s_cbranch_vccnz .LBB479_6
.LBB479_5:
	v_mad_u64_u32 v[20:21], null, v29, s12, 0
	s_lshl_b64 s[0:1], s[12:13], 6
	v_add3_u32 v21, v21, v19, v3
	v_lshlrev_b64 v[19:20], 2, v[20:21]
	v_add_co_u32 v3, vcc_lo, s6, v19
	v_add_co_ci_u32_e64 v21, null, s7, v20, vcc_lo
	v_add_co_u32 v19, vcc_lo, v3, v9
	v_add_co_ci_u32_e64 v20, null, v21, v10, vcc_lo
	;; [unrolled: 2-line block ×3, first 2 shown]
	global_store_dword v[19:20], v18, off
	global_store_dword v[19:20], v17, off offset:64
	global_store_dword v[19:20], v16, off offset:128
	;; [unrolled: 1-line block ×3, first 2 shown]
	v_add_co_u32 v15, vcc_lo, v3, v9
	v_add_co_ci_u32_e64 v16, null, v21, v10, vcc_lo
	v_add_co_u32 v3, vcc_lo, v3, s0
	v_add_co_ci_u32_e64 v17, null, s1, v21, vcc_lo
	global_store_dword v[15:16], v13, off
	global_store_dword v[15:16], v12, off offset:64
	global_store_dword v[15:16], v11, off offset:128
	;; [unrolled: 1-line block ×3, first 2 shown]
	v_add_co_u32 v13, vcc_lo, v3, s0
	v_add_co_ci_u32_e64 v14, null, s1, v17, vcc_lo
	v_add_co_u32 v11, vcc_lo, v3, v9
	v_add_co_ci_u32_e64 v12, null, v17, v10, vcc_lo
	;; [unrolled: 2-line block ×3, first 2 shown]
	global_store_dword v[11:12], v8, off
	global_store_dword v[11:12], v7, off offset:64
	global_store_dword v[11:12], v6, off offset:128
	;; [unrolled: 1-line block ×3, first 2 shown]
	global_store_dword v[9:10], v4, off
	global_store_dword v[9:10], v2, off offset:64
	global_store_dword v[9:10], v1, off offset:128
	;; [unrolled: 1-line block ×3, first 2 shown]
.LBB479_6:
	s_endpgm
.LBB479_7:
	s_branch .LBB479_5
	.section	.rodata,"a",@progbits
	.p2align	6, 0x0
	.amdhsa_kernel _ZN12_GLOBAL__N_127rocblas_gemm_batched_kernelIiLi16ELi16ELi64ELi64ELi4ELi64ELi4ELi4ELi64ELc67ELc84EKaKiiEEvlllT_PT11_llS5_llS3_PT12_llPT13_lli
		.amdhsa_group_segment_fixed_size 2048
		.amdhsa_private_segment_fixed_size 0
		.amdhsa_kernarg_size 140
		.amdhsa_user_sgpr_count 6
		.amdhsa_user_sgpr_private_segment_buffer 1
		.amdhsa_user_sgpr_dispatch_ptr 0
		.amdhsa_user_sgpr_queue_ptr 0
		.amdhsa_user_sgpr_kernarg_segment_ptr 1
		.amdhsa_user_sgpr_dispatch_id 0
		.amdhsa_user_sgpr_flat_scratch_init 0
		.amdhsa_user_sgpr_private_segment_size 0
		.amdhsa_wavefront_size32 1
		.amdhsa_uses_dynamic_stack 0
		.amdhsa_system_sgpr_private_segment_wavefront_offset 0
		.amdhsa_system_sgpr_workgroup_id_x 1
		.amdhsa_system_sgpr_workgroup_id_y 1
		.amdhsa_system_sgpr_workgroup_id_z 1
		.amdhsa_system_sgpr_workgroup_info 0
		.amdhsa_system_vgpr_workitem_id 1
		.amdhsa_next_free_vgpr 58
		.amdhsa_next_free_sgpr 24
		.amdhsa_reserve_vcc 1
		.amdhsa_reserve_flat_scratch 0
		.amdhsa_float_round_mode_32 0
		.amdhsa_float_round_mode_16_64 0
		.amdhsa_float_denorm_mode_32 3
		.amdhsa_float_denorm_mode_16_64 3
		.amdhsa_dx10_clamp 1
		.amdhsa_ieee_mode 1
		.amdhsa_fp16_overflow 0
		.amdhsa_workgroup_processor_mode 1
		.amdhsa_memory_ordered 1
		.amdhsa_forward_progress 1
		.amdhsa_shared_vgpr_count 0
		.amdhsa_exception_fp_ieee_invalid_op 0
		.amdhsa_exception_fp_denorm_src 0
		.amdhsa_exception_fp_ieee_div_zero 0
		.amdhsa_exception_fp_ieee_overflow 0
		.amdhsa_exception_fp_ieee_underflow 0
		.amdhsa_exception_fp_ieee_inexact 0
		.amdhsa_exception_int_div_zero 0
	.end_amdhsa_kernel
	.section	.text._ZN12_GLOBAL__N_127rocblas_gemm_batched_kernelIiLi16ELi16ELi64ELi64ELi4ELi64ELi4ELi4ELi64ELc67ELc84EKaKiiEEvlllT_PT11_llS5_llS3_PT12_llPT13_lli,"axG",@progbits,_ZN12_GLOBAL__N_127rocblas_gemm_batched_kernelIiLi16ELi16ELi64ELi64ELi4ELi64ELi4ELi4ELi64ELc67ELc84EKaKiiEEvlllT_PT11_llS5_llS3_PT12_llPT13_lli,comdat
.Lfunc_end479:
	.size	_ZN12_GLOBAL__N_127rocblas_gemm_batched_kernelIiLi16ELi16ELi64ELi64ELi4ELi64ELi4ELi4ELi64ELc67ELc84EKaKiiEEvlllT_PT11_llS5_llS3_PT12_llPT13_lli, .Lfunc_end479-_ZN12_GLOBAL__N_127rocblas_gemm_batched_kernelIiLi16ELi16ELi64ELi64ELi4ELi64ELi4ELi4ELi64ELc67ELc84EKaKiiEEvlllT_PT11_llS5_llS3_PT12_llPT13_lli
                                        ; -- End function
	.set _ZN12_GLOBAL__N_127rocblas_gemm_batched_kernelIiLi16ELi16ELi64ELi64ELi4ELi64ELi4ELi4ELi64ELc67ELc84EKaKiiEEvlllT_PT11_llS5_llS3_PT12_llPT13_lli.num_vgpr, 58
	.set _ZN12_GLOBAL__N_127rocblas_gemm_batched_kernelIiLi16ELi16ELi64ELi64ELi4ELi64ELi4ELi4ELi64ELc67ELc84EKaKiiEEvlllT_PT11_llS5_llS3_PT12_llPT13_lli.num_agpr, 0
	.set _ZN12_GLOBAL__N_127rocblas_gemm_batched_kernelIiLi16ELi16ELi64ELi64ELi4ELi64ELi4ELi4ELi64ELc67ELc84EKaKiiEEvlllT_PT11_llS5_llS3_PT12_llPT13_lli.numbered_sgpr, 24
	.set _ZN12_GLOBAL__N_127rocblas_gemm_batched_kernelIiLi16ELi16ELi64ELi64ELi4ELi64ELi4ELi4ELi64ELc67ELc84EKaKiiEEvlllT_PT11_llS5_llS3_PT12_llPT13_lli.num_named_barrier, 0
	.set _ZN12_GLOBAL__N_127rocblas_gemm_batched_kernelIiLi16ELi16ELi64ELi64ELi4ELi64ELi4ELi4ELi64ELc67ELc84EKaKiiEEvlllT_PT11_llS5_llS3_PT12_llPT13_lli.private_seg_size, 0
	.set _ZN12_GLOBAL__N_127rocblas_gemm_batched_kernelIiLi16ELi16ELi64ELi64ELi4ELi64ELi4ELi4ELi64ELc67ELc84EKaKiiEEvlllT_PT11_llS5_llS3_PT12_llPT13_lli.uses_vcc, 1
	.set _ZN12_GLOBAL__N_127rocblas_gemm_batched_kernelIiLi16ELi16ELi64ELi64ELi4ELi64ELi4ELi4ELi64ELc67ELc84EKaKiiEEvlllT_PT11_llS5_llS3_PT12_llPT13_lli.uses_flat_scratch, 0
	.set _ZN12_GLOBAL__N_127rocblas_gemm_batched_kernelIiLi16ELi16ELi64ELi64ELi4ELi64ELi4ELi4ELi64ELc67ELc84EKaKiiEEvlllT_PT11_llS5_llS3_PT12_llPT13_lli.has_dyn_sized_stack, 0
	.set _ZN12_GLOBAL__N_127rocblas_gemm_batched_kernelIiLi16ELi16ELi64ELi64ELi4ELi64ELi4ELi4ELi64ELc67ELc84EKaKiiEEvlllT_PT11_llS5_llS3_PT12_llPT13_lli.has_recursion, 0
	.set _ZN12_GLOBAL__N_127rocblas_gemm_batched_kernelIiLi16ELi16ELi64ELi64ELi4ELi64ELi4ELi4ELi64ELc67ELc84EKaKiiEEvlllT_PT11_llS5_llS3_PT12_llPT13_lli.has_indirect_call, 0
	.section	.AMDGPU.csdata,"",@progbits
; Kernel info:
; codeLenInByte = 2832
; TotalNumSgprs: 26
; NumVgprs: 58
; ScratchSize: 0
; MemoryBound: 0
; FloatMode: 240
; IeeeMode: 1
; LDSByteSize: 2048 bytes/workgroup (compile time only)
; SGPRBlocks: 0
; VGPRBlocks: 7
; NumSGPRsForWavesPerEU: 26
; NumVGPRsForWavesPerEU: 58
; Occupancy: 16
; WaveLimiterHint : 0
; COMPUTE_PGM_RSRC2:SCRATCH_EN: 0
; COMPUTE_PGM_RSRC2:USER_SGPR: 6
; COMPUTE_PGM_RSRC2:TRAP_HANDLER: 0
; COMPUTE_PGM_RSRC2:TGID_X_EN: 1
; COMPUTE_PGM_RSRC2:TGID_Y_EN: 1
; COMPUTE_PGM_RSRC2:TGID_Z_EN: 1
; COMPUTE_PGM_RSRC2:TIDIG_COMP_CNT: 1
	.section	.text._ZN12_GLOBAL__N_127rocblas_gemm_batched_kernelIiLi16ELi16ELi64ELi64ELi4ELi64ELi4ELi4ELi64ELc78ELc67EKaKiiEEvlllT_PT11_llS5_llS3_PT12_llPT13_lli,"axG",@progbits,_ZN12_GLOBAL__N_127rocblas_gemm_batched_kernelIiLi16ELi16ELi64ELi64ELi4ELi64ELi4ELi4ELi64ELc78ELc67EKaKiiEEvlllT_PT11_llS5_llS3_PT12_llPT13_lli,comdat
	.globl	_ZN12_GLOBAL__N_127rocblas_gemm_batched_kernelIiLi16ELi16ELi64ELi64ELi4ELi64ELi4ELi4ELi64ELc78ELc67EKaKiiEEvlllT_PT11_llS5_llS3_PT12_llPT13_lli ; -- Begin function _ZN12_GLOBAL__N_127rocblas_gemm_batched_kernelIiLi16ELi16ELi64ELi64ELi4ELi64ELi4ELi4ELi64ELc78ELc67EKaKiiEEvlllT_PT11_llS5_llS3_PT12_llPT13_lli
	.p2align	8
	.type	_ZN12_GLOBAL__N_127rocblas_gemm_batched_kernelIiLi16ELi16ELi64ELi64ELi4ELi64ELi4ELi4ELi64ELc78ELc67EKaKiiEEvlllT_PT11_llS5_llS3_PT12_llPT13_lli,@function
_ZN12_GLOBAL__N_127rocblas_gemm_batched_kernelIiLi16ELi16ELi64ELi64ELi4ELi64ELi4ELi4ELi64ELc78ELc67EKaKiiEEvlllT_PT11_llS5_llS3_PT12_llPT13_lli: ; @_ZN12_GLOBAL__N_127rocblas_gemm_batched_kernelIiLi16ELi16ELi64ELi64ELi4ELi64ELi4ELi4ELi64ELc78ELc67EKaKiiEEvlllT_PT11_llS5_llS3_PT12_llPT13_lli
; %bb.0:
	s_load_dwordx2 s[22:23], s[4:5], 0x10
	s_mov_b32 s0, s7
	v_mov_b32_e32 v13, 0
	v_mov_b32_e32 v15, 0
	;; [unrolled: 1-line block ×16, first 2 shown]
	s_ashr_i32 s7, s6, 31
	s_ashr_i32 s1, s0, 31
	s_waitcnt lgkmcnt(0)
	v_cmp_lt_i64_e64 s2, s[22:23], 1
	s_lshl_b64 s[10:11], s[6:7], 6
	s_lshl_b64 s[20:21], s[0:1], 6
	s_and_b32 vcc_lo, exec_lo, s2
	s_cbranch_vccnz .LBB480_3
; %bb.1:
	s_clause 0x1
	s_load_dwordx4 s[0:3], s[4:5], 0x40
	s_load_dwordx8 s[12:19], s[4:5], 0x20
	v_lshlrev_b32_e32 v2, 4, v1
	v_mov_b32_e32 v3, 0
	v_and_b32_e32 v13, 3, v0
	v_lshlrev_b32_e32 v8, 2, v0
	v_add_nc_u32_e32 v10, v2, v0
	v_add_nc_u32_e32 v9, 0x400, v2
	v_lshlrev_b32_e32 v15, 2, v13
	v_mov_b32_e32 v28, v3
	v_mov_b32_e32 v27, v3
	v_lshrrev_b32_e32 v2, 2, v10
	v_lshrrev_b32_e32 v18, 6, v10
	v_and_b32_e32 v29, 63, v10
	v_mov_b32_e32 v26, v3
	v_mov_b32_e32 v20, v3
	v_lshl_or_b32 v30, v2, 4, v15
	v_mov_b32_e32 v19, v3
	v_lshlrev_b32_e32 v10, 2, v29
	s_waitcnt lgkmcnt(0)
	v_mad_u64_u32 v[4:5], null, s2, s8, v[2:3]
	s_mul_i32 s2, s17, s8
	s_mul_hi_u32 s9, s16, s8
	s_mul_i32 s24, s16, s8
	s_lshl_b64 s[6:7], s[14:15], 2
	s_lshl_b64 s[16:17], s[0:1], 2
	s_add_i32 s9, s9, s2
	v_mad_u64_u32 v[5:6], null, s3, s8, v[5:6]
	s_add_u32 s18, s18, s20
	s_addc_u32 s19, s19, s21
	s_add_u32 s2, s10, s24
	s_addc_u32 s3, s11, s9
	v_lshl_or_b32 v2, v18, 8, v10
	v_mad_u64_u32 v[6:7], null, s14, v18, s[2:3]
	v_mad_u64_u32 v[16:17], null, s0, v13, v[4:5]
	v_mov_b32_e32 v22, v3
	v_mov_b32_e32 v21, v3
	;; [unrolled: 1-line block ×4, first 2 shown]
	v_mad_u64_u32 v[4:5], null, s15, v18, v[7:8]
	v_mov_b32_e32 v5, v17
	v_add_co_u32 v6, vcc_lo, v6, v29
	v_mov_b32_e32 v24, v3
	v_mov_b32_e32 v23, v3
	v_mov_b32_e32 v11, v3
	v_mad_u64_u32 v[17:18], null, s1, v13, v[5:6]
	v_add_co_ci_u32_e64 v7, null, 0, v4, vcc_lo
	v_add_co_u32 v4, vcc_lo, s12, v6
	v_mov_b32_e32 v12, v3
	v_add_co_ci_u32_e64 v5, null, s13, v7, vcc_lo
	v_add_co_u32 v6, vcc_lo, s18, v16
	v_mov_b32_e32 v15, v3
	v_add_nc_u32_e32 v10, 0x400, v30
	v_add_co_ci_u32_e64 v7, null, s19, v17, vcc_lo
	v_mov_b32_e32 v13, v3
	s_mov_b64 s[0:1], 0
.LBB480_2:                              ; =>This Inner Loop Header: Depth=1
	global_load_sbyte v16, v[4:5], off
	s_add_u32 s0, s0, 4
	s_addc_u32 s1, s1, 0
	v_cmp_lt_i64_e64 s2, s[0:1], s[22:23]
	s_waitcnt vmcnt(0)
	ds_write_b32 v2, v16
	global_load_sbyte v16, v[6:7], off
	v_add_co_u32 v6, vcc_lo, v6, s16
	v_add_co_ci_u32_e64 v7, null, s17, v7, vcc_lo
	v_add_co_u32 v4, vcc_lo, v4, s6
	v_add_co_ci_u32_e64 v5, null, s7, v5, vcc_lo
	s_and_b32 vcc_lo, exec_lo, s2
	s_waitcnt vmcnt(0)
	ds_write_b32 v10, v16
	s_waitcnt lgkmcnt(0)
	s_barrier
	buffer_gl0_inv
	ds_read_b128 v[29:32], v9
	ds_read2_b32 v[16:17], v8 offset1:16
	ds_read_b128 v[33:36], v9 offset:256
	ds_read_b128 v[37:40], v9 offset:512
	;; [unrolled: 1-line block ×3, first 2 shown]
	ds_read2_b32 v[45:46], v8 offset0:32 offset1:48
	s_waitcnt lgkmcnt(4)
	v_mul_lo_u32 v18, v29, v16
	v_mul_lo_u32 v47, v29, v17
	s_waitcnt lgkmcnt(3)
	v_mul_lo_u32 v49, v33, v16
	v_mul_lo_u32 v50, v33, v17
	;; [unrolled: 3-line block ×4, first 2 shown]
	ds_read2_b32 v[16:17], v8 offset0:64 offset1:80
	s_waitcnt lgkmcnt(1)
	v_mul_lo_u32 v48, v29, v45
	v_mul_lo_u32 v51, v33, v45
	;; [unrolled: 1-line block ×8, first 2 shown]
	s_waitcnt lgkmcnt(0)
	v_mul_lo_u32 v45, v30, v16
	v_add3_u32 v18, v13, v18, v45
	ds_read2_b32 v[45:46], v8 offset0:96 offset1:112
	v_mul_lo_u32 v13, v30, v17
	v_add3_u32 v15, v15, v47, v13
	s_waitcnt lgkmcnt(0)
	v_mul_lo_u32 v13, v30, v45
	v_add3_u32 v47, v12, v48, v13
	v_mul_lo_u32 v12, v30, v46
	v_add3_u32 v30, v11, v29, v12
	;; [unrolled: 2-line block ×6, first 2 shown]
	v_mul_lo_u32 v11, v38, v16
	ds_read2_b32 v[13:14], v8 offset0:160 offset1:176
	v_add3_u32 v21, v21, v52, v11
	v_mul_lo_u32 v11, v38, v17
	v_add3_u32 v22, v22, v53, v11
	v_mul_lo_u32 v11, v38, v45
	s_waitcnt lgkmcnt(0)
	v_mul_lo_u32 v48, v39, v13
	v_mul_lo_u32 v51, v43, v13
	v_add3_u32 v19, v19, v54, v11
	v_mul_lo_u32 v11, v38, v46
	v_add3_u32 v20, v20, v37, v11
	v_mul_lo_u32 v11, v42, v16
	v_mul_lo_u32 v37, v31, v13
	v_add3_u32 v26, v26, v55, v11
	v_mul_lo_u32 v11, v42, v17
	ds_read2_b32 v[16:17], v8 offset0:192 offset1:208
	v_add3_u32 v27, v27, v56, v11
	v_mul_lo_u32 v11, v42, v45
	v_add3_u32 v34, v28, v57, v11
	v_mul_lo_u32 v11, v42, v46
	v_mul_lo_u32 v42, v35, v13
	v_add3_u32 v3, v3, v41, v11
	ds_read2_b32 v[11:12], v8 offset0:128 offset1:144
	s_waitcnt lgkmcnt(0)
	v_mul_lo_u32 v28, v31, v11
	v_mul_lo_u32 v38, v35, v11
	;; [unrolled: 1-line block ×12, first 2 shown]
	v_add3_u32 v13, v18, v28, v11
	v_mul_lo_u32 v11, v32, v17
	v_mul_lo_u32 v43, v43, v14
	;; [unrolled: 1-line block ×5, first 2 shown]
	v_add3_u32 v15, v15, v29, v11
	ds_read2_b32 v[28:29], v8 offset0:224 offset1:240
	v_add3_u32 v23, v23, v38, v14
	v_mul_lo_u32 v14, v36, v17
	v_add3_u32 v21, v21, v45, v18
	v_mul_lo_u32 v18, v40, v17
	;; [unrolled: 2-line block ×3, first 2 shown]
	s_waitcnt lgkmcnt(0)
	s_barrier
	buffer_gl0_inv
	v_add3_u32 v24, v24, v41, v14
	v_add3_u32 v22, v22, v46, v18
	;; [unrolled: 1-line block ×3, first 2 shown]
	v_mul_lo_u32 v11, v32, v28
	v_mul_lo_u32 v14, v36, v28
	v_mul_lo_u32 v18, v40, v28
	v_mul_lo_u32 v16, v44, v28
	v_add3_u32 v12, v47, v37, v11
	v_mul_lo_u32 v11, v32, v29
	v_add3_u32 v25, v25, v42, v14
	v_mul_lo_u32 v14, v36, v29
	v_add3_u32 v19, v19, v48, v18
	v_mul_lo_u32 v18, v40, v29
	v_add3_u32 v28, v34, v51, v16
	v_mul_lo_u32 v16, v44, v29
	v_add3_u32 v11, v30, v31, v11
	v_add3_u32 v14, v33, v35, v14
	;; [unrolled: 1-line block ×4, first 2 shown]
	s_cbranch_vccnz .LBB480_2
.LBB480_3:
	s_clause 0x3
	s_load_dwordx4 s[12:15], s[4:5], 0x78
	s_load_dword s16, s[4:5], 0x18
	s_load_dword s9, s[4:5], 0x50
	s_load_dwordx8 s[0:7], s[4:5], 0x58
	v_add_co_u32 v29, s17, s20, v1
	v_add_co_ci_u32_e64 v30, null, s21, 0, s17
	v_add_co_u32 v9, s10, s10, v0
	v_add_co_ci_u32_e64 v10, null, s11, 0, s10
	v_lshlrev_b64 v[9:10], 2, v[9:10]
	s_waitcnt lgkmcnt(0)
	s_mul_i32 s11, s15, s8
	s_mul_hi_u32 s15, s14, s8
	s_mul_i32 s10, s14, s8
	v_mul_lo_u32 v18, v13, s16
	v_mul_lo_u32 v17, v15, s16
	;; [unrolled: 1-line block ×7, first 2 shown]
	s_add_i32 s11, s15, s11
	v_mul_lo_u32 v14, v14, s16
	v_mul_lo_u32 v8, v21, s16
	;; [unrolled: 1-line block ×11, first 2 shown]
	s_lshl_b64 s[10:11], s[10:11], 2
	s_add_u32 s6, s6, s10
	s_addc_u32 s7, s7, s11
	s_cmp_eq_u32 s9, 0
	s_mov_b32 s10, 0
	s_cbranch_scc1 .LBB480_7
; %bb.4:
	v_mul_lo_u32 v22, v30, s2
	v_mul_lo_u32 v23, v29, s3
	v_mad_u64_u32 v[20:21], null, v29, s2, 0
	s_mul_i32 s5, s5, s8
	s_mul_hi_u32 s11, s4, s8
	s_mul_i32 s4, s4, s8
	s_add_i32 s5, s11, s5
	s_lshl_b64 s[4:5], s[4:5], 2
	v_add3_u32 v21, v21, v23, v22
	s_add_u32 s0, s0, s4
	s_addc_u32 s1, s1, s5
	v_mad_u64_u32 v[22:23], null, v29, s12, 0
	v_lshlrev_b64 v[20:21], 2, v[20:21]
	v_add3_u32 v23, v23, v19, v3
	v_add_co_u32 v27, vcc_lo, s0, v20
	v_add_co_ci_u32_e64 v28, null, s1, v21, vcc_lo
	v_lshlrev_b64 v[22:23], 2, v[22:23]
	v_add_co_u32 v20, vcc_lo, v27, v9
	v_add_co_ci_u32_e64 v21, null, v28, v10, vcc_lo
	s_lshl_b64 s[0:1], s[2:3], 6
	v_add_co_u32 v30, vcc_lo, s6, v22
	global_load_dword v24, v[20:21], off
	v_add_co_ci_u32_e64 v31, null, s7, v23, vcc_lo
	s_lshl_b64 s[2:3], s[12:13], 6
	s_waitcnt vmcnt(0)
	v_mad_u64_u32 v[22:23], null, v24, s9, v[18:19]
	v_add_co_u32 v23, vcc_lo, v30, v9
	v_add_co_ci_u32_e64 v24, null, v31, v10, vcc_lo
	v_add_co_u32 v32, vcc_lo, v27, s0
	v_add_co_ci_u32_e64 v28, null, s1, v28, vcc_lo
	global_store_dword v[23:24], v22, off
	global_load_dword v22, v[20:21], off offset:64
	s_waitcnt vmcnt(0)
	v_mad_u64_u32 v[25:26], null, v22, s9, v[17:18]
	global_store_dword v[23:24], v25, off offset:64
	global_load_dword v22, v[20:21], off offset:128
	s_waitcnt vmcnt(0)
	v_mad_u64_u32 v[25:26], null, v22, s9, v[16:17]
	global_store_dword v[23:24], v25, off offset:128
	global_load_dword v20, v[20:21], off offset:192
	s_waitcnt vmcnt(0)
	v_mad_u64_u32 v[20:21], null, v20, s9, v[15:16]
	v_add_co_u32 v21, vcc_lo, v32, v9
	v_add_co_ci_u32_e64 v22, null, v28, v10, vcc_lo
	v_add_co_u32 v30, vcc_lo, v30, s2
	global_store_dword v[23:24], v20, off offset:192
	global_load_dword v20, v[21:22], off
	v_add_co_ci_u32_e64 v31, null, s3, v31, vcc_lo
	s_waitcnt vmcnt(0)
	v_mad_u64_u32 v[23:24], null, v20, s9, v[13:14]
	v_add_co_u32 v24, vcc_lo, v30, v9
	v_add_co_ci_u32_e64 v25, null, v31, v10, vcc_lo
	v_add_co_u32 v32, vcc_lo, v32, s0
	v_add_co_ci_u32_e64 v28, null, s1, v28, vcc_lo
	global_store_dword v[24:25], v23, off
	global_load_dword v20, v[21:22], off offset:64
	s_waitcnt vmcnt(0)
	v_mad_u64_u32 v[26:27], null, v20, s9, v[12:13]
	global_store_dword v[24:25], v26, off offset:64
	global_load_dword v20, v[21:22], off offset:128
	s_waitcnt vmcnt(0)
	v_mad_u64_u32 v[26:27], null, v20, s9, v[11:12]
	global_store_dword v[24:25], v26, off offset:128
	global_load_dword v20, v[21:22], off offset:192
	s_waitcnt vmcnt(0)
	v_mad_u64_u32 v[20:21], null, v20, s9, v[14:15]
	v_add_co_u32 v21, vcc_lo, v32, v9
	v_add_co_ci_u32_e64 v22, null, v28, v10, vcc_lo
	v_add_co_u32 v30, vcc_lo, v30, s2
	global_store_dword v[24:25], v20, off offset:192
	global_load_dword v20, v[21:22], off
	v_add_co_ci_u32_e64 v31, null, s3, v31, vcc_lo
	s_waitcnt vmcnt(0)
	v_mad_u64_u32 v[23:24], null, v20, s9, v[8:9]
	v_add_co_u32 v24, vcc_lo, v30, v9
	v_add_co_ci_u32_e64 v25, null, v31, v10, vcc_lo
	global_store_dword v[24:25], v23, off
	global_load_dword v20, v[21:22], off offset:64
	s_waitcnt vmcnt(0)
	v_mad_u64_u32 v[26:27], null, v20, s9, v[7:8]
	global_store_dword v[24:25], v26, off offset:64
	global_load_dword v20, v[21:22], off offset:128
	s_waitcnt vmcnt(0)
	v_mad_u64_u32 v[26:27], null, v20, s9, v[6:7]
	global_store_dword v[24:25], v26, off offset:128
	global_load_dword v20, v[21:22], off offset:192
	v_add_co_u32 v22, vcc_lo, v32, s0
	v_add_co_ci_u32_e64 v23, null, s1, v28, vcc_lo
	s_waitcnt vmcnt(0)
	v_mad_u64_u32 v[20:21], null, v20, s9, v[5:6]
	v_add_co_u32 v21, vcc_lo, v22, v9
	v_add_co_ci_u32_e64 v22, null, v23, v10, vcc_lo
	global_store_dword v[24:25], v20, off offset:192
	global_load_dword v20, v[21:22], off
	v_add_co_u32 v25, vcc_lo, v30, s2
	v_add_co_ci_u32_e64 v26, null, s3, v31, vcc_lo
	s_waitcnt vmcnt(0)
	v_mad_u64_u32 v[23:24], null, v20, s9, v[4:5]
	v_add_co_u32 v24, vcc_lo, v25, v9
	v_add_co_ci_u32_e64 v25, null, v26, v10, vcc_lo
	global_store_dword v[24:25], v23, off
	global_load_dword v20, v[21:22], off offset:64
	s_waitcnt vmcnt(0)
	v_mad_u64_u32 v[26:27], null, v20, s9, v[2:3]
	global_store_dword v[24:25], v26, off offset:64
	global_load_dword v20, v[21:22], off offset:128
	s_waitcnt vmcnt(0)
	v_mad_u64_u32 v[26:27], null, v20, s9, v[1:2]
	global_store_dword v[24:25], v26, off offset:128
	;; [unrolled: 4-line block ×3, first 2 shown]
	s_andn2_b32 vcc_lo, exec_lo, s10
	s_cbranch_vccnz .LBB480_6
.LBB480_5:
	v_mad_u64_u32 v[20:21], null, v29, s12, 0
	s_lshl_b64 s[0:1], s[12:13], 6
	v_add3_u32 v21, v21, v19, v3
	v_lshlrev_b64 v[19:20], 2, v[20:21]
	v_add_co_u32 v3, vcc_lo, s6, v19
	v_add_co_ci_u32_e64 v21, null, s7, v20, vcc_lo
	v_add_co_u32 v19, vcc_lo, v3, v9
	v_add_co_ci_u32_e64 v20, null, v21, v10, vcc_lo
	;; [unrolled: 2-line block ×3, first 2 shown]
	global_store_dword v[19:20], v18, off
	global_store_dword v[19:20], v17, off offset:64
	global_store_dword v[19:20], v16, off offset:128
	;; [unrolled: 1-line block ×3, first 2 shown]
	v_add_co_u32 v15, vcc_lo, v3, v9
	v_add_co_ci_u32_e64 v16, null, v21, v10, vcc_lo
	v_add_co_u32 v3, vcc_lo, v3, s0
	v_add_co_ci_u32_e64 v17, null, s1, v21, vcc_lo
	global_store_dword v[15:16], v13, off
	global_store_dword v[15:16], v12, off offset:64
	global_store_dword v[15:16], v11, off offset:128
	;; [unrolled: 1-line block ×3, first 2 shown]
	v_add_co_u32 v13, vcc_lo, v3, s0
	v_add_co_ci_u32_e64 v14, null, s1, v17, vcc_lo
	v_add_co_u32 v11, vcc_lo, v3, v9
	v_add_co_ci_u32_e64 v12, null, v17, v10, vcc_lo
	;; [unrolled: 2-line block ×3, first 2 shown]
	global_store_dword v[11:12], v8, off
	global_store_dword v[11:12], v7, off offset:64
	global_store_dword v[11:12], v6, off offset:128
	;; [unrolled: 1-line block ×3, first 2 shown]
	global_store_dword v[9:10], v4, off
	global_store_dword v[9:10], v2, off offset:64
	global_store_dword v[9:10], v1, off offset:128
	;; [unrolled: 1-line block ×3, first 2 shown]
.LBB480_6:
	s_endpgm
.LBB480_7:
	s_branch .LBB480_5
	.section	.rodata,"a",@progbits
	.p2align	6, 0x0
	.amdhsa_kernel _ZN12_GLOBAL__N_127rocblas_gemm_batched_kernelIiLi16ELi16ELi64ELi64ELi4ELi64ELi4ELi4ELi64ELc78ELc67EKaKiiEEvlllT_PT11_llS5_llS3_PT12_llPT13_lli
		.amdhsa_group_segment_fixed_size 2048
		.amdhsa_private_segment_fixed_size 0
		.amdhsa_kernarg_size 140
		.amdhsa_user_sgpr_count 6
		.amdhsa_user_sgpr_private_segment_buffer 1
		.amdhsa_user_sgpr_dispatch_ptr 0
		.amdhsa_user_sgpr_queue_ptr 0
		.amdhsa_user_sgpr_kernarg_segment_ptr 1
		.amdhsa_user_sgpr_dispatch_id 0
		.amdhsa_user_sgpr_flat_scratch_init 0
		.amdhsa_user_sgpr_private_segment_size 0
		.amdhsa_wavefront_size32 1
		.amdhsa_uses_dynamic_stack 0
		.amdhsa_system_sgpr_private_segment_wavefront_offset 0
		.amdhsa_system_sgpr_workgroup_id_x 1
		.amdhsa_system_sgpr_workgroup_id_y 1
		.amdhsa_system_sgpr_workgroup_id_z 1
		.amdhsa_system_sgpr_workgroup_info 0
		.amdhsa_system_vgpr_workitem_id 1
		.amdhsa_next_free_vgpr 58
		.amdhsa_next_free_sgpr 25
		.amdhsa_reserve_vcc 1
		.amdhsa_reserve_flat_scratch 0
		.amdhsa_float_round_mode_32 0
		.amdhsa_float_round_mode_16_64 0
		.amdhsa_float_denorm_mode_32 3
		.amdhsa_float_denorm_mode_16_64 3
		.amdhsa_dx10_clamp 1
		.amdhsa_ieee_mode 1
		.amdhsa_fp16_overflow 0
		.amdhsa_workgroup_processor_mode 1
		.amdhsa_memory_ordered 1
		.amdhsa_forward_progress 1
		.amdhsa_shared_vgpr_count 0
		.amdhsa_exception_fp_ieee_invalid_op 0
		.amdhsa_exception_fp_denorm_src 0
		.amdhsa_exception_fp_ieee_div_zero 0
		.amdhsa_exception_fp_ieee_overflow 0
		.amdhsa_exception_fp_ieee_underflow 0
		.amdhsa_exception_fp_ieee_inexact 0
		.amdhsa_exception_int_div_zero 0
	.end_amdhsa_kernel
	.section	.text._ZN12_GLOBAL__N_127rocblas_gemm_batched_kernelIiLi16ELi16ELi64ELi64ELi4ELi64ELi4ELi4ELi64ELc78ELc67EKaKiiEEvlllT_PT11_llS5_llS3_PT12_llPT13_lli,"axG",@progbits,_ZN12_GLOBAL__N_127rocblas_gemm_batched_kernelIiLi16ELi16ELi64ELi64ELi4ELi64ELi4ELi4ELi64ELc78ELc67EKaKiiEEvlllT_PT11_llS5_llS3_PT12_llPT13_lli,comdat
.Lfunc_end480:
	.size	_ZN12_GLOBAL__N_127rocblas_gemm_batched_kernelIiLi16ELi16ELi64ELi64ELi4ELi64ELi4ELi4ELi64ELc78ELc67EKaKiiEEvlllT_PT11_llS5_llS3_PT12_llPT13_lli, .Lfunc_end480-_ZN12_GLOBAL__N_127rocblas_gemm_batched_kernelIiLi16ELi16ELi64ELi64ELi4ELi64ELi4ELi4ELi64ELc78ELc67EKaKiiEEvlllT_PT11_llS5_llS3_PT12_llPT13_lli
                                        ; -- End function
	.set _ZN12_GLOBAL__N_127rocblas_gemm_batched_kernelIiLi16ELi16ELi64ELi64ELi4ELi64ELi4ELi4ELi64ELc78ELc67EKaKiiEEvlllT_PT11_llS5_llS3_PT12_llPT13_lli.num_vgpr, 58
	.set _ZN12_GLOBAL__N_127rocblas_gemm_batched_kernelIiLi16ELi16ELi64ELi64ELi4ELi64ELi4ELi4ELi64ELc78ELc67EKaKiiEEvlllT_PT11_llS5_llS3_PT12_llPT13_lli.num_agpr, 0
	.set _ZN12_GLOBAL__N_127rocblas_gemm_batched_kernelIiLi16ELi16ELi64ELi64ELi4ELi64ELi4ELi4ELi64ELc78ELc67EKaKiiEEvlllT_PT11_llS5_llS3_PT12_llPT13_lli.numbered_sgpr, 25
	.set _ZN12_GLOBAL__N_127rocblas_gemm_batched_kernelIiLi16ELi16ELi64ELi64ELi4ELi64ELi4ELi4ELi64ELc78ELc67EKaKiiEEvlllT_PT11_llS5_llS3_PT12_llPT13_lli.num_named_barrier, 0
	.set _ZN12_GLOBAL__N_127rocblas_gemm_batched_kernelIiLi16ELi16ELi64ELi64ELi4ELi64ELi4ELi4ELi64ELc78ELc67EKaKiiEEvlllT_PT11_llS5_llS3_PT12_llPT13_lli.private_seg_size, 0
	.set _ZN12_GLOBAL__N_127rocblas_gemm_batched_kernelIiLi16ELi16ELi64ELi64ELi4ELi64ELi4ELi4ELi64ELc78ELc67EKaKiiEEvlllT_PT11_llS5_llS3_PT12_llPT13_lli.uses_vcc, 1
	.set _ZN12_GLOBAL__N_127rocblas_gemm_batched_kernelIiLi16ELi16ELi64ELi64ELi4ELi64ELi4ELi4ELi64ELc78ELc67EKaKiiEEvlllT_PT11_llS5_llS3_PT12_llPT13_lli.uses_flat_scratch, 0
	.set _ZN12_GLOBAL__N_127rocblas_gemm_batched_kernelIiLi16ELi16ELi64ELi64ELi4ELi64ELi4ELi4ELi64ELc78ELc67EKaKiiEEvlllT_PT11_llS5_llS3_PT12_llPT13_lli.has_dyn_sized_stack, 0
	.set _ZN12_GLOBAL__N_127rocblas_gemm_batched_kernelIiLi16ELi16ELi64ELi64ELi4ELi64ELi4ELi4ELi64ELc78ELc67EKaKiiEEvlllT_PT11_llS5_llS3_PT12_llPT13_lli.has_recursion, 0
	.set _ZN12_GLOBAL__N_127rocblas_gemm_batched_kernelIiLi16ELi16ELi64ELi64ELi4ELi64ELi4ELi4ELi64ELc78ELc67EKaKiiEEvlllT_PT11_llS5_llS3_PT12_llPT13_lli.has_indirect_call, 0
	.section	.AMDGPU.csdata,"",@progbits
; Kernel info:
; codeLenInByte = 2808
; TotalNumSgprs: 27
; NumVgprs: 58
; ScratchSize: 0
; MemoryBound: 0
; FloatMode: 240
; IeeeMode: 1
; LDSByteSize: 2048 bytes/workgroup (compile time only)
; SGPRBlocks: 0
; VGPRBlocks: 7
; NumSGPRsForWavesPerEU: 27
; NumVGPRsForWavesPerEU: 58
; Occupancy: 16
; WaveLimiterHint : 0
; COMPUTE_PGM_RSRC2:SCRATCH_EN: 0
; COMPUTE_PGM_RSRC2:USER_SGPR: 6
; COMPUTE_PGM_RSRC2:TRAP_HANDLER: 0
; COMPUTE_PGM_RSRC2:TGID_X_EN: 1
; COMPUTE_PGM_RSRC2:TGID_Y_EN: 1
; COMPUTE_PGM_RSRC2:TGID_Z_EN: 1
; COMPUTE_PGM_RSRC2:TIDIG_COMP_CNT: 1
	.section	.text._ZN12_GLOBAL__N_127rocblas_gemm_batched_kernelIiLi16ELi16ELi64ELi64ELi4ELi64ELi4ELi4ELi64ELc84ELc67EKaKiiEEvlllT_PT11_llS5_llS3_PT12_llPT13_lli,"axG",@progbits,_ZN12_GLOBAL__N_127rocblas_gemm_batched_kernelIiLi16ELi16ELi64ELi64ELi4ELi64ELi4ELi4ELi64ELc84ELc67EKaKiiEEvlllT_PT11_llS5_llS3_PT12_llPT13_lli,comdat
	.globl	_ZN12_GLOBAL__N_127rocblas_gemm_batched_kernelIiLi16ELi16ELi64ELi64ELi4ELi64ELi4ELi4ELi64ELc84ELc67EKaKiiEEvlllT_PT11_llS5_llS3_PT12_llPT13_lli ; -- Begin function _ZN12_GLOBAL__N_127rocblas_gemm_batched_kernelIiLi16ELi16ELi64ELi64ELi4ELi64ELi4ELi4ELi64ELc84ELc67EKaKiiEEvlllT_PT11_llS5_llS3_PT12_llPT13_lli
	.p2align	8
	.type	_ZN12_GLOBAL__N_127rocblas_gemm_batched_kernelIiLi16ELi16ELi64ELi64ELi4ELi64ELi4ELi4ELi64ELc84ELc67EKaKiiEEvlllT_PT11_llS5_llS3_PT12_llPT13_lli,@function
_ZN12_GLOBAL__N_127rocblas_gemm_batched_kernelIiLi16ELi16ELi64ELi64ELi4ELi64ELi4ELi4ELi64ELc84ELc67EKaKiiEEvlllT_PT11_llS5_llS3_PT12_llPT13_lli: ; @_ZN12_GLOBAL__N_127rocblas_gemm_batched_kernelIiLi16ELi16ELi64ELi64ELi4ELi64ELi4ELi4ELi64ELc84ELc67EKaKiiEEvlllT_PT11_llS5_llS3_PT12_llPT13_lli
; %bb.0:
	s_load_dwordx2 s[22:23], s[4:5], 0x10
	s_mov_b32 s0, s7
	v_mov_b32_e32 v15, 0
	v_mov_b32_e32 v11, 0
	;; [unrolled: 1-line block ×16, first 2 shown]
	s_ashr_i32 s7, s6, 31
	s_ashr_i32 s1, s0, 31
	s_waitcnt lgkmcnt(0)
	v_cmp_lt_i64_e64 s2, s[22:23], 1
	s_lshl_b64 s[10:11], s[6:7], 6
	s_lshl_b64 s[20:21], s[0:1], 6
	s_and_b32 vcc_lo, exec_lo, s2
	s_cbranch_vccnz .LBB481_3
; %bb.1:
	s_load_dwordx4 s[0:3], s[4:5], 0x40
	v_lshlrev_b32_e32 v2, 4, v1
	v_mov_b32_e32 v3, 0
	s_load_dwordx8 s[12:19], s[4:5], 0x20
	v_and_b32_e32 v17, 3, v0
	v_lshlrev_b32_e32 v6, 2, v0
	v_add_nc_u32_e32 v4, v2, v0
	v_add_nc_u32_e32 v7, 0x400, v2
	v_mov_b32_e32 v9, v3
	v_lshlrev_b32_e32 v18, 2, v17
	v_mov_b32_e32 v5, v3
	v_lshrrev_b32_e32 v2, 2, v4
	v_and_b32_e32 v29, 63, v4
	v_lshrrev_b32_e32 v4, 6, v4
	v_mov_b32_e32 v28, v3
	v_mov_b32_e32 v27, v3
	;; [unrolled: 1-line block ×3, first 2 shown]
	v_lshlrev_b32_e32 v30, 2, v29
	v_mov_b32_e32 v22, v3
	v_mov_b32_e32 v25, v3
	s_waitcnt lgkmcnt(0)
	v_mad_u64_u32 v[12:13], null, s2, s8, v[2:3]
	v_mov_b32_e32 v24, v3
	s_mul_i32 s6, s17, s8
	s_mul_hi_u32 s7, s16, s8
	s_mul_i32 s9, s16, s8
	s_add_i32 s7, s7, s6
	v_mov_b32_e32 v23, v3
	v_mov_b32_e32 v8, v13
	;; [unrolled: 1-line block ×6, first 2 shown]
	v_mad_u64_u32 v[15:16], null, s3, s8, v[8:9]
	v_lshl_or_b32 v8, v2, 4, v18
	v_add_co_u32 v18, s2, s10, v29
	v_add_co_ci_u32_e64 v29, null, s11, 0, s2
	v_lshl_or_b32 v2, v4, 8, v30
	v_mov_b32_e32 v13, v15
	v_mad_u64_u32 v[4:5], null, s14, v18, v[4:5]
	v_mul_lo_u32 v18, s15, v18
	s_lshl_b64 s[2:3], s[0:1], 2
	v_mad_u64_u32 v[15:16], null, s0, v17, v[12:13]
	v_mul_lo_u32 v13, s14, v29
	s_add_u32 s0, s18, s20
	s_addc_u32 s6, s19, s21
	s_add_u32 s9, s12, s9
	s_addc_u32 s7, s13, s7
	v_mov_b32_e32 v10, v3
	v_mov_b32_e32 v12, v16
	;; [unrolled: 1-line block ×3, first 2 shown]
	v_add3_u32 v5, v18, v5, v13
	v_add_nc_u32_e32 v8, 0x400, v8
	v_mad_u64_u32 v[16:17], null, s1, v17, v[12:13]
	v_add_co_u32 v12, vcc_lo, s9, v4
	v_add_co_ci_u32_e64 v13, null, s7, v5, vcc_lo
	v_add_co_u32 v4, vcc_lo, s0, v15
	v_add_co_ci_u32_e64 v5, null, s6, v16, vcc_lo
	v_mov_b32_e32 v15, v3
	s_mov_b64 s[0:1], 0
.LBB481_2:                              ; =>This Inner Loop Header: Depth=1
	v_add_co_u32 v16, vcc_lo, v12, s0
	v_add_co_ci_u32_e64 v17, null, s1, v13, vcc_lo
	s_add_u32 s0, s0, 4
	s_addc_u32 s1, s1, 0
	v_cmp_lt_i64_e64 s6, s[0:1], s[22:23]
	global_load_sbyte v16, v[16:17], off
	s_waitcnt vmcnt(0)
	ds_write_b32 v2, v16
	global_load_sbyte v16, v[4:5], off
	v_add_co_u32 v4, vcc_lo, v4, s2
	v_add_co_ci_u32_e64 v5, null, s3, v5, vcc_lo
	s_and_b32 vcc_lo, exec_lo, s6
	s_waitcnt vmcnt(0)
	ds_write_b32 v8, v16
	s_waitcnt lgkmcnt(0)
	s_barrier
	buffer_gl0_inv
	ds_read_b128 v[29:32], v7
	ds_read2_b32 v[16:17], v6 offset1:16
	ds_read_b128 v[33:36], v7 offset:256
	ds_read_b128 v[37:40], v7 offset:512
	;; [unrolled: 1-line block ×3, first 2 shown]
	ds_read2_b32 v[45:46], v6 offset0:32 offset1:48
	s_waitcnt lgkmcnt(4)
	v_mul_lo_u32 v18, v29, v16
	v_mul_lo_u32 v47, v29, v17
	s_waitcnt lgkmcnt(3)
	v_mul_lo_u32 v49, v33, v16
	v_mul_lo_u32 v50, v33, v17
	;; [unrolled: 3-line block ×4, first 2 shown]
	ds_read2_b32 v[16:17], v6 offset0:64 offset1:80
	s_waitcnt lgkmcnt(1)
	v_mul_lo_u32 v48, v29, v45
	v_mul_lo_u32 v51, v33, v45
	;; [unrolled: 1-line block ×8, first 2 shown]
	s_waitcnt lgkmcnt(0)
	v_mul_lo_u32 v45, v30, v16
	v_add3_u32 v18, v15, v18, v45
	ds_read2_b32 v[45:46], v6 offset0:96 offset1:112
	v_mul_lo_u32 v15, v30, v17
	v_add3_u32 v11, v11, v47, v15
	s_waitcnt lgkmcnt(0)
	v_mul_lo_u32 v15, v30, v45
	v_add3_u32 v47, v10, v48, v15
	v_mul_lo_u32 v10, v30, v46
	v_add3_u32 v30, v9, v29, v10
	;; [unrolled: 2-line block ×6, first 2 shown]
	v_mul_lo_u32 v9, v38, v16
	ds_read2_b32 v[14:15], v6 offset0:160 offset1:176
	v_add3_u32 v23, v23, v52, v9
	v_mul_lo_u32 v9, v38, v17
	v_add3_u32 v24, v24, v53, v9
	v_mul_lo_u32 v9, v38, v45
	s_waitcnt lgkmcnt(0)
	v_mul_lo_u32 v48, v39, v14
	v_mul_lo_u32 v51, v43, v14
	v_add3_u32 v25, v25, v54, v9
	v_mul_lo_u32 v9, v38, v46
	v_add3_u32 v22, v22, v37, v9
	v_mul_lo_u32 v9, v42, v16
	v_mul_lo_u32 v37, v31, v14
	v_add3_u32 v26, v26, v55, v9
	v_mul_lo_u32 v9, v42, v17
	ds_read2_b32 v[16:17], v6 offset0:192 offset1:208
	v_add3_u32 v27, v27, v56, v9
	v_mul_lo_u32 v9, v42, v45
	v_add3_u32 v34, v28, v57, v9
	v_mul_lo_u32 v9, v42, v46
	v_mul_lo_u32 v42, v35, v14
	s_waitcnt lgkmcnt(0)
	v_mul_lo_u32 v14, v36, v16
	v_add3_u32 v3, v3, v41, v9
	ds_read2_b32 v[9:10], v6 offset0:128 offset1:144
	s_waitcnt lgkmcnt(0)
	v_mul_lo_u32 v28, v31, v9
	v_mul_lo_u32 v38, v35, v9
	;; [unrolled: 1-line block ×13, first 2 shown]
	v_add3_u32 v15, v18, v28, v9
	v_mul_lo_u32 v9, v32, v17
	v_mul_lo_u32 v18, v40, v16
	;; [unrolled: 1-line block ×3, first 2 shown]
	v_add3_u32 v19, v19, v38, v14
	v_mul_lo_u32 v14, v36, v17
	v_add3_u32 v11, v11, v29, v9
	ds_read2_b32 v[28:29], v6 offset0:224 offset1:240
	v_add3_u32 v23, v23, v45, v18
	v_mul_lo_u32 v18, v40, v17
	v_add3_u32 v26, v26, v49, v16
	v_mul_lo_u32 v16, v44, v17
	v_add3_u32 v20, v20, v41, v14
	s_waitcnt lgkmcnt(0)
	s_barrier
	buffer_gl0_inv
	v_add3_u32 v24, v24, v46, v18
	v_add3_u32 v27, v27, v50, v16
	v_mul_lo_u32 v9, v32, v28
	v_mul_lo_u32 v14, v36, v28
	v_mul_lo_u32 v18, v40, v28
	v_mul_lo_u32 v16, v44, v28
	v_add3_u32 v10, v47, v37, v9
	v_mul_lo_u32 v9, v32, v29
	v_add3_u32 v21, v21, v42, v14
	v_mul_lo_u32 v14, v36, v29
	;; [unrolled: 2-line block ×4, first 2 shown]
	v_add3_u32 v9, v30, v31, v9
	v_add3_u32 v14, v33, v35, v14
	;; [unrolled: 1-line block ×4, first 2 shown]
	s_cbranch_vccnz .LBB481_2
.LBB481_3:
	s_clause 0x3
	s_load_dwordx4 s[12:15], s[4:5], 0x78
	s_load_dword s16, s[4:5], 0x18
	s_load_dword s9, s[4:5], 0x50
	s_load_dwordx8 s[0:7], s[4:5], 0x58
	v_add_co_u32 v29, s17, s20, v1
	v_add_co_ci_u32_e64 v30, null, s21, 0, s17
	v_add_co_u32 v31, s10, s10, v0
	v_add_co_ci_u32_e64 v32, null, s11, 0, s10
	s_waitcnt lgkmcnt(0)
	s_mul_i32 s11, s15, s8
	s_mul_hi_u32 s15, s14, s8
	s_mul_i32 s10, s14, s8
	v_mul_lo_u32 v18, v15, s16
	v_mul_lo_u32 v17, v11, s16
	;; [unrolled: 1-line block ×7, first 2 shown]
	s_add_i32 s11, s15, s11
	v_mul_lo_u32 v14, v14, s16
	v_mul_lo_u32 v8, v23, s16
	;; [unrolled: 1-line block ×11, first 2 shown]
	s_lshl_b64 s[10:11], s[10:11], 2
	v_lshlrev_b64 v[9:10], 2, v[31:32]
	s_add_u32 s6, s6, s10
	s_addc_u32 s7, s7, s11
	s_cmp_eq_u32 s9, 0
	s_mov_b32 s10, 0
	s_cbranch_scc1 .LBB481_7
; %bb.4:
	v_mul_lo_u32 v22, v30, s2
	v_mul_lo_u32 v23, v29, s3
	v_mad_u64_u32 v[20:21], null, v29, s2, 0
	s_mul_i32 s5, s5, s8
	s_mul_hi_u32 s11, s4, s8
	s_mul_i32 s4, s4, s8
	s_add_i32 s5, s11, s5
	s_lshl_b64 s[4:5], s[4:5], 2
	v_add3_u32 v21, v21, v23, v22
	s_add_u32 s0, s0, s4
	s_addc_u32 s1, s1, s5
	v_mad_u64_u32 v[22:23], null, v29, s12, 0
	v_lshlrev_b64 v[20:21], 2, v[20:21]
	v_add3_u32 v23, v23, v19, v3
	v_add_co_u32 v27, vcc_lo, s0, v20
	v_add_co_ci_u32_e64 v28, null, s1, v21, vcc_lo
	v_lshlrev_b64 v[22:23], 2, v[22:23]
	v_add_co_u32 v20, vcc_lo, v27, v9
	v_add_co_ci_u32_e64 v21, null, v28, v10, vcc_lo
	s_lshl_b64 s[0:1], s[2:3], 6
	v_add_co_u32 v30, vcc_lo, s6, v22
	global_load_dword v24, v[20:21], off
	v_add_co_ci_u32_e64 v31, null, s7, v23, vcc_lo
	s_lshl_b64 s[2:3], s[12:13], 6
	s_waitcnt vmcnt(0)
	v_mad_u64_u32 v[22:23], null, v24, s9, v[18:19]
	v_add_co_u32 v23, vcc_lo, v30, v9
	v_add_co_ci_u32_e64 v24, null, v31, v10, vcc_lo
	v_add_co_u32 v32, vcc_lo, v27, s0
	v_add_co_ci_u32_e64 v28, null, s1, v28, vcc_lo
	global_store_dword v[23:24], v22, off
	global_load_dword v22, v[20:21], off offset:64
	s_waitcnt vmcnt(0)
	v_mad_u64_u32 v[25:26], null, v22, s9, v[17:18]
	global_store_dword v[23:24], v25, off offset:64
	global_load_dword v22, v[20:21], off offset:128
	s_waitcnt vmcnt(0)
	v_mad_u64_u32 v[25:26], null, v22, s9, v[16:17]
	global_store_dword v[23:24], v25, off offset:128
	global_load_dword v20, v[20:21], off offset:192
	s_waitcnt vmcnt(0)
	v_mad_u64_u32 v[20:21], null, v20, s9, v[15:16]
	v_add_co_u32 v21, vcc_lo, v32, v9
	v_add_co_ci_u32_e64 v22, null, v28, v10, vcc_lo
	v_add_co_u32 v30, vcc_lo, v30, s2
	global_store_dword v[23:24], v20, off offset:192
	global_load_dword v20, v[21:22], off
	v_add_co_ci_u32_e64 v31, null, s3, v31, vcc_lo
	s_waitcnt vmcnt(0)
	v_mad_u64_u32 v[23:24], null, v20, s9, v[13:14]
	v_add_co_u32 v24, vcc_lo, v30, v9
	v_add_co_ci_u32_e64 v25, null, v31, v10, vcc_lo
	v_add_co_u32 v32, vcc_lo, v32, s0
	v_add_co_ci_u32_e64 v28, null, s1, v28, vcc_lo
	global_store_dword v[24:25], v23, off
	global_load_dword v20, v[21:22], off offset:64
	s_waitcnt vmcnt(0)
	v_mad_u64_u32 v[26:27], null, v20, s9, v[12:13]
	global_store_dword v[24:25], v26, off offset:64
	global_load_dword v20, v[21:22], off offset:128
	s_waitcnt vmcnt(0)
	v_mad_u64_u32 v[26:27], null, v20, s9, v[11:12]
	global_store_dword v[24:25], v26, off offset:128
	global_load_dword v20, v[21:22], off offset:192
	s_waitcnt vmcnt(0)
	v_mad_u64_u32 v[20:21], null, v20, s9, v[14:15]
	v_add_co_u32 v21, vcc_lo, v32, v9
	v_add_co_ci_u32_e64 v22, null, v28, v10, vcc_lo
	v_add_co_u32 v30, vcc_lo, v30, s2
	global_store_dword v[24:25], v20, off offset:192
	global_load_dword v20, v[21:22], off
	v_add_co_ci_u32_e64 v31, null, s3, v31, vcc_lo
	s_waitcnt vmcnt(0)
	v_mad_u64_u32 v[23:24], null, v20, s9, v[8:9]
	v_add_co_u32 v24, vcc_lo, v30, v9
	v_add_co_ci_u32_e64 v25, null, v31, v10, vcc_lo
	global_store_dword v[24:25], v23, off
	global_load_dword v20, v[21:22], off offset:64
	s_waitcnt vmcnt(0)
	v_mad_u64_u32 v[26:27], null, v20, s9, v[7:8]
	global_store_dword v[24:25], v26, off offset:64
	global_load_dword v20, v[21:22], off offset:128
	s_waitcnt vmcnt(0)
	v_mad_u64_u32 v[26:27], null, v20, s9, v[6:7]
	global_store_dword v[24:25], v26, off offset:128
	global_load_dword v20, v[21:22], off offset:192
	v_add_co_u32 v22, vcc_lo, v32, s0
	v_add_co_ci_u32_e64 v23, null, s1, v28, vcc_lo
	s_waitcnt vmcnt(0)
	v_mad_u64_u32 v[20:21], null, v20, s9, v[5:6]
	v_add_co_u32 v21, vcc_lo, v22, v9
	v_add_co_ci_u32_e64 v22, null, v23, v10, vcc_lo
	global_store_dword v[24:25], v20, off offset:192
	global_load_dword v20, v[21:22], off
	v_add_co_u32 v25, vcc_lo, v30, s2
	v_add_co_ci_u32_e64 v26, null, s3, v31, vcc_lo
	s_waitcnt vmcnt(0)
	v_mad_u64_u32 v[23:24], null, v20, s9, v[4:5]
	v_add_co_u32 v24, vcc_lo, v25, v9
	v_add_co_ci_u32_e64 v25, null, v26, v10, vcc_lo
	global_store_dword v[24:25], v23, off
	global_load_dword v20, v[21:22], off offset:64
	s_waitcnt vmcnt(0)
	v_mad_u64_u32 v[26:27], null, v20, s9, v[2:3]
	global_store_dword v[24:25], v26, off offset:64
	global_load_dword v20, v[21:22], off offset:128
	s_waitcnt vmcnt(0)
	v_mad_u64_u32 v[26:27], null, v20, s9, v[1:2]
	global_store_dword v[24:25], v26, off offset:128
	global_load_dword v20, v[21:22], off offset:192
	s_waitcnt vmcnt(0)
	v_mad_u64_u32 v[20:21], null, v20, s9, v[0:1]
	global_store_dword v[24:25], v20, off offset:192
	s_andn2_b32 vcc_lo, exec_lo, s10
	s_cbranch_vccnz .LBB481_6
.LBB481_5:
	v_mad_u64_u32 v[20:21], null, v29, s12, 0
	s_lshl_b64 s[0:1], s[12:13], 6
	v_add3_u32 v21, v21, v19, v3
	v_lshlrev_b64 v[19:20], 2, v[20:21]
	v_add_co_u32 v3, vcc_lo, s6, v19
	v_add_co_ci_u32_e64 v21, null, s7, v20, vcc_lo
	v_add_co_u32 v19, vcc_lo, v3, v9
	v_add_co_ci_u32_e64 v20, null, v21, v10, vcc_lo
	;; [unrolled: 2-line block ×3, first 2 shown]
	global_store_dword v[19:20], v18, off
	global_store_dword v[19:20], v17, off offset:64
	global_store_dword v[19:20], v16, off offset:128
	global_store_dword v[19:20], v15, off offset:192
	v_add_co_u32 v15, vcc_lo, v3, v9
	v_add_co_ci_u32_e64 v16, null, v21, v10, vcc_lo
	v_add_co_u32 v3, vcc_lo, v3, s0
	v_add_co_ci_u32_e64 v17, null, s1, v21, vcc_lo
	global_store_dword v[15:16], v13, off
	global_store_dword v[15:16], v12, off offset:64
	global_store_dword v[15:16], v11, off offset:128
	;; [unrolled: 1-line block ×3, first 2 shown]
	v_add_co_u32 v13, vcc_lo, v3, s0
	v_add_co_ci_u32_e64 v14, null, s1, v17, vcc_lo
	v_add_co_u32 v11, vcc_lo, v3, v9
	v_add_co_ci_u32_e64 v12, null, v17, v10, vcc_lo
	;; [unrolled: 2-line block ×3, first 2 shown]
	global_store_dword v[11:12], v8, off
	global_store_dword v[11:12], v7, off offset:64
	global_store_dword v[11:12], v6, off offset:128
	;; [unrolled: 1-line block ×3, first 2 shown]
	global_store_dword v[9:10], v4, off
	global_store_dword v[9:10], v2, off offset:64
	global_store_dword v[9:10], v1, off offset:128
	;; [unrolled: 1-line block ×3, first 2 shown]
.LBB481_6:
	s_endpgm
.LBB481_7:
	s_branch .LBB481_5
	.section	.rodata,"a",@progbits
	.p2align	6, 0x0
	.amdhsa_kernel _ZN12_GLOBAL__N_127rocblas_gemm_batched_kernelIiLi16ELi16ELi64ELi64ELi4ELi64ELi4ELi4ELi64ELc84ELc67EKaKiiEEvlllT_PT11_llS5_llS3_PT12_llPT13_lli
		.amdhsa_group_segment_fixed_size 2048
		.amdhsa_private_segment_fixed_size 0
		.amdhsa_kernarg_size 140
		.amdhsa_user_sgpr_count 6
		.amdhsa_user_sgpr_private_segment_buffer 1
		.amdhsa_user_sgpr_dispatch_ptr 0
		.amdhsa_user_sgpr_queue_ptr 0
		.amdhsa_user_sgpr_kernarg_segment_ptr 1
		.amdhsa_user_sgpr_dispatch_id 0
		.amdhsa_user_sgpr_flat_scratch_init 0
		.amdhsa_user_sgpr_private_segment_size 0
		.amdhsa_wavefront_size32 1
		.amdhsa_uses_dynamic_stack 0
		.amdhsa_system_sgpr_private_segment_wavefront_offset 0
		.amdhsa_system_sgpr_workgroup_id_x 1
		.amdhsa_system_sgpr_workgroup_id_y 1
		.amdhsa_system_sgpr_workgroup_id_z 1
		.amdhsa_system_sgpr_workgroup_info 0
		.amdhsa_system_vgpr_workitem_id 1
		.amdhsa_next_free_vgpr 58
		.amdhsa_next_free_sgpr 24
		.amdhsa_reserve_vcc 1
		.amdhsa_reserve_flat_scratch 0
		.amdhsa_float_round_mode_32 0
		.amdhsa_float_round_mode_16_64 0
		.amdhsa_float_denorm_mode_32 3
		.amdhsa_float_denorm_mode_16_64 3
		.amdhsa_dx10_clamp 1
		.amdhsa_ieee_mode 1
		.amdhsa_fp16_overflow 0
		.amdhsa_workgroup_processor_mode 1
		.amdhsa_memory_ordered 1
		.amdhsa_forward_progress 1
		.amdhsa_shared_vgpr_count 0
		.amdhsa_exception_fp_ieee_invalid_op 0
		.amdhsa_exception_fp_denorm_src 0
		.amdhsa_exception_fp_ieee_div_zero 0
		.amdhsa_exception_fp_ieee_overflow 0
		.amdhsa_exception_fp_ieee_underflow 0
		.amdhsa_exception_fp_ieee_inexact 0
		.amdhsa_exception_int_div_zero 0
	.end_amdhsa_kernel
	.section	.text._ZN12_GLOBAL__N_127rocblas_gemm_batched_kernelIiLi16ELi16ELi64ELi64ELi4ELi64ELi4ELi4ELi64ELc84ELc67EKaKiiEEvlllT_PT11_llS5_llS3_PT12_llPT13_lli,"axG",@progbits,_ZN12_GLOBAL__N_127rocblas_gemm_batched_kernelIiLi16ELi16ELi64ELi64ELi4ELi64ELi4ELi4ELi64ELc84ELc67EKaKiiEEvlllT_PT11_llS5_llS3_PT12_llPT13_lli,comdat
.Lfunc_end481:
	.size	_ZN12_GLOBAL__N_127rocblas_gemm_batched_kernelIiLi16ELi16ELi64ELi64ELi4ELi64ELi4ELi4ELi64ELc84ELc67EKaKiiEEvlllT_PT11_llS5_llS3_PT12_llPT13_lli, .Lfunc_end481-_ZN12_GLOBAL__N_127rocblas_gemm_batched_kernelIiLi16ELi16ELi64ELi64ELi4ELi64ELi4ELi4ELi64ELc84ELc67EKaKiiEEvlllT_PT11_llS5_llS3_PT12_llPT13_lli
                                        ; -- End function
	.set _ZN12_GLOBAL__N_127rocblas_gemm_batched_kernelIiLi16ELi16ELi64ELi64ELi4ELi64ELi4ELi4ELi64ELc84ELc67EKaKiiEEvlllT_PT11_llS5_llS3_PT12_llPT13_lli.num_vgpr, 58
	.set _ZN12_GLOBAL__N_127rocblas_gemm_batched_kernelIiLi16ELi16ELi64ELi64ELi4ELi64ELi4ELi4ELi64ELc84ELc67EKaKiiEEvlllT_PT11_llS5_llS3_PT12_llPT13_lli.num_agpr, 0
	.set _ZN12_GLOBAL__N_127rocblas_gemm_batched_kernelIiLi16ELi16ELi64ELi64ELi4ELi64ELi4ELi4ELi64ELc84ELc67EKaKiiEEvlllT_PT11_llS5_llS3_PT12_llPT13_lli.numbered_sgpr, 24
	.set _ZN12_GLOBAL__N_127rocblas_gemm_batched_kernelIiLi16ELi16ELi64ELi64ELi4ELi64ELi4ELi4ELi64ELc84ELc67EKaKiiEEvlllT_PT11_llS5_llS3_PT12_llPT13_lli.num_named_barrier, 0
	.set _ZN12_GLOBAL__N_127rocblas_gemm_batched_kernelIiLi16ELi16ELi64ELi64ELi4ELi64ELi4ELi4ELi64ELc84ELc67EKaKiiEEvlllT_PT11_llS5_llS3_PT12_llPT13_lli.private_seg_size, 0
	.set _ZN12_GLOBAL__N_127rocblas_gemm_batched_kernelIiLi16ELi16ELi64ELi64ELi4ELi64ELi4ELi4ELi64ELc84ELc67EKaKiiEEvlllT_PT11_llS5_llS3_PT12_llPT13_lli.uses_vcc, 1
	.set _ZN12_GLOBAL__N_127rocblas_gemm_batched_kernelIiLi16ELi16ELi64ELi64ELi4ELi64ELi4ELi4ELi64ELc84ELc67EKaKiiEEvlllT_PT11_llS5_llS3_PT12_llPT13_lli.uses_flat_scratch, 0
	.set _ZN12_GLOBAL__N_127rocblas_gemm_batched_kernelIiLi16ELi16ELi64ELi64ELi4ELi64ELi4ELi4ELi64ELc84ELc67EKaKiiEEvlllT_PT11_llS5_llS3_PT12_llPT13_lli.has_dyn_sized_stack, 0
	.set _ZN12_GLOBAL__N_127rocblas_gemm_batched_kernelIiLi16ELi16ELi64ELi64ELi4ELi64ELi4ELi4ELi64ELc84ELc67EKaKiiEEvlllT_PT11_llS5_llS3_PT12_llPT13_lli.has_recursion, 0
	.set _ZN12_GLOBAL__N_127rocblas_gemm_batched_kernelIiLi16ELi16ELi64ELi64ELi4ELi64ELi4ELi4ELi64ELc84ELc67EKaKiiEEvlllT_PT11_llS5_llS3_PT12_llPT13_lli.has_indirect_call, 0
	.section	.AMDGPU.csdata,"",@progbits
; Kernel info:
; codeLenInByte = 2832
; TotalNumSgprs: 26
; NumVgprs: 58
; ScratchSize: 0
; MemoryBound: 0
; FloatMode: 240
; IeeeMode: 1
; LDSByteSize: 2048 bytes/workgroup (compile time only)
; SGPRBlocks: 0
; VGPRBlocks: 7
; NumSGPRsForWavesPerEU: 26
; NumVGPRsForWavesPerEU: 58
; Occupancy: 16
; WaveLimiterHint : 0
; COMPUTE_PGM_RSRC2:SCRATCH_EN: 0
; COMPUTE_PGM_RSRC2:USER_SGPR: 6
; COMPUTE_PGM_RSRC2:TRAP_HANDLER: 0
; COMPUTE_PGM_RSRC2:TGID_X_EN: 1
; COMPUTE_PGM_RSRC2:TGID_Y_EN: 1
; COMPUTE_PGM_RSRC2:TGID_Z_EN: 1
; COMPUTE_PGM_RSRC2:TIDIG_COMP_CNT: 1
	.section	.text._ZN12_GLOBAL__N_127rocblas_gemm_batched_kernelIiLi16ELi16ELi32ELi32ELi8ELi32ELi8ELi8ELi32ELc78ELc78EKaKiiEEvlllT_PT11_llS5_llS3_PT12_llPT13_lli,"axG",@progbits,_ZN12_GLOBAL__N_127rocblas_gemm_batched_kernelIiLi16ELi16ELi32ELi32ELi8ELi32ELi8ELi8ELi32ELc78ELc78EKaKiiEEvlllT_PT11_llS5_llS3_PT12_llPT13_lli,comdat
	.globl	_ZN12_GLOBAL__N_127rocblas_gemm_batched_kernelIiLi16ELi16ELi32ELi32ELi8ELi32ELi8ELi8ELi32ELc78ELc78EKaKiiEEvlllT_PT11_llS5_llS3_PT12_llPT13_lli ; -- Begin function _ZN12_GLOBAL__N_127rocblas_gemm_batched_kernelIiLi16ELi16ELi32ELi32ELi8ELi32ELi8ELi8ELi32ELc78ELc78EKaKiiEEvlllT_PT11_llS5_llS3_PT12_llPT13_lli
	.p2align	8
	.type	_ZN12_GLOBAL__N_127rocblas_gemm_batched_kernelIiLi16ELi16ELi32ELi32ELi8ELi32ELi8ELi8ELi32ELc78ELc78EKaKiiEEvlllT_PT11_llS5_llS3_PT12_llPT13_lli,@function
_ZN12_GLOBAL__N_127rocblas_gemm_batched_kernelIiLi16ELi16ELi32ELi32ELi8ELi32ELi8ELi8ELi32ELc78ELc78EKaKiiEEvlllT_PT11_llS5_llS3_PT12_llPT13_lli: ; @_ZN12_GLOBAL__N_127rocblas_gemm_batched_kernelIiLi16ELi16ELi32ELi32ELi8ELi32ELi8ELi8ELi32ELc78ELc78EKaKiiEEvlllT_PT11_llS5_llS3_PT12_llPT13_lli
; %bb.0:
	s_load_dwordx2 s[22:23], s[4:5], 0x10
	s_mov_b32 s0, s7
	v_mov_b32_e32 v5, 0
	v_mov_b32_e32 v7, 0
	;; [unrolled: 1-line block ×4, first 2 shown]
	s_ashr_i32 s7, s6, 31
	s_ashr_i32 s1, s0, 31
	s_lshl_b64 s[10:11], s[6:7], 5
	s_lshl_b64 s[20:21], s[0:1], 5
	s_waitcnt lgkmcnt(0)
	v_cmp_lt_i64_e64 s2, s[22:23], 1
	s_and_b32 vcc_lo, exec_lo, s2
	s_cbranch_vccnz .LBB482_3
; %bb.1:
	s_clause 0x1
	s_load_dwordx8 s[12:19], s[4:5], 0x20
	s_load_dwordx4 s[0:3], s[4:5], 0x40
	v_lshl_add_u32 v2, v1, 4, v0
	v_and_b32_e32 v12, 7, v0
	v_mov_b32_e32 v4, 0
	v_lshl_add_u32 v9, v1, 5, 0x400
	v_lshrrev_b32_e32 v7, 3, v2
	v_and_b32_e32 v13, 31, v2
	v_lshrrev_b32_e32 v14, 5, v2
	v_lshlrev_b32_e32 v8, 2, v12
	v_add_co_u32 v5, s6, v7, s20
	v_add_co_ci_u32_e64 v2, null, 0, s21, s6
	v_lshl_or_b32 v7, v7, 5, v8
	v_lshlrev_b32_e32 v10, 2, v13
	v_lshlrev_b32_e32 v8, 2, v0
	s_waitcnt lgkmcnt(0)
	s_mul_i32 s7, s17, s8
	s_mul_hi_u32 s9, s16, s8
	s_mul_i32 s17, s3, s8
	s_mul_hi_u32 s24, s2, s8
	s_mul_i32 s16, s16, s8
	s_mul_i32 s6, s2, s8
	s_lshl_b64 s[2:3], s[14:15], 3
	s_add_i32 s9, s9, s7
	s_add_i32 s7, s24, s17
	s_add_u32 s16, s10, s16
	s_addc_u32 s17, s11, s9
	v_mul_lo_u32 v15, s0, v2
	v_mad_u64_u32 v[2:3], null, s14, v14, s[16:17]
	v_mul_lo_u32 v16, s1, v5
	v_mad_u64_u32 v[5:6], null, s0, v5, s[6:7]
	v_add_nc_u32_e32 v11, 0x400, v7
	v_lshl_or_b32 v10, v14, 7, v10
	s_mov_b64 s[0:1], 0
	v_add3_u32 v15, v16, v6, v15
	v_mad_u64_u32 v[6:7], null, s15, v14, v[3:4]
	v_add_co_u32 v3, vcc_lo, v5, v12
	v_add_co_ci_u32_e64 v5, null, 0, v15, vcc_lo
	v_add_co_u32 v2, vcc_lo, v2, v13
	v_add_co_ci_u32_e64 v6, null, 0, v6, vcc_lo
	;; [unrolled: 2-line block ×4, first 2 shown]
	v_mov_b32_e32 v6, 0
	v_mov_b32_e32 v7, 0
	;; [unrolled: 1-line block ×3, first 2 shown]
.LBB482_2:                              ; =>This Inner Loop Header: Depth=1
	v_add_co_u32 v14, vcc_lo, v12, s0
	v_add_co_ci_u32_e64 v15, null, s1, v13, vcc_lo
	s_add_u32 s0, s0, 8
	s_addc_u32 s1, s1, 0
	global_load_sbyte v16, v[2:3], off
	global_load_sbyte v14, v[14:15], off
	v_cmp_lt_i64_e64 s6, s[0:1], s[22:23]
	v_add_co_u32 v2, vcc_lo, v2, s2
	v_add_co_ci_u32_e64 v3, null, s3, v3, vcc_lo
	s_waitcnt vmcnt(1)
	ds_write_b32 v10, v16
	s_waitcnt vmcnt(0)
	ds_write_b32 v11, v14
	s_waitcnt lgkmcnt(0)
	s_barrier
	buffer_gl0_inv
	ds_read_b128 v[14:17], v9
	ds_read2_b32 v[30:31], v8 offset1:16
	ds_read_b128 v[18:21], v9 offset:512
	ds_read2_b32 v[32:33], v8 offset0:32 offset1:48
	ds_read2_b32 v[34:35], v8 offset0:64 offset1:80
	;; [unrolled: 1-line block ×3, first 2 shown]
	ds_read_b128 v[22:25], v9 offset:16
	ds_read2_b32 v[38:39], v8 offset0:128 offset1:144
	ds_read_b128 v[26:29], v9 offset:528
	ds_read2_b32 v[40:41], v8 offset0:160 offset1:176
	ds_read2_b32 v[42:43], v8 offset0:192 offset1:208
	;; [unrolled: 1-line block ×3, first 2 shown]
	s_and_b32 vcc_lo, exec_lo, s6
	s_waitcnt lgkmcnt(0)
	s_barrier
	buffer_gl0_inv
	v_mul_lo_u32 v46, v14, v30
	v_mul_lo_u32 v14, v14, v31
	;; [unrolled: 1-line block ×16, first 2 shown]
	v_add3_u32 v5, v5, v46, v31
	v_add3_u32 v7, v7, v14, v15
	;; [unrolled: 1-line block ×4, first 2 shown]
	v_mul_lo_u32 v37, v22, v38
	v_mul_lo_u32 v22, v22, v39
	;; [unrolled: 1-line block ×8, first 2 shown]
	v_add3_u32 v5, v5, v33, v35
	v_add3_u32 v7, v7, v16, v17
	;; [unrolled: 1-line block ×4, first 2 shown]
	v_mul_lo_u32 v41, v24, v42
	v_mul_lo_u32 v24, v24, v43
	;; [unrolled: 1-line block ×8, first 2 shown]
	v_add3_u32 v5, v5, v37, v39
	v_add3_u32 v7, v7, v22, v23
	;; [unrolled: 1-line block ×8, first 2 shown]
	s_cbranch_vccnz .LBB482_2
.LBB482_3:
	s_clause 0x3
	s_load_dwordx4 s[12:15], s[4:5], 0x78
	s_load_dword s16, s[4:5], 0x18
	s_load_dword s9, s[4:5], 0x50
	s_load_dwordx8 s[0:7], s[4:5], 0x58
	v_add_co_u32 v8, s17, s20, v1
	v_add_co_ci_u32_e64 v9, null, s21, 0, s17
	v_add_co_u32 v10, s10, s10, v0
	v_add_co_ci_u32_e64 v11, null, s11, 0, s10
	s_waitcnt lgkmcnt(0)
	s_mul_i32 s11, s15, s8
	s_mul_hi_u32 s15, s14, s8
	s_mul_i32 s10, s14, s8
	v_mul_lo_u32 v3, v5, s16
	v_mul_lo_u32 v2, v7, s16
	;; [unrolled: 1-line block ×4, first 2 shown]
	s_add_i32 s11, s15, s11
	v_mul_lo_u32 v6, v9, s12
	v_mul_lo_u32 v7, v8, s13
	s_lshl_b64 s[10:11], s[10:11], 2
	v_lshlrev_b64 v[4:5], 2, v[10:11]
	s_add_u32 s6, s6, s10
	s_addc_u32 s7, s7, s11
	s_cmp_eq_u32 s9, 0
	s_mov_b32 s10, 0
	s_cbranch_scc1 .LBB482_7
; %bb.4:
	v_mul_lo_u32 v11, v9, s2
	v_mul_lo_u32 v12, v8, s3
	v_mad_u64_u32 v[9:10], null, v8, s2, 0
	s_mul_i32 s5, s5, s8
	s_mul_hi_u32 s11, s4, s8
	s_mul_i32 s4, s4, s8
	s_add_i32 s5, s11, s5
	s_lshl_b64 s[4:5], s[4:5], 2
	v_add3_u32 v10, v10, v12, v11
	s_add_u32 s0, s0, s4
	s_addc_u32 s1, s1, s5
	v_mad_u64_u32 v[11:12], null, v8, s12, 0
	v_lshlrev_b64 v[9:10], 2, v[9:10]
	v_add3_u32 v12, v12, v7, v6
	v_add_co_u32 v14, vcc_lo, s0, v9
	v_add_co_ci_u32_e64 v15, null, s1, v10, vcc_lo
	v_lshlrev_b64 v[11:12], 2, v[11:12]
	v_add_co_u32 v9, vcc_lo, v14, v4
	v_add_co_ci_u32_e64 v10, null, v15, v5, vcc_lo
	s_lshl_b64 s[0:1], s[2:3], 6
	v_add_co_u32 v16, vcc_lo, s6, v11
	global_load_dword v13, v[9:10], off
	v_add_co_ci_u32_e64 v17, null, s7, v12, vcc_lo
	s_waitcnt vmcnt(0)
	v_mad_u64_u32 v[11:12], null, v13, s9, v[3:4]
	v_add_co_u32 v12, vcc_lo, v16, v4
	v_add_co_ci_u32_e64 v13, null, v17, v5, vcc_lo
	global_store_dword v[12:13], v11, off
	global_load_dword v9, v[9:10], off offset:64
	v_add_co_u32 v11, vcc_lo, v14, s0
	v_add_co_ci_u32_e64 v14, null, s1, v15, vcc_lo
	s_lshl_b64 s[0:1], s[12:13], 6
	s_waitcnt vmcnt(0)
	v_mad_u64_u32 v[9:10], null, v9, s9, v[2:3]
	v_add_co_u32 v10, vcc_lo, v11, v4
	v_add_co_ci_u32_e64 v11, null, v14, v5, vcc_lo
	v_add_co_u32 v14, vcc_lo, v16, s0
	global_store_dword v[12:13], v9, off offset:64
	global_load_dword v9, v[10:11], off
	v_add_co_ci_u32_e64 v15, null, s1, v17, vcc_lo
	s_waitcnt vmcnt(0)
	v_mad_u64_u32 v[12:13], null, v9, s9, v[1:2]
	v_add_co_u32 v13, vcc_lo, v14, v4
	v_add_co_ci_u32_e64 v14, null, v15, v5, vcc_lo
	global_store_dword v[13:14], v12, off
	global_load_dword v9, v[10:11], off offset:64
	s_waitcnt vmcnt(0)
	v_mad_u64_u32 v[9:10], null, v9, s9, v[0:1]
	global_store_dword v[13:14], v9, off offset:64
	s_andn2_b32 vcc_lo, exec_lo, s10
	s_cbranch_vccnz .LBB482_6
.LBB482_5:
	v_mad_u64_u32 v[8:9], null, v8, s12, 0
	s_lshl_b64 s[0:1], s[12:13], 6
	v_add3_u32 v9, v9, v7, v6
	v_lshlrev_b64 v[6:7], 2, v[8:9]
	v_add_co_u32 v6, vcc_lo, s6, v6
	v_add_co_ci_u32_e64 v7, null, s7, v7, vcc_lo
	v_add_co_u32 v8, vcc_lo, v6, s0
	v_add_co_ci_u32_e64 v9, null, s1, v7, vcc_lo
	;; [unrolled: 2-line block ×4, first 2 shown]
	global_store_dword v[6:7], v3, off
	global_store_dword v[6:7], v2, off offset:64
	global_store_dword v[4:5], v1, off
	global_store_dword v[4:5], v0, off offset:64
.LBB482_6:
	s_endpgm
.LBB482_7:
	s_branch .LBB482_5
	.section	.rodata,"a",@progbits
	.p2align	6, 0x0
	.amdhsa_kernel _ZN12_GLOBAL__N_127rocblas_gemm_batched_kernelIiLi16ELi16ELi32ELi32ELi8ELi32ELi8ELi8ELi32ELc78ELc78EKaKiiEEvlllT_PT11_llS5_llS3_PT12_llPT13_lli
		.amdhsa_group_segment_fixed_size 2048
		.amdhsa_private_segment_fixed_size 0
		.amdhsa_kernarg_size 140
		.amdhsa_user_sgpr_count 6
		.amdhsa_user_sgpr_private_segment_buffer 1
		.amdhsa_user_sgpr_dispatch_ptr 0
		.amdhsa_user_sgpr_queue_ptr 0
		.amdhsa_user_sgpr_kernarg_segment_ptr 1
		.amdhsa_user_sgpr_dispatch_id 0
		.amdhsa_user_sgpr_flat_scratch_init 0
		.amdhsa_user_sgpr_private_segment_size 0
		.amdhsa_wavefront_size32 1
		.amdhsa_uses_dynamic_stack 0
		.amdhsa_system_sgpr_private_segment_wavefront_offset 0
		.amdhsa_system_sgpr_workgroup_id_x 1
		.amdhsa_system_sgpr_workgroup_id_y 1
		.amdhsa_system_sgpr_workgroup_id_z 1
		.amdhsa_system_sgpr_workgroup_info 0
		.amdhsa_system_vgpr_workitem_id 1
		.amdhsa_next_free_vgpr 47
		.amdhsa_next_free_sgpr 25
		.amdhsa_reserve_vcc 1
		.amdhsa_reserve_flat_scratch 0
		.amdhsa_float_round_mode_32 0
		.amdhsa_float_round_mode_16_64 0
		.amdhsa_float_denorm_mode_32 3
		.amdhsa_float_denorm_mode_16_64 3
		.amdhsa_dx10_clamp 1
		.amdhsa_ieee_mode 1
		.amdhsa_fp16_overflow 0
		.amdhsa_workgroup_processor_mode 1
		.amdhsa_memory_ordered 1
		.amdhsa_forward_progress 1
		.amdhsa_shared_vgpr_count 0
		.amdhsa_exception_fp_ieee_invalid_op 0
		.amdhsa_exception_fp_denorm_src 0
		.amdhsa_exception_fp_ieee_div_zero 0
		.amdhsa_exception_fp_ieee_overflow 0
		.amdhsa_exception_fp_ieee_underflow 0
		.amdhsa_exception_fp_ieee_inexact 0
		.amdhsa_exception_int_div_zero 0
	.end_amdhsa_kernel
	.section	.text._ZN12_GLOBAL__N_127rocblas_gemm_batched_kernelIiLi16ELi16ELi32ELi32ELi8ELi32ELi8ELi8ELi32ELc78ELc78EKaKiiEEvlllT_PT11_llS5_llS3_PT12_llPT13_lli,"axG",@progbits,_ZN12_GLOBAL__N_127rocblas_gemm_batched_kernelIiLi16ELi16ELi32ELi32ELi8ELi32ELi8ELi8ELi32ELc78ELc78EKaKiiEEvlllT_PT11_llS5_llS3_PT12_llPT13_lli,comdat
.Lfunc_end482:
	.size	_ZN12_GLOBAL__N_127rocblas_gemm_batched_kernelIiLi16ELi16ELi32ELi32ELi8ELi32ELi8ELi8ELi32ELc78ELc78EKaKiiEEvlllT_PT11_llS5_llS3_PT12_llPT13_lli, .Lfunc_end482-_ZN12_GLOBAL__N_127rocblas_gemm_batched_kernelIiLi16ELi16ELi32ELi32ELi8ELi32ELi8ELi8ELi32ELc78ELc78EKaKiiEEvlllT_PT11_llS5_llS3_PT12_llPT13_lli
                                        ; -- End function
	.set _ZN12_GLOBAL__N_127rocblas_gemm_batched_kernelIiLi16ELi16ELi32ELi32ELi8ELi32ELi8ELi8ELi32ELc78ELc78EKaKiiEEvlllT_PT11_llS5_llS3_PT12_llPT13_lli.num_vgpr, 47
	.set _ZN12_GLOBAL__N_127rocblas_gemm_batched_kernelIiLi16ELi16ELi32ELi32ELi8ELi32ELi8ELi8ELi32ELc78ELc78EKaKiiEEvlllT_PT11_llS5_llS3_PT12_llPT13_lli.num_agpr, 0
	.set _ZN12_GLOBAL__N_127rocblas_gemm_batched_kernelIiLi16ELi16ELi32ELi32ELi8ELi32ELi8ELi8ELi32ELc78ELc78EKaKiiEEvlllT_PT11_llS5_llS3_PT12_llPT13_lli.numbered_sgpr, 25
	.set _ZN12_GLOBAL__N_127rocblas_gemm_batched_kernelIiLi16ELi16ELi32ELi32ELi8ELi32ELi8ELi8ELi32ELc78ELc78EKaKiiEEvlllT_PT11_llS5_llS3_PT12_llPT13_lli.num_named_barrier, 0
	.set _ZN12_GLOBAL__N_127rocblas_gemm_batched_kernelIiLi16ELi16ELi32ELi32ELi8ELi32ELi8ELi8ELi32ELc78ELc78EKaKiiEEvlllT_PT11_llS5_llS3_PT12_llPT13_lli.private_seg_size, 0
	.set _ZN12_GLOBAL__N_127rocblas_gemm_batched_kernelIiLi16ELi16ELi32ELi32ELi8ELi32ELi8ELi8ELi32ELc78ELc78EKaKiiEEvlllT_PT11_llS5_llS3_PT12_llPT13_lli.uses_vcc, 1
	.set _ZN12_GLOBAL__N_127rocblas_gemm_batched_kernelIiLi16ELi16ELi32ELi32ELi8ELi32ELi8ELi8ELi32ELc78ELc78EKaKiiEEvlllT_PT11_llS5_llS3_PT12_llPT13_lli.uses_flat_scratch, 0
	.set _ZN12_GLOBAL__N_127rocblas_gemm_batched_kernelIiLi16ELi16ELi32ELi32ELi8ELi32ELi8ELi8ELi32ELc78ELc78EKaKiiEEvlllT_PT11_llS5_llS3_PT12_llPT13_lli.has_dyn_sized_stack, 0
	.set _ZN12_GLOBAL__N_127rocblas_gemm_batched_kernelIiLi16ELi16ELi32ELi32ELi8ELi32ELi8ELi8ELi32ELc78ELc78EKaKiiEEvlllT_PT11_llS5_llS3_PT12_llPT13_lli.has_recursion, 0
	.set _ZN12_GLOBAL__N_127rocblas_gemm_batched_kernelIiLi16ELi16ELi32ELi32ELi8ELi32ELi8ELi8ELi32ELc78ELc78EKaKiiEEvlllT_PT11_llS5_llS3_PT12_llPT13_lli.has_indirect_call, 0
	.section	.AMDGPU.csdata,"",@progbits
; Kernel info:
; codeLenInByte = 1608
; TotalNumSgprs: 27
; NumVgprs: 47
; ScratchSize: 0
; MemoryBound: 0
; FloatMode: 240
; IeeeMode: 1
; LDSByteSize: 2048 bytes/workgroup (compile time only)
; SGPRBlocks: 0
; VGPRBlocks: 5
; NumSGPRsForWavesPerEU: 27
; NumVGPRsForWavesPerEU: 47
; Occupancy: 16
; WaveLimiterHint : 0
; COMPUTE_PGM_RSRC2:SCRATCH_EN: 0
; COMPUTE_PGM_RSRC2:USER_SGPR: 6
; COMPUTE_PGM_RSRC2:TRAP_HANDLER: 0
; COMPUTE_PGM_RSRC2:TGID_X_EN: 1
; COMPUTE_PGM_RSRC2:TGID_Y_EN: 1
; COMPUTE_PGM_RSRC2:TGID_Z_EN: 1
; COMPUTE_PGM_RSRC2:TIDIG_COMP_CNT: 1
	.section	.text._ZN12_GLOBAL__N_127rocblas_gemm_batched_kernelIiLi16ELi16ELi32ELi32ELi8ELi32ELi8ELi8ELi32ELc84ELc78EKaKiiEEvlllT_PT11_llS5_llS3_PT12_llPT13_lli,"axG",@progbits,_ZN12_GLOBAL__N_127rocblas_gemm_batched_kernelIiLi16ELi16ELi32ELi32ELi8ELi32ELi8ELi8ELi32ELc84ELc78EKaKiiEEvlllT_PT11_llS5_llS3_PT12_llPT13_lli,comdat
	.globl	_ZN12_GLOBAL__N_127rocblas_gemm_batched_kernelIiLi16ELi16ELi32ELi32ELi8ELi32ELi8ELi8ELi32ELc84ELc78EKaKiiEEvlllT_PT11_llS5_llS3_PT12_llPT13_lli ; -- Begin function _ZN12_GLOBAL__N_127rocblas_gemm_batched_kernelIiLi16ELi16ELi32ELi32ELi8ELi32ELi8ELi8ELi32ELc84ELc78EKaKiiEEvlllT_PT11_llS5_llS3_PT12_llPT13_lli
	.p2align	8
	.type	_ZN12_GLOBAL__N_127rocblas_gemm_batched_kernelIiLi16ELi16ELi32ELi32ELi8ELi32ELi8ELi8ELi32ELc84ELc78EKaKiiEEvlllT_PT11_llS5_llS3_PT12_llPT13_lli,@function
_ZN12_GLOBAL__N_127rocblas_gemm_batched_kernelIiLi16ELi16ELi32ELi32ELi8ELi32ELi8ELi8ELi32ELc84ELc78EKaKiiEEvlllT_PT11_llS5_llS3_PT12_llPT13_lli: ; @_ZN12_GLOBAL__N_127rocblas_gemm_batched_kernelIiLi16ELi16ELi32ELi32ELi8ELi32ELi8ELi8ELi32ELc84ELc78EKaKiiEEvlllT_PT11_llS5_llS3_PT12_llPT13_lli
; %bb.0:
	s_load_dwordx2 s[0:1], s[4:5], 0x10
	s_mov_b32 s2, s7
	v_mov_b32_e32 v2, 0
	v_mov_b32_e32 v6, 0
	;; [unrolled: 1-line block ×4, first 2 shown]
	s_ashr_i32 s7, s6, 31
	s_ashr_i32 s3, s2, 31
	s_lshl_b64 s[10:11], s[6:7], 5
	s_lshl_b64 s[20:21], s[2:3], 5
	s_waitcnt lgkmcnt(0)
	v_cmp_lt_i64_e64 s9, s[0:1], 1
	s_and_b32 vcc_lo, exec_lo, s9
	s_cbranch_vccnz .LBB483_3
; %bb.1:
	s_clause 0x1
	s_load_dwordx8 s[12:19], s[4:5], 0x20
	s_load_dwordx4 s[24:27], s[4:5], 0x40
	v_lshl_add_u32 v2, v1, 4, v0
	v_and_b32_e32 v9, 7, v0
	v_mov_b32_e32 v3, 0
	v_lshrrev_b32_e32 v4, 3, v2
	v_and_b32_e32 v8, 31, v2
	v_lshlrev_b32_e32 v5, 2, v9
	v_lshrrev_b32_e32 v2, 5, v2
	v_add_co_u32 v7, s2, v4, s20
	v_add_co_ci_u32_e64 v10, null, 0, s21, s2
	v_lshlrev_b32_e32 v11, 2, v8
	v_lshl_or_b32 v12, v4, 5, v5
	s_waitcnt lgkmcnt(0)
	s_mul_i32 s3, s17, s8
	s_mul_hi_u32 s6, s16, s8
	s_mul_i32 s7, s16, s8
	s_mul_i32 s9, s27, s8
	s_mul_hi_u32 s16, s26, s8
	s_mul_i32 s2, s26, s8
	s_add_i32 s6, s6, s3
	s_add_i32 s3, s16, s9
	v_mul_lo_u32 v10, s24, v10
	v_mad_u64_u32 v[5:6], null, s24, v7, s[2:3]
	v_mul_lo_u32 v13, s25, v7
	v_lshl_or_b32 v4, v2, 7, v11
	v_add_co_u32 v11, s2, s10, v8
	v_add_co_ci_u32_e64 v14, null, s11, 0, s2
	v_add_nc_u32_e32 v7, 0x400, v12
	v_add_co_u32 v5, vcc_lo, v5, v9
	v_add3_u32 v6, v13, v6, v10
	v_mad_u64_u32 v[12:13], null, s14, v11, v[2:3]
	v_mul_lo_u32 v2, s14, v14
	v_mul_lo_u32 v14, s15, v11
	v_add_co_ci_u32_e64 v6, null, 0, v6, vcc_lo
	v_add_co_u32 v10, vcc_lo, s18, v5
	s_add_u32 s2, s12, s7
	v_add_co_ci_u32_e64 v11, null, s19, v6, vcc_lo
	v_add3_u32 v2, v14, v13, v2
	s_addc_u32 s3, s13, s6
	v_add_co_u32 v12, vcc_lo, s2, v12
	v_lshlrev_b32_e32 v8, 2, v0
	v_lshl_add_u32 v9, v1, 5, 0x400
	v_add_co_ci_u32_e64 v13, null, s3, v2, vcc_lo
	v_mov_b32_e32 v5, v3
	v_mov_b32_e32 v6, v3
	v_mov_b32_e32 v2, v3
	s_mov_b64 s[2:3], 0
.LBB483_2:                              ; =>This Inner Loop Header: Depth=1
	v_add_co_u32 v14, vcc_lo, v12, s2
	v_add_co_ci_u32_e64 v15, null, s3, v13, vcc_lo
	v_add_co_u32 v16, vcc_lo, v10, s2
	v_add_co_ci_u32_e64 v17, null, s3, v11, vcc_lo
	global_load_sbyte v14, v[14:15], off
	global_load_sbyte v15, v[16:17], off
	s_add_u32 s2, s2, 8
	s_addc_u32 s3, s3, 0
	s_waitcnt vmcnt(1)
	ds_write_b32 v4, v14
	s_waitcnt vmcnt(0)
	ds_write_b32 v7, v15
	s_waitcnt lgkmcnt(0)
	s_barrier
	buffer_gl0_inv
	ds_read_b128 v[14:17], v9
	ds_read2_b32 v[30:31], v8 offset1:16
	ds_read_b128 v[18:21], v9 offset:512
	ds_read2_b32 v[32:33], v8 offset0:32 offset1:48
	ds_read2_b32 v[34:35], v8 offset0:64 offset1:80
	;; [unrolled: 1-line block ×3, first 2 shown]
	ds_read_b128 v[22:25], v9 offset:16
	ds_read2_b32 v[38:39], v8 offset0:128 offset1:144
	ds_read_b128 v[26:29], v9 offset:528
	ds_read2_b32 v[40:41], v8 offset0:160 offset1:176
	ds_read2_b32 v[42:43], v8 offset0:192 offset1:208
	;; [unrolled: 1-line block ×3, first 2 shown]
	v_cmp_lt_i64_e64 s6, s[2:3], s[0:1]
	s_waitcnt lgkmcnt(0)
	s_barrier
	buffer_gl0_inv
	s_and_b32 vcc_lo, exec_lo, s6
	v_mul_lo_u32 v46, v14, v30
	v_mul_lo_u32 v14, v14, v31
	;; [unrolled: 1-line block ×16, first 2 shown]
	v_add3_u32 v2, v2, v46, v31
	v_add3_u32 v6, v6, v14, v15
	;; [unrolled: 1-line block ×4, first 2 shown]
	v_mul_lo_u32 v37, v22, v38
	v_mul_lo_u32 v22, v22, v39
	;; [unrolled: 1-line block ×8, first 2 shown]
	v_add3_u32 v2, v2, v33, v35
	v_add3_u32 v6, v6, v16, v17
	v_add3_u32 v5, v5, v34, v36
	v_add3_u32 v3, v3, v20, v21
	v_mul_lo_u32 v41, v24, v42
	v_mul_lo_u32 v24, v24, v43
	;; [unrolled: 1-line block ×8, first 2 shown]
	v_add3_u32 v2, v2, v37, v39
	v_add3_u32 v6, v6, v22, v23
	;; [unrolled: 1-line block ×8, first 2 shown]
	s_cbranch_vccnz .LBB483_2
.LBB483_3:
	s_clause 0x3
	s_load_dwordx4 s[12:15], s[4:5], 0x78
	s_load_dword s16, s[4:5], 0x18
	s_load_dword s9, s[4:5], 0x50
	s_load_dwordx8 s[0:7], s[4:5], 0x58
	v_add_co_u32 v7, s17, s20, v1
	v_add_co_ci_u32_e64 v9, null, s21, 0, s17
	v_add_co_u32 v10, s10, s10, v0
	v_add_co_ci_u32_e64 v11, null, s11, 0, s10
	s_waitcnt lgkmcnt(0)
	s_mul_i32 s11, s15, s8
	s_mul_hi_u32 s15, s14, s8
	s_mul_i32 s10, s14, s8
	v_mul_lo_u32 v4, v2, s16
	v_mul_lo_u32 v2, v6, s16
	v_mul_lo_u32 v1, v5, s16
	v_mul_lo_u32 v0, v3, s16
	s_add_i32 s11, s15, s11
	v_mul_lo_u32 v3, v9, s12
	v_mul_lo_u32 v8, v7, s13
	s_lshl_b64 s[10:11], s[10:11], 2
	v_lshlrev_b64 v[5:6], 2, v[10:11]
	s_add_u32 s6, s6, s10
	s_addc_u32 s7, s7, s11
	s_cmp_eq_u32 s9, 0
	s_mov_b32 s10, 0
	s_cbranch_scc1 .LBB483_7
; %bb.4:
	v_mul_lo_u32 v11, v9, s2
	v_mul_lo_u32 v12, v7, s3
	v_mad_u64_u32 v[9:10], null, v7, s2, 0
	s_mul_i32 s5, s5, s8
	s_mul_hi_u32 s11, s4, s8
	s_mul_i32 s4, s4, s8
	s_add_i32 s5, s11, s5
	s_lshl_b64 s[4:5], s[4:5], 2
	v_add3_u32 v10, v10, v12, v11
	s_add_u32 s0, s0, s4
	s_addc_u32 s1, s1, s5
	v_mad_u64_u32 v[11:12], null, v7, s12, 0
	v_lshlrev_b64 v[9:10], 2, v[9:10]
	v_add3_u32 v12, v12, v8, v3
	v_add_co_u32 v14, vcc_lo, s0, v9
	v_add_co_ci_u32_e64 v15, null, s1, v10, vcc_lo
	v_lshlrev_b64 v[11:12], 2, v[11:12]
	v_add_co_u32 v9, vcc_lo, v14, v5
	v_add_co_ci_u32_e64 v10, null, v15, v6, vcc_lo
	s_lshl_b64 s[0:1], s[2:3], 6
	v_add_co_u32 v16, vcc_lo, s6, v11
	global_load_dword v13, v[9:10], off
	v_add_co_ci_u32_e64 v17, null, s7, v12, vcc_lo
	s_waitcnt vmcnt(0)
	v_mad_u64_u32 v[11:12], null, v13, s9, v[4:5]
	v_add_co_u32 v12, vcc_lo, v16, v5
	v_add_co_ci_u32_e64 v13, null, v17, v6, vcc_lo
	global_store_dword v[12:13], v11, off
	global_load_dword v9, v[9:10], off offset:64
	v_add_co_u32 v11, vcc_lo, v14, s0
	v_add_co_ci_u32_e64 v14, null, s1, v15, vcc_lo
	s_lshl_b64 s[0:1], s[12:13], 6
	s_waitcnt vmcnt(0)
	v_mad_u64_u32 v[9:10], null, v9, s9, v[2:3]
	v_add_co_u32 v10, vcc_lo, v11, v5
	v_add_co_ci_u32_e64 v11, null, v14, v6, vcc_lo
	v_add_co_u32 v14, vcc_lo, v16, s0
	global_store_dword v[12:13], v9, off offset:64
	global_load_dword v9, v[10:11], off
	v_add_co_ci_u32_e64 v15, null, s1, v17, vcc_lo
	s_waitcnt vmcnt(0)
	v_mad_u64_u32 v[12:13], null, v9, s9, v[1:2]
	v_add_co_u32 v13, vcc_lo, v14, v5
	v_add_co_ci_u32_e64 v14, null, v15, v6, vcc_lo
	global_store_dword v[13:14], v12, off
	global_load_dword v9, v[10:11], off offset:64
	s_waitcnt vmcnt(0)
	v_mad_u64_u32 v[9:10], null, v9, s9, v[0:1]
	global_store_dword v[13:14], v9, off offset:64
	s_andn2_b32 vcc_lo, exec_lo, s10
	s_cbranch_vccnz .LBB483_6
.LBB483_5:
	v_mad_u64_u32 v[9:10], null, v7, s12, 0
	s_lshl_b64 s[0:1], s[12:13], 6
	v_add3_u32 v10, v10, v8, v3
	v_lshlrev_b64 v[7:8], 2, v[9:10]
	v_add_co_u32 v3, vcc_lo, s6, v7
	v_add_co_ci_u32_e64 v8, null, s7, v8, vcc_lo
	v_add_co_u32 v9, vcc_lo, v3, s0
	v_add_co_ci_u32_e64 v10, null, s1, v8, vcc_lo
	;; [unrolled: 2-line block ×4, first 2 shown]
	global_store_dword v[7:8], v4, off
	global_store_dword v[7:8], v2, off offset:64
	global_store_dword v[5:6], v1, off
	global_store_dword v[5:6], v0, off offset:64
.LBB483_6:
	s_endpgm
.LBB483_7:
	s_branch .LBB483_5
	.section	.rodata,"a",@progbits
	.p2align	6, 0x0
	.amdhsa_kernel _ZN12_GLOBAL__N_127rocblas_gemm_batched_kernelIiLi16ELi16ELi32ELi32ELi8ELi32ELi8ELi8ELi32ELc84ELc78EKaKiiEEvlllT_PT11_llS5_llS3_PT12_llPT13_lli
		.amdhsa_group_segment_fixed_size 2048
		.amdhsa_private_segment_fixed_size 0
		.amdhsa_kernarg_size 140
		.amdhsa_user_sgpr_count 6
		.amdhsa_user_sgpr_private_segment_buffer 1
		.amdhsa_user_sgpr_dispatch_ptr 0
		.amdhsa_user_sgpr_queue_ptr 0
		.amdhsa_user_sgpr_kernarg_segment_ptr 1
		.amdhsa_user_sgpr_dispatch_id 0
		.amdhsa_user_sgpr_flat_scratch_init 0
		.amdhsa_user_sgpr_private_segment_size 0
		.amdhsa_wavefront_size32 1
		.amdhsa_uses_dynamic_stack 0
		.amdhsa_system_sgpr_private_segment_wavefront_offset 0
		.amdhsa_system_sgpr_workgroup_id_x 1
		.amdhsa_system_sgpr_workgroup_id_y 1
		.amdhsa_system_sgpr_workgroup_id_z 1
		.amdhsa_system_sgpr_workgroup_info 0
		.amdhsa_system_vgpr_workitem_id 1
		.amdhsa_next_free_vgpr 47
		.amdhsa_next_free_sgpr 28
		.amdhsa_reserve_vcc 1
		.amdhsa_reserve_flat_scratch 0
		.amdhsa_float_round_mode_32 0
		.amdhsa_float_round_mode_16_64 0
		.amdhsa_float_denorm_mode_32 3
		.amdhsa_float_denorm_mode_16_64 3
		.amdhsa_dx10_clamp 1
		.amdhsa_ieee_mode 1
		.amdhsa_fp16_overflow 0
		.amdhsa_workgroup_processor_mode 1
		.amdhsa_memory_ordered 1
		.amdhsa_forward_progress 1
		.amdhsa_shared_vgpr_count 0
		.amdhsa_exception_fp_ieee_invalid_op 0
		.amdhsa_exception_fp_denorm_src 0
		.amdhsa_exception_fp_ieee_div_zero 0
		.amdhsa_exception_fp_ieee_overflow 0
		.amdhsa_exception_fp_ieee_underflow 0
		.amdhsa_exception_fp_ieee_inexact 0
		.amdhsa_exception_int_div_zero 0
	.end_amdhsa_kernel
	.section	.text._ZN12_GLOBAL__N_127rocblas_gemm_batched_kernelIiLi16ELi16ELi32ELi32ELi8ELi32ELi8ELi8ELi32ELc84ELc78EKaKiiEEvlllT_PT11_llS5_llS3_PT12_llPT13_lli,"axG",@progbits,_ZN12_GLOBAL__N_127rocblas_gemm_batched_kernelIiLi16ELi16ELi32ELi32ELi8ELi32ELi8ELi8ELi32ELc84ELc78EKaKiiEEvlllT_PT11_llS5_llS3_PT12_llPT13_lli,comdat
.Lfunc_end483:
	.size	_ZN12_GLOBAL__N_127rocblas_gemm_batched_kernelIiLi16ELi16ELi32ELi32ELi8ELi32ELi8ELi8ELi32ELc84ELc78EKaKiiEEvlllT_PT11_llS5_llS3_PT12_llPT13_lli, .Lfunc_end483-_ZN12_GLOBAL__N_127rocblas_gemm_batched_kernelIiLi16ELi16ELi32ELi32ELi8ELi32ELi8ELi8ELi32ELc84ELc78EKaKiiEEvlllT_PT11_llS5_llS3_PT12_llPT13_lli
                                        ; -- End function
	.set _ZN12_GLOBAL__N_127rocblas_gemm_batched_kernelIiLi16ELi16ELi32ELi32ELi8ELi32ELi8ELi8ELi32ELc84ELc78EKaKiiEEvlllT_PT11_llS5_llS3_PT12_llPT13_lli.num_vgpr, 47
	.set _ZN12_GLOBAL__N_127rocblas_gemm_batched_kernelIiLi16ELi16ELi32ELi32ELi8ELi32ELi8ELi8ELi32ELc84ELc78EKaKiiEEvlllT_PT11_llS5_llS3_PT12_llPT13_lli.num_agpr, 0
	.set _ZN12_GLOBAL__N_127rocblas_gemm_batched_kernelIiLi16ELi16ELi32ELi32ELi8ELi32ELi8ELi8ELi32ELc84ELc78EKaKiiEEvlllT_PT11_llS5_llS3_PT12_llPT13_lli.numbered_sgpr, 28
	.set _ZN12_GLOBAL__N_127rocblas_gemm_batched_kernelIiLi16ELi16ELi32ELi32ELi8ELi32ELi8ELi8ELi32ELc84ELc78EKaKiiEEvlllT_PT11_llS5_llS3_PT12_llPT13_lli.num_named_barrier, 0
	.set _ZN12_GLOBAL__N_127rocblas_gemm_batched_kernelIiLi16ELi16ELi32ELi32ELi8ELi32ELi8ELi8ELi32ELc84ELc78EKaKiiEEvlllT_PT11_llS5_llS3_PT12_llPT13_lli.private_seg_size, 0
	.set _ZN12_GLOBAL__N_127rocblas_gemm_batched_kernelIiLi16ELi16ELi32ELi32ELi8ELi32ELi8ELi8ELi32ELc84ELc78EKaKiiEEvlllT_PT11_llS5_llS3_PT12_llPT13_lli.uses_vcc, 1
	.set _ZN12_GLOBAL__N_127rocblas_gemm_batched_kernelIiLi16ELi16ELi32ELi32ELi8ELi32ELi8ELi8ELi32ELc84ELc78EKaKiiEEvlllT_PT11_llS5_llS3_PT12_llPT13_lli.uses_flat_scratch, 0
	.set _ZN12_GLOBAL__N_127rocblas_gemm_batched_kernelIiLi16ELi16ELi32ELi32ELi8ELi32ELi8ELi8ELi32ELc84ELc78EKaKiiEEvlllT_PT11_llS5_llS3_PT12_llPT13_lli.has_dyn_sized_stack, 0
	.set _ZN12_GLOBAL__N_127rocblas_gemm_batched_kernelIiLi16ELi16ELi32ELi32ELi8ELi32ELi8ELi8ELi32ELc84ELc78EKaKiiEEvlllT_PT11_llS5_llS3_PT12_llPT13_lli.has_recursion, 0
	.set _ZN12_GLOBAL__N_127rocblas_gemm_batched_kernelIiLi16ELi16ELi32ELi32ELi8ELi32ELi8ELi8ELi32ELc84ELc78EKaKiiEEvlllT_PT11_llS5_llS3_PT12_llPT13_lli.has_indirect_call, 0
	.section	.AMDGPU.csdata,"",@progbits
; Kernel info:
; codeLenInByte = 1620
; TotalNumSgprs: 30
; NumVgprs: 47
; ScratchSize: 0
; MemoryBound: 0
; FloatMode: 240
; IeeeMode: 1
; LDSByteSize: 2048 bytes/workgroup (compile time only)
; SGPRBlocks: 0
; VGPRBlocks: 5
; NumSGPRsForWavesPerEU: 30
; NumVGPRsForWavesPerEU: 47
; Occupancy: 16
; WaveLimiterHint : 0
; COMPUTE_PGM_RSRC2:SCRATCH_EN: 0
; COMPUTE_PGM_RSRC2:USER_SGPR: 6
; COMPUTE_PGM_RSRC2:TRAP_HANDLER: 0
; COMPUTE_PGM_RSRC2:TGID_X_EN: 1
; COMPUTE_PGM_RSRC2:TGID_Y_EN: 1
; COMPUTE_PGM_RSRC2:TGID_Z_EN: 1
; COMPUTE_PGM_RSRC2:TIDIG_COMP_CNT: 1
	.section	.text._ZN12_GLOBAL__N_127rocblas_gemm_batched_kernelIiLi16ELi16ELi32ELi32ELi8ELi32ELi8ELi8ELi32ELc78ELc84EKaKiiEEvlllT_PT11_llS5_llS3_PT12_llPT13_lli,"axG",@progbits,_ZN12_GLOBAL__N_127rocblas_gemm_batched_kernelIiLi16ELi16ELi32ELi32ELi8ELi32ELi8ELi8ELi32ELc78ELc84EKaKiiEEvlllT_PT11_llS5_llS3_PT12_llPT13_lli,comdat
	.globl	_ZN12_GLOBAL__N_127rocblas_gemm_batched_kernelIiLi16ELi16ELi32ELi32ELi8ELi32ELi8ELi8ELi32ELc78ELc84EKaKiiEEvlllT_PT11_llS5_llS3_PT12_llPT13_lli ; -- Begin function _ZN12_GLOBAL__N_127rocblas_gemm_batched_kernelIiLi16ELi16ELi32ELi32ELi8ELi32ELi8ELi8ELi32ELc78ELc84EKaKiiEEvlllT_PT11_llS5_llS3_PT12_llPT13_lli
	.p2align	8
	.type	_ZN12_GLOBAL__N_127rocblas_gemm_batched_kernelIiLi16ELi16ELi32ELi32ELi8ELi32ELi8ELi8ELi32ELc78ELc84EKaKiiEEvlllT_PT11_llS5_llS3_PT12_llPT13_lli,@function
_ZN12_GLOBAL__N_127rocblas_gemm_batched_kernelIiLi16ELi16ELi32ELi32ELi8ELi32ELi8ELi8ELi32ELc78ELc84EKaKiiEEvlllT_PT11_llS5_llS3_PT12_llPT13_lli: ; @_ZN12_GLOBAL__N_127rocblas_gemm_batched_kernelIiLi16ELi16ELi32ELi32ELi8ELi32ELi8ELi8ELi32ELc78ELc84EKaKiiEEvlllT_PT11_llS5_llS3_PT12_llPT13_lli
; %bb.0:
	s_load_dwordx2 s[22:23], s[4:5], 0x10
	s_mov_b32 s0, s7
	v_mov_b32_e32 v2, 0
	v_mov_b32_e32 v9, 0
	;; [unrolled: 1-line block ×4, first 2 shown]
	s_ashr_i32 s7, s6, 31
	s_ashr_i32 s1, s0, 31
	s_lshl_b64 s[10:11], s[6:7], 5
	s_lshl_b64 s[20:21], s[0:1], 5
	s_waitcnt lgkmcnt(0)
	v_cmp_lt_i64_e64 s2, s[22:23], 1
	s_and_b32 vcc_lo, exec_lo, s2
	s_cbranch_vccnz .LBB484_3
; %bb.1:
	s_clause 0x1
	s_load_dwordx4 s[0:3], s[4:5], 0x40
	s_load_dwordx8 s[12:19], s[4:5], 0x20
	v_lshl_add_u32 v8, v1, 4, v0
	v_mov_b32_e32 v3, 0
	v_and_b32_e32 v16, 7, v0
	v_lshlrev_b32_e32 v10, 2, v0
	v_lshl_add_u32 v11, v1, 5, 0x400
	v_lshrrev_b32_e32 v2, 3, v8
	v_lshrrev_b32_e32 v12, 5, v8
	v_and_b32_e32 v17, 31, v8
	v_lshlrev_b32_e32 v9, 2, v16
	v_mov_b32_e32 v8, v3
	v_lshlrev_b32_e32 v13, 2, v17
	s_waitcnt lgkmcnt(0)
	v_mad_u64_u32 v[4:5], null, s2, s8, v[2:3]
	s_mul_i32 s2, s17, s8
	s_mul_hi_u32 s9, s16, s8
	s_mul_i32 s24, s16, s8
	s_lshl_b64 s[6:7], s[14:15], 3
	s_lshl_b64 s[16:17], s[0:1], 3
	s_add_i32 s9, s9, s2
	v_mad_u64_u32 v[5:6], null, s3, s8, v[5:6]
	s_add_u32 s18, s18, s20
	s_addc_u32 s19, s19, s21
	s_add_u32 s2, s10, s24
	s_addc_u32 s3, s11, s9
	v_lshl_or_b32 v2, v2, 5, v9
	v_mad_u64_u32 v[6:7], null, s14, v12, s[2:3]
	v_mad_u64_u32 v[14:15], null, s0, v16, v[4:5]
	v_mov_b32_e32 v9, v3
	v_mad_u64_u32 v[4:5], null, s15, v12, v[7:8]
	v_lshl_or_b32 v12, v12, 7, v13
	v_add_nc_u32_e32 v13, 0x400, v2
	v_mov_b32_e32 v2, v15
	v_add_co_u32 v5, vcc_lo, v6, v17
	v_add_co_ci_u32_e64 v6, null, 0, v4, vcc_lo
	v_mad_u64_u32 v[15:16], null, s1, v16, v[2:3]
	v_add_co_u32 v4, vcc_lo, s12, v5
	v_add_co_ci_u32_e64 v5, null, s13, v6, vcc_lo
	v_add_co_u32 v6, vcc_lo, s18, v14
	v_add_co_ci_u32_e64 v7, null, s19, v15, vcc_lo
	v_mov_b32_e32 v2, v3
	s_mov_b64 s[0:1], 0
.LBB484_2:                              ; =>This Inner Loop Header: Depth=1
	global_load_sbyte v14, v[4:5], off
	global_load_sbyte v15, v[6:7], off
	s_add_u32 s0, s0, 8
	s_addc_u32 s1, s1, 0
	v_add_co_u32 v6, vcc_lo, v6, s16
	v_cmp_lt_i64_e64 s2, s[0:1], s[22:23]
	v_add_co_ci_u32_e64 v7, null, s17, v7, vcc_lo
	v_add_co_u32 v4, vcc_lo, v4, s6
	v_add_co_ci_u32_e64 v5, null, s7, v5, vcc_lo
	s_and_b32 vcc_lo, exec_lo, s2
	s_waitcnt vmcnt(1)
	ds_write_b32 v12, v14
	s_waitcnt vmcnt(0)
	ds_write_b32 v13, v15
	s_waitcnt lgkmcnt(0)
	s_barrier
	buffer_gl0_inv
	ds_read_b128 v[14:17], v11
	ds_read2_b32 v[30:31], v10 offset1:16
	ds_read_b128 v[18:21], v11 offset:512
	ds_read2_b32 v[32:33], v10 offset0:32 offset1:48
	ds_read2_b32 v[34:35], v10 offset0:64 offset1:80
	;; [unrolled: 1-line block ×3, first 2 shown]
	ds_read_b128 v[22:25], v11 offset:16
	ds_read2_b32 v[38:39], v10 offset0:128 offset1:144
	ds_read_b128 v[26:29], v11 offset:528
	ds_read2_b32 v[40:41], v10 offset0:160 offset1:176
	ds_read2_b32 v[42:43], v10 offset0:192 offset1:208
	;; [unrolled: 1-line block ×3, first 2 shown]
	s_waitcnt lgkmcnt(0)
	s_barrier
	buffer_gl0_inv
	v_mul_lo_u32 v46, v14, v30
	v_mul_lo_u32 v14, v14, v31
	;; [unrolled: 1-line block ×16, first 2 shown]
	v_add3_u32 v2, v2, v46, v31
	v_add3_u32 v9, v9, v14, v15
	;; [unrolled: 1-line block ×4, first 2 shown]
	v_mul_lo_u32 v37, v22, v38
	v_mul_lo_u32 v22, v22, v39
	;; [unrolled: 1-line block ×8, first 2 shown]
	v_add3_u32 v2, v2, v33, v35
	v_add3_u32 v9, v9, v16, v17
	;; [unrolled: 1-line block ×4, first 2 shown]
	v_mul_lo_u32 v41, v24, v42
	v_mul_lo_u32 v24, v24, v43
	;; [unrolled: 1-line block ×8, first 2 shown]
	v_add3_u32 v2, v2, v37, v39
	v_add3_u32 v9, v9, v22, v23
	;; [unrolled: 1-line block ×8, first 2 shown]
	s_cbranch_vccnz .LBB484_2
.LBB484_3:
	s_clause 0x3
	s_load_dwordx4 s[12:15], s[4:5], 0x78
	s_load_dword s16, s[4:5], 0x18
	s_load_dword s9, s[4:5], 0x50
	s_load_dwordx8 s[0:7], s[4:5], 0x58
	v_add_co_u32 v7, s17, s20, v1
	v_add_co_ci_u32_e64 v10, null, s21, 0, s17
	v_add_co_u32 v5, s10, s10, v0
	v_add_co_ci_u32_e64 v6, null, s11, 0, s10
	v_lshlrev_b64 v[5:6], 2, v[5:6]
	s_waitcnt lgkmcnt(0)
	s_mul_i32 s11, s15, s8
	s_mul_hi_u32 s15, s14, s8
	s_mul_i32 s10, s14, s8
	v_mul_lo_u32 v4, v2, s16
	v_mul_lo_u32 v2, v9, s16
	v_mul_lo_u32 v1, v8, s16
	v_mul_lo_u32 v0, v3, s16
	s_add_i32 s11, s15, s11
	v_mul_lo_u32 v3, v10, s12
	v_mul_lo_u32 v8, v7, s13
	s_lshl_b64 s[10:11], s[10:11], 2
	s_add_u32 s6, s6, s10
	s_addc_u32 s7, s7, s11
	s_cmp_eq_u32 s9, 0
	s_mov_b32 s10, 0
	s_cbranch_scc1 .LBB484_7
; %bb.4:
	v_mul_lo_u32 v11, v10, s2
	v_mul_lo_u32 v12, v7, s3
	v_mad_u64_u32 v[9:10], null, v7, s2, 0
	s_mul_i32 s5, s5, s8
	s_mul_hi_u32 s11, s4, s8
	s_mul_i32 s4, s4, s8
	s_add_i32 s5, s11, s5
	s_lshl_b64 s[4:5], s[4:5], 2
	v_add3_u32 v10, v10, v12, v11
	s_add_u32 s0, s0, s4
	s_addc_u32 s1, s1, s5
	v_mad_u64_u32 v[11:12], null, v7, s12, 0
	v_lshlrev_b64 v[9:10], 2, v[9:10]
	v_add3_u32 v12, v12, v8, v3
	v_add_co_u32 v14, vcc_lo, s0, v9
	v_add_co_ci_u32_e64 v15, null, s1, v10, vcc_lo
	v_lshlrev_b64 v[11:12], 2, v[11:12]
	v_add_co_u32 v9, vcc_lo, v14, v5
	v_add_co_ci_u32_e64 v10, null, v15, v6, vcc_lo
	s_lshl_b64 s[0:1], s[2:3], 6
	v_add_co_u32 v16, vcc_lo, s6, v11
	global_load_dword v13, v[9:10], off
	v_add_co_ci_u32_e64 v17, null, s7, v12, vcc_lo
	s_waitcnt vmcnt(0)
	v_mad_u64_u32 v[11:12], null, v13, s9, v[4:5]
	v_add_co_u32 v12, vcc_lo, v16, v5
	v_add_co_ci_u32_e64 v13, null, v17, v6, vcc_lo
	global_store_dword v[12:13], v11, off
	global_load_dword v9, v[9:10], off offset:64
	v_add_co_u32 v11, vcc_lo, v14, s0
	v_add_co_ci_u32_e64 v14, null, s1, v15, vcc_lo
	s_lshl_b64 s[0:1], s[12:13], 6
	s_waitcnt vmcnt(0)
	v_mad_u64_u32 v[9:10], null, v9, s9, v[2:3]
	v_add_co_u32 v10, vcc_lo, v11, v5
	v_add_co_ci_u32_e64 v11, null, v14, v6, vcc_lo
	v_add_co_u32 v14, vcc_lo, v16, s0
	global_store_dword v[12:13], v9, off offset:64
	global_load_dword v9, v[10:11], off
	v_add_co_ci_u32_e64 v15, null, s1, v17, vcc_lo
	s_waitcnt vmcnt(0)
	v_mad_u64_u32 v[12:13], null, v9, s9, v[1:2]
	v_add_co_u32 v13, vcc_lo, v14, v5
	v_add_co_ci_u32_e64 v14, null, v15, v6, vcc_lo
	global_store_dword v[13:14], v12, off
	global_load_dword v9, v[10:11], off offset:64
	s_waitcnt vmcnt(0)
	v_mad_u64_u32 v[9:10], null, v9, s9, v[0:1]
	global_store_dword v[13:14], v9, off offset:64
	s_andn2_b32 vcc_lo, exec_lo, s10
	s_cbranch_vccnz .LBB484_6
.LBB484_5:
	v_mad_u64_u32 v[9:10], null, v7, s12, 0
	s_lshl_b64 s[0:1], s[12:13], 6
	v_add3_u32 v10, v10, v8, v3
	v_lshlrev_b64 v[7:8], 2, v[9:10]
	v_add_co_u32 v3, vcc_lo, s6, v7
	v_add_co_ci_u32_e64 v8, null, s7, v8, vcc_lo
	v_add_co_u32 v9, vcc_lo, v3, s0
	v_add_co_ci_u32_e64 v10, null, s1, v8, vcc_lo
	;; [unrolled: 2-line block ×4, first 2 shown]
	global_store_dword v[7:8], v4, off
	global_store_dword v[7:8], v2, off offset:64
	global_store_dword v[5:6], v1, off
	global_store_dword v[5:6], v0, off offset:64
.LBB484_6:
	s_endpgm
.LBB484_7:
	s_branch .LBB484_5
	.section	.rodata,"a",@progbits
	.p2align	6, 0x0
	.amdhsa_kernel _ZN12_GLOBAL__N_127rocblas_gemm_batched_kernelIiLi16ELi16ELi32ELi32ELi8ELi32ELi8ELi8ELi32ELc78ELc84EKaKiiEEvlllT_PT11_llS5_llS3_PT12_llPT13_lli
		.amdhsa_group_segment_fixed_size 2048
		.amdhsa_private_segment_fixed_size 0
		.amdhsa_kernarg_size 140
		.amdhsa_user_sgpr_count 6
		.amdhsa_user_sgpr_private_segment_buffer 1
		.amdhsa_user_sgpr_dispatch_ptr 0
		.amdhsa_user_sgpr_queue_ptr 0
		.amdhsa_user_sgpr_kernarg_segment_ptr 1
		.amdhsa_user_sgpr_dispatch_id 0
		.amdhsa_user_sgpr_flat_scratch_init 0
		.amdhsa_user_sgpr_private_segment_size 0
		.amdhsa_wavefront_size32 1
		.amdhsa_uses_dynamic_stack 0
		.amdhsa_system_sgpr_private_segment_wavefront_offset 0
		.amdhsa_system_sgpr_workgroup_id_x 1
		.amdhsa_system_sgpr_workgroup_id_y 1
		.amdhsa_system_sgpr_workgroup_id_z 1
		.amdhsa_system_sgpr_workgroup_info 0
		.amdhsa_system_vgpr_workitem_id 1
		.amdhsa_next_free_vgpr 47
		.amdhsa_next_free_sgpr 25
		.amdhsa_reserve_vcc 1
		.amdhsa_reserve_flat_scratch 0
		.amdhsa_float_round_mode_32 0
		.amdhsa_float_round_mode_16_64 0
		.amdhsa_float_denorm_mode_32 3
		.amdhsa_float_denorm_mode_16_64 3
		.amdhsa_dx10_clamp 1
		.amdhsa_ieee_mode 1
		.amdhsa_fp16_overflow 0
		.amdhsa_workgroup_processor_mode 1
		.amdhsa_memory_ordered 1
		.amdhsa_forward_progress 1
		.amdhsa_shared_vgpr_count 0
		.amdhsa_exception_fp_ieee_invalid_op 0
		.amdhsa_exception_fp_denorm_src 0
		.amdhsa_exception_fp_ieee_div_zero 0
		.amdhsa_exception_fp_ieee_overflow 0
		.amdhsa_exception_fp_ieee_underflow 0
		.amdhsa_exception_fp_ieee_inexact 0
		.amdhsa_exception_int_div_zero 0
	.end_amdhsa_kernel
	.section	.text._ZN12_GLOBAL__N_127rocblas_gemm_batched_kernelIiLi16ELi16ELi32ELi32ELi8ELi32ELi8ELi8ELi32ELc78ELc84EKaKiiEEvlllT_PT11_llS5_llS3_PT12_llPT13_lli,"axG",@progbits,_ZN12_GLOBAL__N_127rocblas_gemm_batched_kernelIiLi16ELi16ELi32ELi32ELi8ELi32ELi8ELi8ELi32ELc78ELc84EKaKiiEEvlllT_PT11_llS5_llS3_PT12_llPT13_lli,comdat
.Lfunc_end484:
	.size	_ZN12_GLOBAL__N_127rocblas_gemm_batched_kernelIiLi16ELi16ELi32ELi32ELi8ELi32ELi8ELi8ELi32ELc78ELc84EKaKiiEEvlllT_PT11_llS5_llS3_PT12_llPT13_lli, .Lfunc_end484-_ZN12_GLOBAL__N_127rocblas_gemm_batched_kernelIiLi16ELi16ELi32ELi32ELi8ELi32ELi8ELi8ELi32ELc78ELc84EKaKiiEEvlllT_PT11_llS5_llS3_PT12_llPT13_lli
                                        ; -- End function
	.set _ZN12_GLOBAL__N_127rocblas_gemm_batched_kernelIiLi16ELi16ELi32ELi32ELi8ELi32ELi8ELi8ELi32ELc78ELc84EKaKiiEEvlllT_PT11_llS5_llS3_PT12_llPT13_lli.num_vgpr, 47
	.set _ZN12_GLOBAL__N_127rocblas_gemm_batched_kernelIiLi16ELi16ELi32ELi32ELi8ELi32ELi8ELi8ELi32ELc78ELc84EKaKiiEEvlllT_PT11_llS5_llS3_PT12_llPT13_lli.num_agpr, 0
	.set _ZN12_GLOBAL__N_127rocblas_gemm_batched_kernelIiLi16ELi16ELi32ELi32ELi8ELi32ELi8ELi8ELi32ELc78ELc84EKaKiiEEvlllT_PT11_llS5_llS3_PT12_llPT13_lli.numbered_sgpr, 25
	.set _ZN12_GLOBAL__N_127rocblas_gemm_batched_kernelIiLi16ELi16ELi32ELi32ELi8ELi32ELi8ELi8ELi32ELc78ELc84EKaKiiEEvlllT_PT11_llS5_llS3_PT12_llPT13_lli.num_named_barrier, 0
	.set _ZN12_GLOBAL__N_127rocblas_gemm_batched_kernelIiLi16ELi16ELi32ELi32ELi8ELi32ELi8ELi8ELi32ELc78ELc84EKaKiiEEvlllT_PT11_llS5_llS3_PT12_llPT13_lli.private_seg_size, 0
	.set _ZN12_GLOBAL__N_127rocblas_gemm_batched_kernelIiLi16ELi16ELi32ELi32ELi8ELi32ELi8ELi8ELi32ELc78ELc84EKaKiiEEvlllT_PT11_llS5_llS3_PT12_llPT13_lli.uses_vcc, 1
	.set _ZN12_GLOBAL__N_127rocblas_gemm_batched_kernelIiLi16ELi16ELi32ELi32ELi8ELi32ELi8ELi8ELi32ELc78ELc84EKaKiiEEvlllT_PT11_llS5_llS3_PT12_llPT13_lli.uses_flat_scratch, 0
	.set _ZN12_GLOBAL__N_127rocblas_gemm_batched_kernelIiLi16ELi16ELi32ELi32ELi8ELi32ELi8ELi8ELi32ELc78ELc84EKaKiiEEvlllT_PT11_llS5_llS3_PT12_llPT13_lli.has_dyn_sized_stack, 0
	.set _ZN12_GLOBAL__N_127rocblas_gemm_batched_kernelIiLi16ELi16ELi32ELi32ELi8ELi32ELi8ELi8ELi32ELc78ELc84EKaKiiEEvlllT_PT11_llS5_llS3_PT12_llPT13_lli.has_recursion, 0
	.set _ZN12_GLOBAL__N_127rocblas_gemm_batched_kernelIiLi16ELi16ELi32ELi32ELi8ELi32ELi8ELi8ELi32ELc78ELc84EKaKiiEEvlllT_PT11_llS5_llS3_PT12_llPT13_lli.has_indirect_call, 0
	.section	.AMDGPU.csdata,"",@progbits
; Kernel info:
; codeLenInByte = 1576
; TotalNumSgprs: 27
; NumVgprs: 47
; ScratchSize: 0
; MemoryBound: 0
; FloatMode: 240
; IeeeMode: 1
; LDSByteSize: 2048 bytes/workgroup (compile time only)
; SGPRBlocks: 0
; VGPRBlocks: 5
; NumSGPRsForWavesPerEU: 27
; NumVGPRsForWavesPerEU: 47
; Occupancy: 16
; WaveLimiterHint : 0
; COMPUTE_PGM_RSRC2:SCRATCH_EN: 0
; COMPUTE_PGM_RSRC2:USER_SGPR: 6
; COMPUTE_PGM_RSRC2:TRAP_HANDLER: 0
; COMPUTE_PGM_RSRC2:TGID_X_EN: 1
; COMPUTE_PGM_RSRC2:TGID_Y_EN: 1
; COMPUTE_PGM_RSRC2:TGID_Z_EN: 1
; COMPUTE_PGM_RSRC2:TIDIG_COMP_CNT: 1
	.section	.text._ZN12_GLOBAL__N_127rocblas_gemm_batched_kernelIiLi16ELi16ELi32ELi32ELi8ELi32ELi8ELi8ELi32ELc84ELc84EKaKiiEEvlllT_PT11_llS5_llS3_PT12_llPT13_lli,"axG",@progbits,_ZN12_GLOBAL__N_127rocblas_gemm_batched_kernelIiLi16ELi16ELi32ELi32ELi8ELi32ELi8ELi8ELi32ELc84ELc84EKaKiiEEvlllT_PT11_llS5_llS3_PT12_llPT13_lli,comdat
	.globl	_ZN12_GLOBAL__N_127rocblas_gemm_batched_kernelIiLi16ELi16ELi32ELi32ELi8ELi32ELi8ELi8ELi32ELc84ELc84EKaKiiEEvlllT_PT11_llS5_llS3_PT12_llPT13_lli ; -- Begin function _ZN12_GLOBAL__N_127rocblas_gemm_batched_kernelIiLi16ELi16ELi32ELi32ELi8ELi32ELi8ELi8ELi32ELc84ELc84EKaKiiEEvlllT_PT11_llS5_llS3_PT12_llPT13_lli
	.p2align	8
	.type	_ZN12_GLOBAL__N_127rocblas_gemm_batched_kernelIiLi16ELi16ELi32ELi32ELi8ELi32ELi8ELi8ELi32ELc84ELc84EKaKiiEEvlllT_PT11_llS5_llS3_PT12_llPT13_lli,@function
_ZN12_GLOBAL__N_127rocblas_gemm_batched_kernelIiLi16ELi16ELi32ELi32ELi8ELi32ELi8ELi8ELi32ELc84ELc84EKaKiiEEvlllT_PT11_llS5_llS3_PT12_llPT13_lli: ; @_ZN12_GLOBAL__N_127rocblas_gemm_batched_kernelIiLi16ELi16ELi32ELi32ELi8ELi32ELi8ELi8ELi32ELc84ELc84EKaKiiEEvlllT_PT11_llS5_llS3_PT12_llPT13_lli
; %bb.0:
	s_load_dwordx2 s[22:23], s[4:5], 0x10
	s_mov_b32 s0, s7
	v_mov_b32_e32 v2, 0
	v_mov_b32_e32 v7, 0
	;; [unrolled: 1-line block ×4, first 2 shown]
	s_ashr_i32 s7, s6, 31
	s_ashr_i32 s1, s0, 31
	s_lshl_b64 s[10:11], s[6:7], 5
	s_lshl_b64 s[20:21], s[0:1], 5
	s_waitcnt lgkmcnt(0)
	v_cmp_lt_i64_e64 s2, s[22:23], 1
	s_and_b32 vcc_lo, exec_lo, s2
	s_cbranch_vccnz .LBB485_3
; %bb.1:
	s_load_dwordx4 s[0:3], s[4:5], 0x40
	v_lshl_add_u32 v6, v1, 4, v0
	v_mov_b32_e32 v3, 0
	s_load_dwordx8 s[12:19], s[4:5], 0x20
	v_and_b32_e32 v16, 7, v0
	v_lshlrev_b32_e32 v8, 2, v0
	v_lshrrev_b32_e32 v2, 3, v6
	v_and_b32_e32 v10, 31, v6
	v_lshrrev_b32_e32 v12, 5, v6
	v_mov_b32_e32 v6, v3
	v_lshlrev_b32_e32 v11, 2, v16
	v_mov_b32_e32 v13, v3
	v_lshlrev_b32_e32 v17, 2, v10
	v_lshl_add_u32 v9, v1, 5, 0x400
	v_mov_b32_e32 v7, v3
	s_waitcnt lgkmcnt(0)
	v_mad_u64_u32 v[4:5], null, s2, s8, v[2:3]
	v_lshl_or_b32 v2, v2, 5, v11
	s_mul_i32 s6, s17, s8
	s_mul_hi_u32 s7, s16, s8
	s_mul_i32 s9, s16, s8
	s_add_i32 s7, s7, s6
	v_add_nc_u32_e32 v11, 0x400, v2
	v_mad_u64_u32 v[14:15], null, s3, s8, v[5:6]
	v_add_co_u32 v15, s2, s10, v10
	v_add_co_ci_u32_e64 v18, null, s11, 0, s2
	v_lshl_or_b32 v10, v12, 7, v17
	v_mad_u64_u32 v[12:13], null, s14, v15, v[12:13]
	v_mov_b32_e32 v5, v14
	v_mul_lo_u32 v14, s14, v18
	v_mul_lo_u32 v15, s15, v15
	s_lshl_b64 s[2:3], s[0:1], 3
	v_mad_u64_u32 v[4:5], null, s0, v16, v[4:5]
	s_add_u32 s0, s18, s20
	s_addc_u32 s6, s19, s21
	s_add_u32 s9, s12, s9
	s_addc_u32 s7, s13, s7
	v_add_co_u32 v12, vcc_lo, s9, v12
	v_mov_b32_e32 v2, v5
	v_add3_u32 v5, v15, v13, v14
	v_mad_u64_u32 v[14:15], null, s1, v16, v[2:3]
	v_add_co_ci_u32_e64 v13, null, s7, v5, vcc_lo
	v_add_co_u32 v4, vcc_lo, s0, v4
	v_mov_b32_e32 v2, v3
	s_mov_b64 s[0:1], 0
	v_add_co_ci_u32_e64 v5, null, s6, v14, vcc_lo
.LBB485_2:                              ; =>This Inner Loop Header: Depth=1
	v_add_co_u32 v14, vcc_lo, v12, s0
	v_add_co_ci_u32_e64 v15, null, s1, v13, vcc_lo
	s_add_u32 s0, s0, 8
	s_addc_u32 s1, s1, 0
	global_load_sbyte v16, v[4:5], off
	global_load_sbyte v14, v[14:15], off
	v_cmp_lt_i64_e64 s6, s[0:1], s[22:23]
	v_add_co_u32 v4, vcc_lo, v4, s2
	v_add_co_ci_u32_e64 v5, null, s3, v5, vcc_lo
	s_waitcnt vmcnt(1)
	ds_write_b32 v11, v16
	s_waitcnt vmcnt(0)
	ds_write_b32 v10, v14
	s_waitcnt lgkmcnt(0)
	s_barrier
	buffer_gl0_inv
	ds_read_b128 v[14:17], v9
	ds_read2_b32 v[30:31], v8 offset1:16
	ds_read_b128 v[18:21], v9 offset:512
	ds_read2_b32 v[32:33], v8 offset0:32 offset1:48
	ds_read2_b32 v[34:35], v8 offset0:64 offset1:80
	;; [unrolled: 1-line block ×3, first 2 shown]
	ds_read_b128 v[22:25], v9 offset:16
	ds_read2_b32 v[38:39], v8 offset0:128 offset1:144
	ds_read_b128 v[26:29], v9 offset:528
	ds_read2_b32 v[40:41], v8 offset0:160 offset1:176
	ds_read2_b32 v[42:43], v8 offset0:192 offset1:208
	;; [unrolled: 1-line block ×3, first 2 shown]
	s_and_b32 vcc_lo, exec_lo, s6
	s_waitcnt lgkmcnt(0)
	s_barrier
	buffer_gl0_inv
	v_mul_lo_u32 v46, v14, v30
	v_mul_lo_u32 v14, v14, v31
	;; [unrolled: 1-line block ×16, first 2 shown]
	v_add3_u32 v2, v2, v46, v31
	v_add3_u32 v7, v7, v14, v15
	v_add3_u32 v6, v6, v30, v32
	v_add3_u32 v3, v3, v18, v19
	v_mul_lo_u32 v37, v22, v38
	v_mul_lo_u32 v22, v22, v39
	;; [unrolled: 1-line block ×8, first 2 shown]
	v_add3_u32 v2, v2, v33, v35
	v_add3_u32 v7, v7, v16, v17
	;; [unrolled: 1-line block ×4, first 2 shown]
	v_mul_lo_u32 v41, v24, v42
	v_mul_lo_u32 v24, v24, v43
	;; [unrolled: 1-line block ×8, first 2 shown]
	v_add3_u32 v2, v2, v37, v39
	v_add3_u32 v7, v7, v22, v23
	v_add3_u32 v6, v6, v38, v40
	v_add3_u32 v3, v3, v26, v27
	v_add3_u32 v2, v2, v41, v43
	v_add3_u32 v7, v7, v24, v25
	v_add3_u32 v6, v6, v42, v14
	v_add3_u32 v3, v3, v28, v15
	s_cbranch_vccnz .LBB485_2
.LBB485_3:
	s_clause 0x3
	s_load_dwordx4 s[12:15], s[4:5], 0x78
	s_load_dword s16, s[4:5], 0x18
	s_load_dword s9, s[4:5], 0x50
	s_load_dwordx8 s[0:7], s[4:5], 0x58
	v_add_co_u32 v8, s17, s20, v1
	v_add_co_ci_u32_e64 v9, null, s21, 0, s17
	v_add_co_u32 v10, s10, s10, v0
	v_add_co_ci_u32_e64 v11, null, s11, 0, s10
	s_waitcnt lgkmcnt(0)
	s_mul_i32 s11, s15, s8
	s_mul_hi_u32 s15, s14, s8
	s_mul_i32 s10, s14, s8
	v_mul_lo_u32 v4, v2, s16
	v_mul_lo_u32 v2, v7, s16
	;; [unrolled: 1-line block ×4, first 2 shown]
	s_add_i32 s11, s15, s11
	v_mul_lo_u32 v3, v9, s12
	v_mul_lo_u32 v7, v8, s13
	s_lshl_b64 s[10:11], s[10:11], 2
	v_lshlrev_b64 v[5:6], 2, v[10:11]
	s_add_u32 s6, s6, s10
	s_addc_u32 s7, s7, s11
	s_cmp_eq_u32 s9, 0
	s_mov_b32 s10, 0
	s_cbranch_scc1 .LBB485_7
; %bb.4:
	v_mul_lo_u32 v11, v9, s2
	v_mul_lo_u32 v12, v8, s3
	v_mad_u64_u32 v[9:10], null, v8, s2, 0
	s_mul_i32 s5, s5, s8
	s_mul_hi_u32 s11, s4, s8
	s_mul_i32 s4, s4, s8
	s_add_i32 s5, s11, s5
	s_lshl_b64 s[4:5], s[4:5], 2
	v_add3_u32 v10, v10, v12, v11
	s_add_u32 s0, s0, s4
	s_addc_u32 s1, s1, s5
	v_mad_u64_u32 v[11:12], null, v8, s12, 0
	v_lshlrev_b64 v[9:10], 2, v[9:10]
	v_add3_u32 v12, v12, v7, v3
	v_add_co_u32 v14, vcc_lo, s0, v9
	v_add_co_ci_u32_e64 v15, null, s1, v10, vcc_lo
	v_lshlrev_b64 v[11:12], 2, v[11:12]
	v_add_co_u32 v9, vcc_lo, v14, v5
	v_add_co_ci_u32_e64 v10, null, v15, v6, vcc_lo
	s_lshl_b64 s[0:1], s[2:3], 6
	v_add_co_u32 v16, vcc_lo, s6, v11
	global_load_dword v13, v[9:10], off
	v_add_co_ci_u32_e64 v17, null, s7, v12, vcc_lo
	s_waitcnt vmcnt(0)
	v_mad_u64_u32 v[11:12], null, v13, s9, v[4:5]
	v_add_co_u32 v12, vcc_lo, v16, v5
	v_add_co_ci_u32_e64 v13, null, v17, v6, vcc_lo
	global_store_dword v[12:13], v11, off
	global_load_dword v9, v[9:10], off offset:64
	v_add_co_u32 v11, vcc_lo, v14, s0
	v_add_co_ci_u32_e64 v14, null, s1, v15, vcc_lo
	s_lshl_b64 s[0:1], s[12:13], 6
	s_waitcnt vmcnt(0)
	v_mad_u64_u32 v[9:10], null, v9, s9, v[2:3]
	v_add_co_u32 v10, vcc_lo, v11, v5
	v_add_co_ci_u32_e64 v11, null, v14, v6, vcc_lo
	v_add_co_u32 v14, vcc_lo, v16, s0
	global_store_dword v[12:13], v9, off offset:64
	global_load_dword v9, v[10:11], off
	v_add_co_ci_u32_e64 v15, null, s1, v17, vcc_lo
	s_waitcnt vmcnt(0)
	v_mad_u64_u32 v[12:13], null, v9, s9, v[1:2]
	v_add_co_u32 v13, vcc_lo, v14, v5
	v_add_co_ci_u32_e64 v14, null, v15, v6, vcc_lo
	global_store_dword v[13:14], v12, off
	global_load_dword v9, v[10:11], off offset:64
	s_waitcnt vmcnt(0)
	v_mad_u64_u32 v[9:10], null, v9, s9, v[0:1]
	global_store_dword v[13:14], v9, off offset:64
	s_andn2_b32 vcc_lo, exec_lo, s10
	s_cbranch_vccnz .LBB485_6
.LBB485_5:
	v_mad_u64_u32 v[8:9], null, v8, s12, 0
	s_lshl_b64 s[0:1], s[12:13], 6
	v_add3_u32 v9, v9, v7, v3
	v_lshlrev_b64 v[7:8], 2, v[8:9]
	v_add_co_u32 v3, vcc_lo, s6, v7
	v_add_co_ci_u32_e64 v8, null, s7, v8, vcc_lo
	v_add_co_u32 v9, vcc_lo, v3, s0
	v_add_co_ci_u32_e64 v10, null, s1, v8, vcc_lo
	;; [unrolled: 2-line block ×4, first 2 shown]
	global_store_dword v[7:8], v4, off
	global_store_dword v[7:8], v2, off offset:64
	global_store_dword v[5:6], v1, off
	global_store_dword v[5:6], v0, off offset:64
.LBB485_6:
	s_endpgm
.LBB485_7:
	s_branch .LBB485_5
	.section	.rodata,"a",@progbits
	.p2align	6, 0x0
	.amdhsa_kernel _ZN12_GLOBAL__N_127rocblas_gemm_batched_kernelIiLi16ELi16ELi32ELi32ELi8ELi32ELi8ELi8ELi32ELc84ELc84EKaKiiEEvlllT_PT11_llS5_llS3_PT12_llPT13_lli
		.amdhsa_group_segment_fixed_size 2048
		.amdhsa_private_segment_fixed_size 0
		.amdhsa_kernarg_size 140
		.amdhsa_user_sgpr_count 6
		.amdhsa_user_sgpr_private_segment_buffer 1
		.amdhsa_user_sgpr_dispatch_ptr 0
		.amdhsa_user_sgpr_queue_ptr 0
		.amdhsa_user_sgpr_kernarg_segment_ptr 1
		.amdhsa_user_sgpr_dispatch_id 0
		.amdhsa_user_sgpr_flat_scratch_init 0
		.amdhsa_user_sgpr_private_segment_size 0
		.amdhsa_wavefront_size32 1
		.amdhsa_uses_dynamic_stack 0
		.amdhsa_system_sgpr_private_segment_wavefront_offset 0
		.amdhsa_system_sgpr_workgroup_id_x 1
		.amdhsa_system_sgpr_workgroup_id_y 1
		.amdhsa_system_sgpr_workgroup_id_z 1
		.amdhsa_system_sgpr_workgroup_info 0
		.amdhsa_system_vgpr_workitem_id 1
		.amdhsa_next_free_vgpr 47
		.amdhsa_next_free_sgpr 24
		.amdhsa_reserve_vcc 1
		.amdhsa_reserve_flat_scratch 0
		.amdhsa_float_round_mode_32 0
		.amdhsa_float_round_mode_16_64 0
		.amdhsa_float_denorm_mode_32 3
		.amdhsa_float_denorm_mode_16_64 3
		.amdhsa_dx10_clamp 1
		.amdhsa_ieee_mode 1
		.amdhsa_fp16_overflow 0
		.amdhsa_workgroup_processor_mode 1
		.amdhsa_memory_ordered 1
		.amdhsa_forward_progress 1
		.amdhsa_shared_vgpr_count 0
		.amdhsa_exception_fp_ieee_invalid_op 0
		.amdhsa_exception_fp_denorm_src 0
		.amdhsa_exception_fp_ieee_div_zero 0
		.amdhsa_exception_fp_ieee_overflow 0
		.amdhsa_exception_fp_ieee_underflow 0
		.amdhsa_exception_fp_ieee_inexact 0
		.amdhsa_exception_int_div_zero 0
	.end_amdhsa_kernel
	.section	.text._ZN12_GLOBAL__N_127rocblas_gemm_batched_kernelIiLi16ELi16ELi32ELi32ELi8ELi32ELi8ELi8ELi32ELc84ELc84EKaKiiEEvlllT_PT11_llS5_llS3_PT12_llPT13_lli,"axG",@progbits,_ZN12_GLOBAL__N_127rocblas_gemm_batched_kernelIiLi16ELi16ELi32ELi32ELi8ELi32ELi8ELi8ELi32ELc84ELc84EKaKiiEEvlllT_PT11_llS5_llS3_PT12_llPT13_lli,comdat
.Lfunc_end485:
	.size	_ZN12_GLOBAL__N_127rocblas_gemm_batched_kernelIiLi16ELi16ELi32ELi32ELi8ELi32ELi8ELi8ELi32ELc84ELc84EKaKiiEEvlllT_PT11_llS5_llS3_PT12_llPT13_lli, .Lfunc_end485-_ZN12_GLOBAL__N_127rocblas_gemm_batched_kernelIiLi16ELi16ELi32ELi32ELi8ELi32ELi8ELi8ELi32ELc84ELc84EKaKiiEEvlllT_PT11_llS5_llS3_PT12_llPT13_lli
                                        ; -- End function
	.set _ZN12_GLOBAL__N_127rocblas_gemm_batched_kernelIiLi16ELi16ELi32ELi32ELi8ELi32ELi8ELi8ELi32ELc84ELc84EKaKiiEEvlllT_PT11_llS5_llS3_PT12_llPT13_lli.num_vgpr, 47
	.set _ZN12_GLOBAL__N_127rocblas_gemm_batched_kernelIiLi16ELi16ELi32ELi32ELi8ELi32ELi8ELi8ELi32ELc84ELc84EKaKiiEEvlllT_PT11_llS5_llS3_PT12_llPT13_lli.num_agpr, 0
	.set _ZN12_GLOBAL__N_127rocblas_gemm_batched_kernelIiLi16ELi16ELi32ELi32ELi8ELi32ELi8ELi8ELi32ELc84ELc84EKaKiiEEvlllT_PT11_llS5_llS3_PT12_llPT13_lli.numbered_sgpr, 24
	.set _ZN12_GLOBAL__N_127rocblas_gemm_batched_kernelIiLi16ELi16ELi32ELi32ELi8ELi32ELi8ELi8ELi32ELc84ELc84EKaKiiEEvlllT_PT11_llS5_llS3_PT12_llPT13_lli.num_named_barrier, 0
	.set _ZN12_GLOBAL__N_127rocblas_gemm_batched_kernelIiLi16ELi16ELi32ELi32ELi8ELi32ELi8ELi8ELi32ELc84ELc84EKaKiiEEvlllT_PT11_llS5_llS3_PT12_llPT13_lli.private_seg_size, 0
	.set _ZN12_GLOBAL__N_127rocblas_gemm_batched_kernelIiLi16ELi16ELi32ELi32ELi8ELi32ELi8ELi8ELi32ELc84ELc84EKaKiiEEvlllT_PT11_llS5_llS3_PT12_llPT13_lli.uses_vcc, 1
	.set _ZN12_GLOBAL__N_127rocblas_gemm_batched_kernelIiLi16ELi16ELi32ELi32ELi8ELi32ELi8ELi8ELi32ELc84ELc84EKaKiiEEvlllT_PT11_llS5_llS3_PT12_llPT13_lli.uses_flat_scratch, 0
	.set _ZN12_GLOBAL__N_127rocblas_gemm_batched_kernelIiLi16ELi16ELi32ELi32ELi8ELi32ELi8ELi8ELi32ELc84ELc84EKaKiiEEvlllT_PT11_llS5_llS3_PT12_llPT13_lli.has_dyn_sized_stack, 0
	.set _ZN12_GLOBAL__N_127rocblas_gemm_batched_kernelIiLi16ELi16ELi32ELi32ELi8ELi32ELi8ELi8ELi32ELc84ELc84EKaKiiEEvlllT_PT11_llS5_llS3_PT12_llPT13_lli.has_recursion, 0
	.set _ZN12_GLOBAL__N_127rocblas_gemm_batched_kernelIiLi16ELi16ELi32ELi32ELi8ELi32ELi8ELi8ELi32ELc84ELc84EKaKiiEEvlllT_PT11_llS5_llS3_PT12_llPT13_lli.has_indirect_call, 0
	.section	.AMDGPU.csdata,"",@progbits
; Kernel info:
; codeLenInByte = 1592
; TotalNumSgprs: 26
; NumVgprs: 47
; ScratchSize: 0
; MemoryBound: 0
; FloatMode: 240
; IeeeMode: 1
; LDSByteSize: 2048 bytes/workgroup (compile time only)
; SGPRBlocks: 0
; VGPRBlocks: 5
; NumSGPRsForWavesPerEU: 26
; NumVGPRsForWavesPerEU: 47
; Occupancy: 16
; WaveLimiterHint : 0
; COMPUTE_PGM_RSRC2:SCRATCH_EN: 0
; COMPUTE_PGM_RSRC2:USER_SGPR: 6
; COMPUTE_PGM_RSRC2:TRAP_HANDLER: 0
; COMPUTE_PGM_RSRC2:TGID_X_EN: 1
; COMPUTE_PGM_RSRC2:TGID_Y_EN: 1
; COMPUTE_PGM_RSRC2:TGID_Z_EN: 1
; COMPUTE_PGM_RSRC2:TIDIG_COMP_CNT: 1
	.section	.text._ZN12_GLOBAL__N_127rocblas_gemm_batched_kernelIiLi16ELi16ELi32ELi32ELi8ELi32ELi8ELi8ELi32ELc67ELc67EKaKiiEEvlllT_PT11_llS5_llS3_PT12_llPT13_lli,"axG",@progbits,_ZN12_GLOBAL__N_127rocblas_gemm_batched_kernelIiLi16ELi16ELi32ELi32ELi8ELi32ELi8ELi8ELi32ELc67ELc67EKaKiiEEvlllT_PT11_llS5_llS3_PT12_llPT13_lli,comdat
	.globl	_ZN12_GLOBAL__N_127rocblas_gemm_batched_kernelIiLi16ELi16ELi32ELi32ELi8ELi32ELi8ELi8ELi32ELc67ELc67EKaKiiEEvlllT_PT11_llS5_llS3_PT12_llPT13_lli ; -- Begin function _ZN12_GLOBAL__N_127rocblas_gemm_batched_kernelIiLi16ELi16ELi32ELi32ELi8ELi32ELi8ELi8ELi32ELc67ELc67EKaKiiEEvlllT_PT11_llS5_llS3_PT12_llPT13_lli
	.p2align	8
	.type	_ZN12_GLOBAL__N_127rocblas_gemm_batched_kernelIiLi16ELi16ELi32ELi32ELi8ELi32ELi8ELi8ELi32ELc67ELc67EKaKiiEEvlllT_PT11_llS5_llS3_PT12_llPT13_lli,@function
_ZN12_GLOBAL__N_127rocblas_gemm_batched_kernelIiLi16ELi16ELi32ELi32ELi8ELi32ELi8ELi8ELi32ELc67ELc67EKaKiiEEvlllT_PT11_llS5_llS3_PT12_llPT13_lli: ; @_ZN12_GLOBAL__N_127rocblas_gemm_batched_kernelIiLi16ELi16ELi32ELi32ELi8ELi32ELi8ELi8ELi32ELc67ELc67EKaKiiEEvlllT_PT11_llS5_llS3_PT12_llPT13_lli
; %bb.0:
	s_load_dwordx2 s[22:23], s[4:5], 0x10
	s_mov_b32 s0, s7
	v_mov_b32_e32 v2, 0
	v_mov_b32_e32 v7, 0
	v_mov_b32_e32 v6, 0
	v_mov_b32_e32 v3, 0
	s_ashr_i32 s7, s6, 31
	s_ashr_i32 s1, s0, 31
	s_lshl_b64 s[10:11], s[6:7], 5
	s_lshl_b64 s[20:21], s[0:1], 5
	s_waitcnt lgkmcnt(0)
	v_cmp_lt_i64_e64 s2, s[22:23], 1
	s_and_b32 vcc_lo, exec_lo, s2
	s_cbranch_vccnz .LBB486_3
; %bb.1:
	s_load_dwordx4 s[0:3], s[4:5], 0x40
	v_lshl_add_u32 v6, v1, 4, v0
	v_mov_b32_e32 v3, 0
	s_load_dwordx8 s[12:19], s[4:5], 0x20
	v_and_b32_e32 v16, 7, v0
	v_lshlrev_b32_e32 v8, 2, v0
	v_lshrrev_b32_e32 v2, 3, v6
	v_and_b32_e32 v10, 31, v6
	v_lshrrev_b32_e32 v12, 5, v6
	v_mov_b32_e32 v6, v3
	v_lshlrev_b32_e32 v11, 2, v16
	v_mov_b32_e32 v13, v3
	v_lshlrev_b32_e32 v17, 2, v10
	v_lshl_add_u32 v9, v1, 5, 0x400
	v_mov_b32_e32 v7, v3
	s_waitcnt lgkmcnt(0)
	v_mad_u64_u32 v[4:5], null, s2, s8, v[2:3]
	v_lshl_or_b32 v2, v2, 5, v11
	s_mul_i32 s6, s17, s8
	s_mul_hi_u32 s7, s16, s8
	s_mul_i32 s9, s16, s8
	s_add_i32 s7, s7, s6
	v_add_nc_u32_e32 v11, 0x400, v2
	v_mad_u64_u32 v[14:15], null, s3, s8, v[5:6]
	v_add_co_u32 v15, s2, s10, v10
	v_add_co_ci_u32_e64 v18, null, s11, 0, s2
	v_lshl_or_b32 v10, v12, 7, v17
	v_mad_u64_u32 v[12:13], null, s14, v15, v[12:13]
	v_mov_b32_e32 v5, v14
	v_mul_lo_u32 v14, s14, v18
	v_mul_lo_u32 v15, s15, v15
	s_lshl_b64 s[2:3], s[0:1], 3
	v_mad_u64_u32 v[4:5], null, s0, v16, v[4:5]
	s_add_u32 s0, s18, s20
	s_addc_u32 s6, s19, s21
	s_add_u32 s9, s12, s9
	s_addc_u32 s7, s13, s7
	v_add_co_u32 v12, vcc_lo, s9, v12
	v_mov_b32_e32 v2, v5
	v_add3_u32 v5, v15, v13, v14
	v_mad_u64_u32 v[14:15], null, s1, v16, v[2:3]
	v_add_co_ci_u32_e64 v13, null, s7, v5, vcc_lo
	v_add_co_u32 v4, vcc_lo, s0, v4
	v_mov_b32_e32 v2, v3
	s_mov_b64 s[0:1], 0
	v_add_co_ci_u32_e64 v5, null, s6, v14, vcc_lo
.LBB486_2:                              ; =>This Inner Loop Header: Depth=1
	v_add_co_u32 v14, vcc_lo, v12, s0
	v_add_co_ci_u32_e64 v15, null, s1, v13, vcc_lo
	s_add_u32 s0, s0, 8
	s_addc_u32 s1, s1, 0
	global_load_sbyte v16, v[4:5], off
	global_load_sbyte v14, v[14:15], off
	v_cmp_lt_i64_e64 s6, s[0:1], s[22:23]
	v_add_co_u32 v4, vcc_lo, v4, s2
	v_add_co_ci_u32_e64 v5, null, s3, v5, vcc_lo
	s_waitcnt vmcnt(1)
	ds_write_b32 v11, v16
	s_waitcnt vmcnt(0)
	ds_write_b32 v10, v14
	s_waitcnt lgkmcnt(0)
	s_barrier
	buffer_gl0_inv
	ds_read_b128 v[14:17], v9
	ds_read2_b32 v[30:31], v8 offset1:16
	ds_read_b128 v[18:21], v9 offset:512
	ds_read2_b32 v[32:33], v8 offset0:32 offset1:48
	ds_read2_b32 v[34:35], v8 offset0:64 offset1:80
	;; [unrolled: 1-line block ×3, first 2 shown]
	ds_read_b128 v[22:25], v9 offset:16
	ds_read2_b32 v[38:39], v8 offset0:128 offset1:144
	ds_read_b128 v[26:29], v9 offset:528
	ds_read2_b32 v[40:41], v8 offset0:160 offset1:176
	ds_read2_b32 v[42:43], v8 offset0:192 offset1:208
	;; [unrolled: 1-line block ×3, first 2 shown]
	s_and_b32 vcc_lo, exec_lo, s6
	s_waitcnt lgkmcnt(0)
	s_barrier
	buffer_gl0_inv
	v_mul_lo_u32 v46, v14, v30
	v_mul_lo_u32 v14, v14, v31
	;; [unrolled: 1-line block ×16, first 2 shown]
	v_add3_u32 v2, v2, v46, v31
	v_add3_u32 v7, v7, v14, v15
	;; [unrolled: 1-line block ×4, first 2 shown]
	v_mul_lo_u32 v37, v22, v38
	v_mul_lo_u32 v22, v22, v39
	;; [unrolled: 1-line block ×8, first 2 shown]
	v_add3_u32 v2, v2, v33, v35
	v_add3_u32 v7, v7, v16, v17
	;; [unrolled: 1-line block ×4, first 2 shown]
	v_mul_lo_u32 v41, v24, v42
	v_mul_lo_u32 v24, v24, v43
	v_mul_lo_u32 v42, v28, v42
	v_mul_lo_u32 v28, v28, v43
	v_mul_lo_u32 v43, v25, v44
	v_mul_lo_u32 v25, v25, v45
	v_mul_lo_u32 v14, v29, v44
	v_mul_lo_u32 v15, v29, v45
	v_add3_u32 v2, v2, v37, v39
	v_add3_u32 v7, v7, v22, v23
	;; [unrolled: 1-line block ×8, first 2 shown]
	s_cbranch_vccnz .LBB486_2
.LBB486_3:
	s_clause 0x3
	s_load_dwordx4 s[12:15], s[4:5], 0x78
	s_load_dword s16, s[4:5], 0x18
	s_load_dword s9, s[4:5], 0x50
	s_load_dwordx8 s[0:7], s[4:5], 0x58
	v_add_co_u32 v8, s17, s20, v1
	v_add_co_ci_u32_e64 v9, null, s21, 0, s17
	v_add_co_u32 v10, s10, s10, v0
	v_add_co_ci_u32_e64 v11, null, s11, 0, s10
	s_waitcnt lgkmcnt(0)
	s_mul_i32 s11, s15, s8
	s_mul_hi_u32 s15, s14, s8
	s_mul_i32 s10, s14, s8
	v_mul_lo_u32 v4, v2, s16
	v_mul_lo_u32 v2, v7, s16
	;; [unrolled: 1-line block ×4, first 2 shown]
	s_add_i32 s11, s15, s11
	v_mul_lo_u32 v3, v9, s12
	v_mul_lo_u32 v7, v8, s13
	s_lshl_b64 s[10:11], s[10:11], 2
	v_lshlrev_b64 v[5:6], 2, v[10:11]
	s_add_u32 s6, s6, s10
	s_addc_u32 s7, s7, s11
	s_cmp_eq_u32 s9, 0
	s_mov_b32 s10, 0
	s_cbranch_scc1 .LBB486_7
; %bb.4:
	v_mul_lo_u32 v11, v9, s2
	v_mul_lo_u32 v12, v8, s3
	v_mad_u64_u32 v[9:10], null, v8, s2, 0
	s_mul_i32 s5, s5, s8
	s_mul_hi_u32 s11, s4, s8
	s_mul_i32 s4, s4, s8
	s_add_i32 s5, s11, s5
	s_lshl_b64 s[4:5], s[4:5], 2
	v_add3_u32 v10, v10, v12, v11
	s_add_u32 s0, s0, s4
	s_addc_u32 s1, s1, s5
	v_mad_u64_u32 v[11:12], null, v8, s12, 0
	v_lshlrev_b64 v[9:10], 2, v[9:10]
	v_add3_u32 v12, v12, v7, v3
	v_add_co_u32 v14, vcc_lo, s0, v9
	v_add_co_ci_u32_e64 v15, null, s1, v10, vcc_lo
	v_lshlrev_b64 v[11:12], 2, v[11:12]
	v_add_co_u32 v9, vcc_lo, v14, v5
	v_add_co_ci_u32_e64 v10, null, v15, v6, vcc_lo
	s_lshl_b64 s[0:1], s[2:3], 6
	v_add_co_u32 v16, vcc_lo, s6, v11
	global_load_dword v13, v[9:10], off
	v_add_co_ci_u32_e64 v17, null, s7, v12, vcc_lo
	s_waitcnt vmcnt(0)
	v_mad_u64_u32 v[11:12], null, v13, s9, v[4:5]
	v_add_co_u32 v12, vcc_lo, v16, v5
	v_add_co_ci_u32_e64 v13, null, v17, v6, vcc_lo
	global_store_dword v[12:13], v11, off
	global_load_dword v9, v[9:10], off offset:64
	v_add_co_u32 v11, vcc_lo, v14, s0
	v_add_co_ci_u32_e64 v14, null, s1, v15, vcc_lo
	s_lshl_b64 s[0:1], s[12:13], 6
	s_waitcnt vmcnt(0)
	v_mad_u64_u32 v[9:10], null, v9, s9, v[2:3]
	v_add_co_u32 v10, vcc_lo, v11, v5
	v_add_co_ci_u32_e64 v11, null, v14, v6, vcc_lo
	v_add_co_u32 v14, vcc_lo, v16, s0
	global_store_dword v[12:13], v9, off offset:64
	global_load_dword v9, v[10:11], off
	v_add_co_ci_u32_e64 v15, null, s1, v17, vcc_lo
	s_waitcnt vmcnt(0)
	v_mad_u64_u32 v[12:13], null, v9, s9, v[1:2]
	v_add_co_u32 v13, vcc_lo, v14, v5
	v_add_co_ci_u32_e64 v14, null, v15, v6, vcc_lo
	global_store_dword v[13:14], v12, off
	global_load_dword v9, v[10:11], off offset:64
	s_waitcnt vmcnt(0)
	v_mad_u64_u32 v[9:10], null, v9, s9, v[0:1]
	global_store_dword v[13:14], v9, off offset:64
	s_andn2_b32 vcc_lo, exec_lo, s10
	s_cbranch_vccnz .LBB486_6
.LBB486_5:
	v_mad_u64_u32 v[8:9], null, v8, s12, 0
	s_lshl_b64 s[0:1], s[12:13], 6
	v_add3_u32 v9, v9, v7, v3
	v_lshlrev_b64 v[7:8], 2, v[8:9]
	v_add_co_u32 v3, vcc_lo, s6, v7
	v_add_co_ci_u32_e64 v8, null, s7, v8, vcc_lo
	v_add_co_u32 v9, vcc_lo, v3, s0
	v_add_co_ci_u32_e64 v10, null, s1, v8, vcc_lo
	;; [unrolled: 2-line block ×4, first 2 shown]
	global_store_dword v[7:8], v4, off
	global_store_dword v[7:8], v2, off offset:64
	global_store_dword v[5:6], v1, off
	global_store_dword v[5:6], v0, off offset:64
.LBB486_6:
	s_endpgm
.LBB486_7:
	s_branch .LBB486_5
	.section	.rodata,"a",@progbits
	.p2align	6, 0x0
	.amdhsa_kernel _ZN12_GLOBAL__N_127rocblas_gemm_batched_kernelIiLi16ELi16ELi32ELi32ELi8ELi32ELi8ELi8ELi32ELc67ELc67EKaKiiEEvlllT_PT11_llS5_llS3_PT12_llPT13_lli
		.amdhsa_group_segment_fixed_size 2048
		.amdhsa_private_segment_fixed_size 0
		.amdhsa_kernarg_size 140
		.amdhsa_user_sgpr_count 6
		.amdhsa_user_sgpr_private_segment_buffer 1
		.amdhsa_user_sgpr_dispatch_ptr 0
		.amdhsa_user_sgpr_queue_ptr 0
		.amdhsa_user_sgpr_kernarg_segment_ptr 1
		.amdhsa_user_sgpr_dispatch_id 0
		.amdhsa_user_sgpr_flat_scratch_init 0
		.amdhsa_user_sgpr_private_segment_size 0
		.amdhsa_wavefront_size32 1
		.amdhsa_uses_dynamic_stack 0
		.amdhsa_system_sgpr_private_segment_wavefront_offset 0
		.amdhsa_system_sgpr_workgroup_id_x 1
		.amdhsa_system_sgpr_workgroup_id_y 1
		.amdhsa_system_sgpr_workgroup_id_z 1
		.amdhsa_system_sgpr_workgroup_info 0
		.amdhsa_system_vgpr_workitem_id 1
		.amdhsa_next_free_vgpr 47
		.amdhsa_next_free_sgpr 24
		.amdhsa_reserve_vcc 1
		.amdhsa_reserve_flat_scratch 0
		.amdhsa_float_round_mode_32 0
		.amdhsa_float_round_mode_16_64 0
		.amdhsa_float_denorm_mode_32 3
		.amdhsa_float_denorm_mode_16_64 3
		.amdhsa_dx10_clamp 1
		.amdhsa_ieee_mode 1
		.amdhsa_fp16_overflow 0
		.amdhsa_workgroup_processor_mode 1
		.amdhsa_memory_ordered 1
		.amdhsa_forward_progress 1
		.amdhsa_shared_vgpr_count 0
		.amdhsa_exception_fp_ieee_invalid_op 0
		.amdhsa_exception_fp_denorm_src 0
		.amdhsa_exception_fp_ieee_div_zero 0
		.amdhsa_exception_fp_ieee_overflow 0
		.amdhsa_exception_fp_ieee_underflow 0
		.amdhsa_exception_fp_ieee_inexact 0
		.amdhsa_exception_int_div_zero 0
	.end_amdhsa_kernel
	.section	.text._ZN12_GLOBAL__N_127rocblas_gemm_batched_kernelIiLi16ELi16ELi32ELi32ELi8ELi32ELi8ELi8ELi32ELc67ELc67EKaKiiEEvlllT_PT11_llS5_llS3_PT12_llPT13_lli,"axG",@progbits,_ZN12_GLOBAL__N_127rocblas_gemm_batched_kernelIiLi16ELi16ELi32ELi32ELi8ELi32ELi8ELi8ELi32ELc67ELc67EKaKiiEEvlllT_PT11_llS5_llS3_PT12_llPT13_lli,comdat
.Lfunc_end486:
	.size	_ZN12_GLOBAL__N_127rocblas_gemm_batched_kernelIiLi16ELi16ELi32ELi32ELi8ELi32ELi8ELi8ELi32ELc67ELc67EKaKiiEEvlllT_PT11_llS5_llS3_PT12_llPT13_lli, .Lfunc_end486-_ZN12_GLOBAL__N_127rocblas_gemm_batched_kernelIiLi16ELi16ELi32ELi32ELi8ELi32ELi8ELi8ELi32ELc67ELc67EKaKiiEEvlllT_PT11_llS5_llS3_PT12_llPT13_lli
                                        ; -- End function
	.set _ZN12_GLOBAL__N_127rocblas_gemm_batched_kernelIiLi16ELi16ELi32ELi32ELi8ELi32ELi8ELi8ELi32ELc67ELc67EKaKiiEEvlllT_PT11_llS5_llS3_PT12_llPT13_lli.num_vgpr, 47
	.set _ZN12_GLOBAL__N_127rocblas_gemm_batched_kernelIiLi16ELi16ELi32ELi32ELi8ELi32ELi8ELi8ELi32ELc67ELc67EKaKiiEEvlllT_PT11_llS5_llS3_PT12_llPT13_lli.num_agpr, 0
	.set _ZN12_GLOBAL__N_127rocblas_gemm_batched_kernelIiLi16ELi16ELi32ELi32ELi8ELi32ELi8ELi8ELi32ELc67ELc67EKaKiiEEvlllT_PT11_llS5_llS3_PT12_llPT13_lli.numbered_sgpr, 24
	.set _ZN12_GLOBAL__N_127rocblas_gemm_batched_kernelIiLi16ELi16ELi32ELi32ELi8ELi32ELi8ELi8ELi32ELc67ELc67EKaKiiEEvlllT_PT11_llS5_llS3_PT12_llPT13_lli.num_named_barrier, 0
	.set _ZN12_GLOBAL__N_127rocblas_gemm_batched_kernelIiLi16ELi16ELi32ELi32ELi8ELi32ELi8ELi8ELi32ELc67ELc67EKaKiiEEvlllT_PT11_llS5_llS3_PT12_llPT13_lli.private_seg_size, 0
	.set _ZN12_GLOBAL__N_127rocblas_gemm_batched_kernelIiLi16ELi16ELi32ELi32ELi8ELi32ELi8ELi8ELi32ELc67ELc67EKaKiiEEvlllT_PT11_llS5_llS3_PT12_llPT13_lli.uses_vcc, 1
	.set _ZN12_GLOBAL__N_127rocblas_gemm_batched_kernelIiLi16ELi16ELi32ELi32ELi8ELi32ELi8ELi8ELi32ELc67ELc67EKaKiiEEvlllT_PT11_llS5_llS3_PT12_llPT13_lli.uses_flat_scratch, 0
	.set _ZN12_GLOBAL__N_127rocblas_gemm_batched_kernelIiLi16ELi16ELi32ELi32ELi8ELi32ELi8ELi8ELi32ELc67ELc67EKaKiiEEvlllT_PT11_llS5_llS3_PT12_llPT13_lli.has_dyn_sized_stack, 0
	.set _ZN12_GLOBAL__N_127rocblas_gemm_batched_kernelIiLi16ELi16ELi32ELi32ELi8ELi32ELi8ELi8ELi32ELc67ELc67EKaKiiEEvlllT_PT11_llS5_llS3_PT12_llPT13_lli.has_recursion, 0
	.set _ZN12_GLOBAL__N_127rocblas_gemm_batched_kernelIiLi16ELi16ELi32ELi32ELi8ELi32ELi8ELi8ELi32ELc67ELc67EKaKiiEEvlllT_PT11_llS5_llS3_PT12_llPT13_lli.has_indirect_call, 0
	.section	.AMDGPU.csdata,"",@progbits
; Kernel info:
; codeLenInByte = 1592
; TotalNumSgprs: 26
; NumVgprs: 47
; ScratchSize: 0
; MemoryBound: 0
; FloatMode: 240
; IeeeMode: 1
; LDSByteSize: 2048 bytes/workgroup (compile time only)
; SGPRBlocks: 0
; VGPRBlocks: 5
; NumSGPRsForWavesPerEU: 26
; NumVGPRsForWavesPerEU: 47
; Occupancy: 16
; WaveLimiterHint : 0
; COMPUTE_PGM_RSRC2:SCRATCH_EN: 0
; COMPUTE_PGM_RSRC2:USER_SGPR: 6
; COMPUTE_PGM_RSRC2:TRAP_HANDLER: 0
; COMPUTE_PGM_RSRC2:TGID_X_EN: 1
; COMPUTE_PGM_RSRC2:TGID_Y_EN: 1
; COMPUTE_PGM_RSRC2:TGID_Z_EN: 1
; COMPUTE_PGM_RSRC2:TIDIG_COMP_CNT: 1
	.section	.text._ZN12_GLOBAL__N_127rocblas_gemm_batched_kernelIiLi16ELi16ELi32ELi32ELi8ELi32ELi8ELi8ELi32ELc67ELc78EKaKiiEEvlllT_PT11_llS5_llS3_PT12_llPT13_lli,"axG",@progbits,_ZN12_GLOBAL__N_127rocblas_gemm_batched_kernelIiLi16ELi16ELi32ELi32ELi8ELi32ELi8ELi8ELi32ELc67ELc78EKaKiiEEvlllT_PT11_llS5_llS3_PT12_llPT13_lli,comdat
	.globl	_ZN12_GLOBAL__N_127rocblas_gemm_batched_kernelIiLi16ELi16ELi32ELi32ELi8ELi32ELi8ELi8ELi32ELc67ELc78EKaKiiEEvlllT_PT11_llS5_llS3_PT12_llPT13_lli ; -- Begin function _ZN12_GLOBAL__N_127rocblas_gemm_batched_kernelIiLi16ELi16ELi32ELi32ELi8ELi32ELi8ELi8ELi32ELc67ELc78EKaKiiEEvlllT_PT11_llS5_llS3_PT12_llPT13_lli
	.p2align	8
	.type	_ZN12_GLOBAL__N_127rocblas_gemm_batched_kernelIiLi16ELi16ELi32ELi32ELi8ELi32ELi8ELi8ELi32ELc67ELc78EKaKiiEEvlllT_PT11_llS5_llS3_PT12_llPT13_lli,@function
_ZN12_GLOBAL__N_127rocblas_gemm_batched_kernelIiLi16ELi16ELi32ELi32ELi8ELi32ELi8ELi8ELi32ELc67ELc78EKaKiiEEvlllT_PT11_llS5_llS3_PT12_llPT13_lli: ; @_ZN12_GLOBAL__N_127rocblas_gemm_batched_kernelIiLi16ELi16ELi32ELi32ELi8ELi32ELi8ELi8ELi32ELc67ELc78EKaKiiEEvlllT_PT11_llS5_llS3_PT12_llPT13_lli
; %bb.0:
	s_load_dwordx2 s[0:1], s[4:5], 0x10
	s_mov_b32 s2, s7
	v_mov_b32_e32 v2, 0
	v_mov_b32_e32 v6, 0
	;; [unrolled: 1-line block ×4, first 2 shown]
	s_ashr_i32 s7, s6, 31
	s_ashr_i32 s3, s2, 31
	s_lshl_b64 s[10:11], s[6:7], 5
	s_lshl_b64 s[20:21], s[2:3], 5
	s_waitcnt lgkmcnt(0)
	v_cmp_lt_i64_e64 s9, s[0:1], 1
	s_and_b32 vcc_lo, exec_lo, s9
	s_cbranch_vccnz .LBB487_3
; %bb.1:
	s_clause 0x1
	s_load_dwordx8 s[12:19], s[4:5], 0x20
	s_load_dwordx4 s[24:27], s[4:5], 0x40
	v_lshl_add_u32 v2, v1, 4, v0
	v_and_b32_e32 v9, 7, v0
	v_mov_b32_e32 v3, 0
	v_lshrrev_b32_e32 v4, 3, v2
	v_and_b32_e32 v8, 31, v2
	v_lshlrev_b32_e32 v5, 2, v9
	v_lshrrev_b32_e32 v2, 5, v2
	v_add_co_u32 v7, s2, v4, s20
	v_add_co_ci_u32_e64 v10, null, 0, s21, s2
	v_lshlrev_b32_e32 v11, 2, v8
	v_lshl_or_b32 v12, v4, 5, v5
	s_waitcnt lgkmcnt(0)
	s_mul_i32 s3, s17, s8
	s_mul_hi_u32 s6, s16, s8
	s_mul_i32 s7, s16, s8
	s_mul_i32 s9, s27, s8
	s_mul_hi_u32 s16, s26, s8
	s_mul_i32 s2, s26, s8
	s_add_i32 s6, s6, s3
	s_add_i32 s3, s16, s9
	v_mul_lo_u32 v10, s24, v10
	v_mad_u64_u32 v[5:6], null, s24, v7, s[2:3]
	v_mul_lo_u32 v13, s25, v7
	v_lshl_or_b32 v4, v2, 7, v11
	v_add_co_u32 v11, s2, s10, v8
	v_add_co_ci_u32_e64 v14, null, s11, 0, s2
	v_add_nc_u32_e32 v7, 0x400, v12
	v_add_co_u32 v5, vcc_lo, v5, v9
	v_add3_u32 v6, v13, v6, v10
	v_mad_u64_u32 v[12:13], null, s14, v11, v[2:3]
	v_mul_lo_u32 v2, s14, v14
	v_mul_lo_u32 v14, s15, v11
	v_add_co_ci_u32_e64 v6, null, 0, v6, vcc_lo
	v_add_co_u32 v10, vcc_lo, s18, v5
	s_add_u32 s2, s12, s7
	v_add_co_ci_u32_e64 v11, null, s19, v6, vcc_lo
	v_add3_u32 v2, v14, v13, v2
	s_addc_u32 s3, s13, s6
	v_add_co_u32 v12, vcc_lo, s2, v12
	v_lshlrev_b32_e32 v8, 2, v0
	v_lshl_add_u32 v9, v1, 5, 0x400
	v_add_co_ci_u32_e64 v13, null, s3, v2, vcc_lo
	v_mov_b32_e32 v5, v3
	v_mov_b32_e32 v6, v3
	;; [unrolled: 1-line block ×3, first 2 shown]
	s_mov_b64 s[2:3], 0
.LBB487_2:                              ; =>This Inner Loop Header: Depth=1
	v_add_co_u32 v14, vcc_lo, v12, s2
	v_add_co_ci_u32_e64 v15, null, s3, v13, vcc_lo
	v_add_co_u32 v16, vcc_lo, v10, s2
	v_add_co_ci_u32_e64 v17, null, s3, v11, vcc_lo
	global_load_sbyte v14, v[14:15], off
	global_load_sbyte v15, v[16:17], off
	s_add_u32 s2, s2, 8
	s_addc_u32 s3, s3, 0
	s_waitcnt vmcnt(1)
	ds_write_b32 v4, v14
	s_waitcnt vmcnt(0)
	ds_write_b32 v7, v15
	s_waitcnt lgkmcnt(0)
	s_barrier
	buffer_gl0_inv
	ds_read_b128 v[14:17], v9
	ds_read2_b32 v[30:31], v8 offset1:16
	ds_read_b128 v[18:21], v9 offset:512
	ds_read2_b32 v[32:33], v8 offset0:32 offset1:48
	ds_read2_b32 v[34:35], v8 offset0:64 offset1:80
	;; [unrolled: 1-line block ×3, first 2 shown]
	ds_read_b128 v[22:25], v9 offset:16
	ds_read2_b32 v[38:39], v8 offset0:128 offset1:144
	ds_read_b128 v[26:29], v9 offset:528
	ds_read2_b32 v[40:41], v8 offset0:160 offset1:176
	ds_read2_b32 v[42:43], v8 offset0:192 offset1:208
	;; [unrolled: 1-line block ×3, first 2 shown]
	v_cmp_lt_i64_e64 s6, s[2:3], s[0:1]
	s_waitcnt lgkmcnt(0)
	s_barrier
	buffer_gl0_inv
	s_and_b32 vcc_lo, exec_lo, s6
	v_mul_lo_u32 v46, v14, v30
	v_mul_lo_u32 v14, v14, v31
	;; [unrolled: 1-line block ×16, first 2 shown]
	v_add3_u32 v2, v2, v46, v31
	v_add3_u32 v6, v6, v14, v15
	;; [unrolled: 1-line block ×4, first 2 shown]
	v_mul_lo_u32 v37, v22, v38
	v_mul_lo_u32 v22, v22, v39
	;; [unrolled: 1-line block ×8, first 2 shown]
	v_add3_u32 v2, v2, v33, v35
	v_add3_u32 v6, v6, v16, v17
	;; [unrolled: 1-line block ×4, first 2 shown]
	v_mul_lo_u32 v41, v24, v42
	v_mul_lo_u32 v24, v24, v43
	;; [unrolled: 1-line block ×8, first 2 shown]
	v_add3_u32 v2, v2, v37, v39
	v_add3_u32 v6, v6, v22, v23
	;; [unrolled: 1-line block ×8, first 2 shown]
	s_cbranch_vccnz .LBB487_2
.LBB487_3:
	s_clause 0x3
	s_load_dwordx4 s[12:15], s[4:5], 0x78
	s_load_dword s16, s[4:5], 0x18
	s_load_dword s9, s[4:5], 0x50
	s_load_dwordx8 s[0:7], s[4:5], 0x58
	v_add_co_u32 v7, s17, s20, v1
	v_add_co_ci_u32_e64 v9, null, s21, 0, s17
	v_add_co_u32 v10, s10, s10, v0
	v_add_co_ci_u32_e64 v11, null, s11, 0, s10
	s_waitcnt lgkmcnt(0)
	s_mul_i32 s11, s15, s8
	s_mul_hi_u32 s15, s14, s8
	s_mul_i32 s10, s14, s8
	v_mul_lo_u32 v4, v2, s16
	v_mul_lo_u32 v2, v6, s16
	;; [unrolled: 1-line block ×4, first 2 shown]
	s_add_i32 s11, s15, s11
	v_mul_lo_u32 v3, v9, s12
	v_mul_lo_u32 v8, v7, s13
	s_lshl_b64 s[10:11], s[10:11], 2
	v_lshlrev_b64 v[5:6], 2, v[10:11]
	s_add_u32 s6, s6, s10
	s_addc_u32 s7, s7, s11
	s_cmp_eq_u32 s9, 0
	s_mov_b32 s10, 0
	s_cbranch_scc1 .LBB487_7
; %bb.4:
	v_mul_lo_u32 v11, v9, s2
	v_mul_lo_u32 v12, v7, s3
	v_mad_u64_u32 v[9:10], null, v7, s2, 0
	s_mul_i32 s5, s5, s8
	s_mul_hi_u32 s11, s4, s8
	s_mul_i32 s4, s4, s8
	s_add_i32 s5, s11, s5
	s_lshl_b64 s[4:5], s[4:5], 2
	v_add3_u32 v10, v10, v12, v11
	s_add_u32 s0, s0, s4
	s_addc_u32 s1, s1, s5
	v_mad_u64_u32 v[11:12], null, v7, s12, 0
	v_lshlrev_b64 v[9:10], 2, v[9:10]
	v_add3_u32 v12, v12, v8, v3
	v_add_co_u32 v14, vcc_lo, s0, v9
	v_add_co_ci_u32_e64 v15, null, s1, v10, vcc_lo
	v_lshlrev_b64 v[11:12], 2, v[11:12]
	v_add_co_u32 v9, vcc_lo, v14, v5
	v_add_co_ci_u32_e64 v10, null, v15, v6, vcc_lo
	s_lshl_b64 s[0:1], s[2:3], 6
	v_add_co_u32 v16, vcc_lo, s6, v11
	global_load_dword v13, v[9:10], off
	v_add_co_ci_u32_e64 v17, null, s7, v12, vcc_lo
	s_waitcnt vmcnt(0)
	v_mad_u64_u32 v[11:12], null, v13, s9, v[4:5]
	v_add_co_u32 v12, vcc_lo, v16, v5
	v_add_co_ci_u32_e64 v13, null, v17, v6, vcc_lo
	global_store_dword v[12:13], v11, off
	global_load_dword v9, v[9:10], off offset:64
	v_add_co_u32 v11, vcc_lo, v14, s0
	v_add_co_ci_u32_e64 v14, null, s1, v15, vcc_lo
	s_lshl_b64 s[0:1], s[12:13], 6
	s_waitcnt vmcnt(0)
	v_mad_u64_u32 v[9:10], null, v9, s9, v[2:3]
	v_add_co_u32 v10, vcc_lo, v11, v5
	v_add_co_ci_u32_e64 v11, null, v14, v6, vcc_lo
	v_add_co_u32 v14, vcc_lo, v16, s0
	global_store_dword v[12:13], v9, off offset:64
	global_load_dword v9, v[10:11], off
	v_add_co_ci_u32_e64 v15, null, s1, v17, vcc_lo
	s_waitcnt vmcnt(0)
	v_mad_u64_u32 v[12:13], null, v9, s9, v[1:2]
	v_add_co_u32 v13, vcc_lo, v14, v5
	v_add_co_ci_u32_e64 v14, null, v15, v6, vcc_lo
	global_store_dword v[13:14], v12, off
	global_load_dword v9, v[10:11], off offset:64
	s_waitcnt vmcnt(0)
	v_mad_u64_u32 v[9:10], null, v9, s9, v[0:1]
	global_store_dword v[13:14], v9, off offset:64
	s_andn2_b32 vcc_lo, exec_lo, s10
	s_cbranch_vccnz .LBB487_6
.LBB487_5:
	v_mad_u64_u32 v[9:10], null, v7, s12, 0
	s_lshl_b64 s[0:1], s[12:13], 6
	v_add3_u32 v10, v10, v8, v3
	v_lshlrev_b64 v[7:8], 2, v[9:10]
	v_add_co_u32 v3, vcc_lo, s6, v7
	v_add_co_ci_u32_e64 v8, null, s7, v8, vcc_lo
	v_add_co_u32 v9, vcc_lo, v3, s0
	v_add_co_ci_u32_e64 v10, null, s1, v8, vcc_lo
	;; [unrolled: 2-line block ×4, first 2 shown]
	global_store_dword v[7:8], v4, off
	global_store_dword v[7:8], v2, off offset:64
	global_store_dword v[5:6], v1, off
	global_store_dword v[5:6], v0, off offset:64
.LBB487_6:
	s_endpgm
.LBB487_7:
	s_branch .LBB487_5
	.section	.rodata,"a",@progbits
	.p2align	6, 0x0
	.amdhsa_kernel _ZN12_GLOBAL__N_127rocblas_gemm_batched_kernelIiLi16ELi16ELi32ELi32ELi8ELi32ELi8ELi8ELi32ELc67ELc78EKaKiiEEvlllT_PT11_llS5_llS3_PT12_llPT13_lli
		.amdhsa_group_segment_fixed_size 2048
		.amdhsa_private_segment_fixed_size 0
		.amdhsa_kernarg_size 140
		.amdhsa_user_sgpr_count 6
		.amdhsa_user_sgpr_private_segment_buffer 1
		.amdhsa_user_sgpr_dispatch_ptr 0
		.amdhsa_user_sgpr_queue_ptr 0
		.amdhsa_user_sgpr_kernarg_segment_ptr 1
		.amdhsa_user_sgpr_dispatch_id 0
		.amdhsa_user_sgpr_flat_scratch_init 0
		.amdhsa_user_sgpr_private_segment_size 0
		.amdhsa_wavefront_size32 1
		.amdhsa_uses_dynamic_stack 0
		.amdhsa_system_sgpr_private_segment_wavefront_offset 0
		.amdhsa_system_sgpr_workgroup_id_x 1
		.amdhsa_system_sgpr_workgroup_id_y 1
		.amdhsa_system_sgpr_workgroup_id_z 1
		.amdhsa_system_sgpr_workgroup_info 0
		.amdhsa_system_vgpr_workitem_id 1
		.amdhsa_next_free_vgpr 47
		.amdhsa_next_free_sgpr 28
		.amdhsa_reserve_vcc 1
		.amdhsa_reserve_flat_scratch 0
		.amdhsa_float_round_mode_32 0
		.amdhsa_float_round_mode_16_64 0
		.amdhsa_float_denorm_mode_32 3
		.amdhsa_float_denorm_mode_16_64 3
		.amdhsa_dx10_clamp 1
		.amdhsa_ieee_mode 1
		.amdhsa_fp16_overflow 0
		.amdhsa_workgroup_processor_mode 1
		.amdhsa_memory_ordered 1
		.amdhsa_forward_progress 1
		.amdhsa_shared_vgpr_count 0
		.amdhsa_exception_fp_ieee_invalid_op 0
		.amdhsa_exception_fp_denorm_src 0
		.amdhsa_exception_fp_ieee_div_zero 0
		.amdhsa_exception_fp_ieee_overflow 0
		.amdhsa_exception_fp_ieee_underflow 0
		.amdhsa_exception_fp_ieee_inexact 0
		.amdhsa_exception_int_div_zero 0
	.end_amdhsa_kernel
	.section	.text._ZN12_GLOBAL__N_127rocblas_gemm_batched_kernelIiLi16ELi16ELi32ELi32ELi8ELi32ELi8ELi8ELi32ELc67ELc78EKaKiiEEvlllT_PT11_llS5_llS3_PT12_llPT13_lli,"axG",@progbits,_ZN12_GLOBAL__N_127rocblas_gemm_batched_kernelIiLi16ELi16ELi32ELi32ELi8ELi32ELi8ELi8ELi32ELc67ELc78EKaKiiEEvlllT_PT11_llS5_llS3_PT12_llPT13_lli,comdat
.Lfunc_end487:
	.size	_ZN12_GLOBAL__N_127rocblas_gemm_batched_kernelIiLi16ELi16ELi32ELi32ELi8ELi32ELi8ELi8ELi32ELc67ELc78EKaKiiEEvlllT_PT11_llS5_llS3_PT12_llPT13_lli, .Lfunc_end487-_ZN12_GLOBAL__N_127rocblas_gemm_batched_kernelIiLi16ELi16ELi32ELi32ELi8ELi32ELi8ELi8ELi32ELc67ELc78EKaKiiEEvlllT_PT11_llS5_llS3_PT12_llPT13_lli
                                        ; -- End function
	.set _ZN12_GLOBAL__N_127rocblas_gemm_batched_kernelIiLi16ELi16ELi32ELi32ELi8ELi32ELi8ELi8ELi32ELc67ELc78EKaKiiEEvlllT_PT11_llS5_llS3_PT12_llPT13_lli.num_vgpr, 47
	.set _ZN12_GLOBAL__N_127rocblas_gemm_batched_kernelIiLi16ELi16ELi32ELi32ELi8ELi32ELi8ELi8ELi32ELc67ELc78EKaKiiEEvlllT_PT11_llS5_llS3_PT12_llPT13_lli.num_agpr, 0
	.set _ZN12_GLOBAL__N_127rocblas_gemm_batched_kernelIiLi16ELi16ELi32ELi32ELi8ELi32ELi8ELi8ELi32ELc67ELc78EKaKiiEEvlllT_PT11_llS5_llS3_PT12_llPT13_lli.numbered_sgpr, 28
	.set _ZN12_GLOBAL__N_127rocblas_gemm_batched_kernelIiLi16ELi16ELi32ELi32ELi8ELi32ELi8ELi8ELi32ELc67ELc78EKaKiiEEvlllT_PT11_llS5_llS3_PT12_llPT13_lli.num_named_barrier, 0
	.set _ZN12_GLOBAL__N_127rocblas_gemm_batched_kernelIiLi16ELi16ELi32ELi32ELi8ELi32ELi8ELi8ELi32ELc67ELc78EKaKiiEEvlllT_PT11_llS5_llS3_PT12_llPT13_lli.private_seg_size, 0
	.set _ZN12_GLOBAL__N_127rocblas_gemm_batched_kernelIiLi16ELi16ELi32ELi32ELi8ELi32ELi8ELi8ELi32ELc67ELc78EKaKiiEEvlllT_PT11_llS5_llS3_PT12_llPT13_lli.uses_vcc, 1
	.set _ZN12_GLOBAL__N_127rocblas_gemm_batched_kernelIiLi16ELi16ELi32ELi32ELi8ELi32ELi8ELi8ELi32ELc67ELc78EKaKiiEEvlllT_PT11_llS5_llS3_PT12_llPT13_lli.uses_flat_scratch, 0
	.set _ZN12_GLOBAL__N_127rocblas_gemm_batched_kernelIiLi16ELi16ELi32ELi32ELi8ELi32ELi8ELi8ELi32ELc67ELc78EKaKiiEEvlllT_PT11_llS5_llS3_PT12_llPT13_lli.has_dyn_sized_stack, 0
	.set _ZN12_GLOBAL__N_127rocblas_gemm_batched_kernelIiLi16ELi16ELi32ELi32ELi8ELi32ELi8ELi8ELi32ELc67ELc78EKaKiiEEvlllT_PT11_llS5_llS3_PT12_llPT13_lli.has_recursion, 0
	.set _ZN12_GLOBAL__N_127rocblas_gemm_batched_kernelIiLi16ELi16ELi32ELi32ELi8ELi32ELi8ELi8ELi32ELc67ELc78EKaKiiEEvlllT_PT11_llS5_llS3_PT12_llPT13_lli.has_indirect_call, 0
	.section	.AMDGPU.csdata,"",@progbits
; Kernel info:
; codeLenInByte = 1620
; TotalNumSgprs: 30
; NumVgprs: 47
; ScratchSize: 0
; MemoryBound: 0
; FloatMode: 240
; IeeeMode: 1
; LDSByteSize: 2048 bytes/workgroup (compile time only)
; SGPRBlocks: 0
; VGPRBlocks: 5
; NumSGPRsForWavesPerEU: 30
; NumVGPRsForWavesPerEU: 47
; Occupancy: 16
; WaveLimiterHint : 0
; COMPUTE_PGM_RSRC2:SCRATCH_EN: 0
; COMPUTE_PGM_RSRC2:USER_SGPR: 6
; COMPUTE_PGM_RSRC2:TRAP_HANDLER: 0
; COMPUTE_PGM_RSRC2:TGID_X_EN: 1
; COMPUTE_PGM_RSRC2:TGID_Y_EN: 1
; COMPUTE_PGM_RSRC2:TGID_Z_EN: 1
; COMPUTE_PGM_RSRC2:TIDIG_COMP_CNT: 1
	.section	.text._ZN12_GLOBAL__N_127rocblas_gemm_batched_kernelIiLi16ELi16ELi32ELi32ELi8ELi32ELi8ELi8ELi32ELc67ELc84EKaKiiEEvlllT_PT11_llS5_llS3_PT12_llPT13_lli,"axG",@progbits,_ZN12_GLOBAL__N_127rocblas_gemm_batched_kernelIiLi16ELi16ELi32ELi32ELi8ELi32ELi8ELi8ELi32ELc67ELc84EKaKiiEEvlllT_PT11_llS5_llS3_PT12_llPT13_lli,comdat
	.globl	_ZN12_GLOBAL__N_127rocblas_gemm_batched_kernelIiLi16ELi16ELi32ELi32ELi8ELi32ELi8ELi8ELi32ELc67ELc84EKaKiiEEvlllT_PT11_llS5_llS3_PT12_llPT13_lli ; -- Begin function _ZN12_GLOBAL__N_127rocblas_gemm_batched_kernelIiLi16ELi16ELi32ELi32ELi8ELi32ELi8ELi8ELi32ELc67ELc84EKaKiiEEvlllT_PT11_llS5_llS3_PT12_llPT13_lli
	.p2align	8
	.type	_ZN12_GLOBAL__N_127rocblas_gemm_batched_kernelIiLi16ELi16ELi32ELi32ELi8ELi32ELi8ELi8ELi32ELc67ELc84EKaKiiEEvlllT_PT11_llS5_llS3_PT12_llPT13_lli,@function
_ZN12_GLOBAL__N_127rocblas_gemm_batched_kernelIiLi16ELi16ELi32ELi32ELi8ELi32ELi8ELi8ELi32ELc67ELc84EKaKiiEEvlllT_PT11_llS5_llS3_PT12_llPT13_lli: ; @_ZN12_GLOBAL__N_127rocblas_gemm_batched_kernelIiLi16ELi16ELi32ELi32ELi8ELi32ELi8ELi8ELi32ELc67ELc84EKaKiiEEvlllT_PT11_llS5_llS3_PT12_llPT13_lli
; %bb.0:
	s_load_dwordx2 s[22:23], s[4:5], 0x10
	s_mov_b32 s0, s7
	v_mov_b32_e32 v2, 0
	v_mov_b32_e32 v7, 0
	;; [unrolled: 1-line block ×4, first 2 shown]
	s_ashr_i32 s7, s6, 31
	s_ashr_i32 s1, s0, 31
	s_lshl_b64 s[10:11], s[6:7], 5
	s_lshl_b64 s[20:21], s[0:1], 5
	s_waitcnt lgkmcnt(0)
	v_cmp_lt_i64_e64 s2, s[22:23], 1
	s_and_b32 vcc_lo, exec_lo, s2
	s_cbranch_vccnz .LBB488_3
; %bb.1:
	s_load_dwordx4 s[0:3], s[4:5], 0x40
	v_lshl_add_u32 v6, v1, 4, v0
	v_mov_b32_e32 v3, 0
	s_load_dwordx8 s[12:19], s[4:5], 0x20
	v_and_b32_e32 v16, 7, v0
	v_lshlrev_b32_e32 v8, 2, v0
	v_lshrrev_b32_e32 v2, 3, v6
	v_and_b32_e32 v10, 31, v6
	v_lshrrev_b32_e32 v12, 5, v6
	v_mov_b32_e32 v6, v3
	v_lshlrev_b32_e32 v11, 2, v16
	v_mov_b32_e32 v13, v3
	v_lshlrev_b32_e32 v17, 2, v10
	v_lshl_add_u32 v9, v1, 5, 0x400
	v_mov_b32_e32 v7, v3
	s_waitcnt lgkmcnt(0)
	v_mad_u64_u32 v[4:5], null, s2, s8, v[2:3]
	v_lshl_or_b32 v2, v2, 5, v11
	s_mul_i32 s6, s17, s8
	s_mul_hi_u32 s7, s16, s8
	s_mul_i32 s9, s16, s8
	s_add_i32 s7, s7, s6
	v_add_nc_u32_e32 v11, 0x400, v2
	v_mad_u64_u32 v[14:15], null, s3, s8, v[5:6]
	v_add_co_u32 v15, s2, s10, v10
	v_add_co_ci_u32_e64 v18, null, s11, 0, s2
	v_lshl_or_b32 v10, v12, 7, v17
	v_mad_u64_u32 v[12:13], null, s14, v15, v[12:13]
	v_mov_b32_e32 v5, v14
	v_mul_lo_u32 v14, s14, v18
	v_mul_lo_u32 v15, s15, v15
	s_lshl_b64 s[2:3], s[0:1], 3
	v_mad_u64_u32 v[4:5], null, s0, v16, v[4:5]
	s_add_u32 s0, s18, s20
	s_addc_u32 s6, s19, s21
	s_add_u32 s9, s12, s9
	s_addc_u32 s7, s13, s7
	v_add_co_u32 v12, vcc_lo, s9, v12
	v_mov_b32_e32 v2, v5
	v_add3_u32 v5, v15, v13, v14
	v_mad_u64_u32 v[14:15], null, s1, v16, v[2:3]
	v_add_co_ci_u32_e64 v13, null, s7, v5, vcc_lo
	v_add_co_u32 v4, vcc_lo, s0, v4
	v_mov_b32_e32 v2, v3
	s_mov_b64 s[0:1], 0
	v_add_co_ci_u32_e64 v5, null, s6, v14, vcc_lo
.LBB488_2:                              ; =>This Inner Loop Header: Depth=1
	v_add_co_u32 v14, vcc_lo, v12, s0
	v_add_co_ci_u32_e64 v15, null, s1, v13, vcc_lo
	s_add_u32 s0, s0, 8
	s_addc_u32 s1, s1, 0
	global_load_sbyte v16, v[4:5], off
	global_load_sbyte v14, v[14:15], off
	v_cmp_lt_i64_e64 s6, s[0:1], s[22:23]
	v_add_co_u32 v4, vcc_lo, v4, s2
	v_add_co_ci_u32_e64 v5, null, s3, v5, vcc_lo
	s_waitcnt vmcnt(1)
	ds_write_b32 v11, v16
	s_waitcnt vmcnt(0)
	ds_write_b32 v10, v14
	s_waitcnt lgkmcnt(0)
	s_barrier
	buffer_gl0_inv
	ds_read_b128 v[14:17], v9
	ds_read2_b32 v[30:31], v8 offset1:16
	ds_read_b128 v[18:21], v9 offset:512
	ds_read2_b32 v[32:33], v8 offset0:32 offset1:48
	ds_read2_b32 v[34:35], v8 offset0:64 offset1:80
	;; [unrolled: 1-line block ×3, first 2 shown]
	ds_read_b128 v[22:25], v9 offset:16
	ds_read2_b32 v[38:39], v8 offset0:128 offset1:144
	ds_read_b128 v[26:29], v9 offset:528
	ds_read2_b32 v[40:41], v8 offset0:160 offset1:176
	ds_read2_b32 v[42:43], v8 offset0:192 offset1:208
	;; [unrolled: 1-line block ×3, first 2 shown]
	s_and_b32 vcc_lo, exec_lo, s6
	s_waitcnt lgkmcnt(0)
	s_barrier
	buffer_gl0_inv
	v_mul_lo_u32 v46, v14, v30
	v_mul_lo_u32 v14, v14, v31
	;; [unrolled: 1-line block ×16, first 2 shown]
	v_add3_u32 v2, v2, v46, v31
	v_add3_u32 v7, v7, v14, v15
	;; [unrolled: 1-line block ×4, first 2 shown]
	v_mul_lo_u32 v37, v22, v38
	v_mul_lo_u32 v22, v22, v39
	;; [unrolled: 1-line block ×8, first 2 shown]
	v_add3_u32 v2, v2, v33, v35
	v_add3_u32 v7, v7, v16, v17
	;; [unrolled: 1-line block ×4, first 2 shown]
	v_mul_lo_u32 v41, v24, v42
	v_mul_lo_u32 v24, v24, v43
	;; [unrolled: 1-line block ×8, first 2 shown]
	v_add3_u32 v2, v2, v37, v39
	v_add3_u32 v7, v7, v22, v23
	;; [unrolled: 1-line block ×8, first 2 shown]
	s_cbranch_vccnz .LBB488_2
.LBB488_3:
	s_clause 0x3
	s_load_dwordx4 s[12:15], s[4:5], 0x78
	s_load_dword s16, s[4:5], 0x18
	s_load_dword s9, s[4:5], 0x50
	s_load_dwordx8 s[0:7], s[4:5], 0x58
	v_add_co_u32 v8, s17, s20, v1
	v_add_co_ci_u32_e64 v9, null, s21, 0, s17
	v_add_co_u32 v10, s10, s10, v0
	v_add_co_ci_u32_e64 v11, null, s11, 0, s10
	s_waitcnt lgkmcnt(0)
	s_mul_i32 s11, s15, s8
	s_mul_hi_u32 s15, s14, s8
	s_mul_i32 s10, s14, s8
	v_mul_lo_u32 v4, v2, s16
	v_mul_lo_u32 v2, v7, s16
	;; [unrolled: 1-line block ×4, first 2 shown]
	s_add_i32 s11, s15, s11
	v_mul_lo_u32 v3, v9, s12
	v_mul_lo_u32 v7, v8, s13
	s_lshl_b64 s[10:11], s[10:11], 2
	v_lshlrev_b64 v[5:6], 2, v[10:11]
	s_add_u32 s6, s6, s10
	s_addc_u32 s7, s7, s11
	s_cmp_eq_u32 s9, 0
	s_mov_b32 s10, 0
	s_cbranch_scc1 .LBB488_7
; %bb.4:
	v_mul_lo_u32 v11, v9, s2
	v_mul_lo_u32 v12, v8, s3
	v_mad_u64_u32 v[9:10], null, v8, s2, 0
	s_mul_i32 s5, s5, s8
	s_mul_hi_u32 s11, s4, s8
	s_mul_i32 s4, s4, s8
	s_add_i32 s5, s11, s5
	s_lshl_b64 s[4:5], s[4:5], 2
	v_add3_u32 v10, v10, v12, v11
	s_add_u32 s0, s0, s4
	s_addc_u32 s1, s1, s5
	v_mad_u64_u32 v[11:12], null, v8, s12, 0
	v_lshlrev_b64 v[9:10], 2, v[9:10]
	v_add3_u32 v12, v12, v7, v3
	v_add_co_u32 v14, vcc_lo, s0, v9
	v_add_co_ci_u32_e64 v15, null, s1, v10, vcc_lo
	v_lshlrev_b64 v[11:12], 2, v[11:12]
	v_add_co_u32 v9, vcc_lo, v14, v5
	v_add_co_ci_u32_e64 v10, null, v15, v6, vcc_lo
	s_lshl_b64 s[0:1], s[2:3], 6
	v_add_co_u32 v16, vcc_lo, s6, v11
	global_load_dword v13, v[9:10], off
	v_add_co_ci_u32_e64 v17, null, s7, v12, vcc_lo
	s_waitcnt vmcnt(0)
	v_mad_u64_u32 v[11:12], null, v13, s9, v[4:5]
	v_add_co_u32 v12, vcc_lo, v16, v5
	v_add_co_ci_u32_e64 v13, null, v17, v6, vcc_lo
	global_store_dword v[12:13], v11, off
	global_load_dword v9, v[9:10], off offset:64
	v_add_co_u32 v11, vcc_lo, v14, s0
	v_add_co_ci_u32_e64 v14, null, s1, v15, vcc_lo
	s_lshl_b64 s[0:1], s[12:13], 6
	s_waitcnt vmcnt(0)
	v_mad_u64_u32 v[9:10], null, v9, s9, v[2:3]
	v_add_co_u32 v10, vcc_lo, v11, v5
	v_add_co_ci_u32_e64 v11, null, v14, v6, vcc_lo
	v_add_co_u32 v14, vcc_lo, v16, s0
	global_store_dword v[12:13], v9, off offset:64
	global_load_dword v9, v[10:11], off
	v_add_co_ci_u32_e64 v15, null, s1, v17, vcc_lo
	s_waitcnt vmcnt(0)
	v_mad_u64_u32 v[12:13], null, v9, s9, v[1:2]
	v_add_co_u32 v13, vcc_lo, v14, v5
	v_add_co_ci_u32_e64 v14, null, v15, v6, vcc_lo
	global_store_dword v[13:14], v12, off
	global_load_dword v9, v[10:11], off offset:64
	s_waitcnt vmcnt(0)
	v_mad_u64_u32 v[9:10], null, v9, s9, v[0:1]
	global_store_dword v[13:14], v9, off offset:64
	s_andn2_b32 vcc_lo, exec_lo, s10
	s_cbranch_vccnz .LBB488_6
.LBB488_5:
	v_mad_u64_u32 v[8:9], null, v8, s12, 0
	s_lshl_b64 s[0:1], s[12:13], 6
	v_add3_u32 v9, v9, v7, v3
	v_lshlrev_b64 v[7:8], 2, v[8:9]
	v_add_co_u32 v3, vcc_lo, s6, v7
	v_add_co_ci_u32_e64 v8, null, s7, v8, vcc_lo
	v_add_co_u32 v9, vcc_lo, v3, s0
	v_add_co_ci_u32_e64 v10, null, s1, v8, vcc_lo
	;; [unrolled: 2-line block ×4, first 2 shown]
	global_store_dword v[7:8], v4, off
	global_store_dword v[7:8], v2, off offset:64
	global_store_dword v[5:6], v1, off
	global_store_dword v[5:6], v0, off offset:64
.LBB488_6:
	s_endpgm
.LBB488_7:
	s_branch .LBB488_5
	.section	.rodata,"a",@progbits
	.p2align	6, 0x0
	.amdhsa_kernel _ZN12_GLOBAL__N_127rocblas_gemm_batched_kernelIiLi16ELi16ELi32ELi32ELi8ELi32ELi8ELi8ELi32ELc67ELc84EKaKiiEEvlllT_PT11_llS5_llS3_PT12_llPT13_lli
		.amdhsa_group_segment_fixed_size 2048
		.amdhsa_private_segment_fixed_size 0
		.amdhsa_kernarg_size 140
		.amdhsa_user_sgpr_count 6
		.amdhsa_user_sgpr_private_segment_buffer 1
		.amdhsa_user_sgpr_dispatch_ptr 0
		.amdhsa_user_sgpr_queue_ptr 0
		.amdhsa_user_sgpr_kernarg_segment_ptr 1
		.amdhsa_user_sgpr_dispatch_id 0
		.amdhsa_user_sgpr_flat_scratch_init 0
		.amdhsa_user_sgpr_private_segment_size 0
		.amdhsa_wavefront_size32 1
		.amdhsa_uses_dynamic_stack 0
		.amdhsa_system_sgpr_private_segment_wavefront_offset 0
		.amdhsa_system_sgpr_workgroup_id_x 1
		.amdhsa_system_sgpr_workgroup_id_y 1
		.amdhsa_system_sgpr_workgroup_id_z 1
		.amdhsa_system_sgpr_workgroup_info 0
		.amdhsa_system_vgpr_workitem_id 1
		.amdhsa_next_free_vgpr 47
		.amdhsa_next_free_sgpr 24
		.amdhsa_reserve_vcc 1
		.amdhsa_reserve_flat_scratch 0
		.amdhsa_float_round_mode_32 0
		.amdhsa_float_round_mode_16_64 0
		.amdhsa_float_denorm_mode_32 3
		.amdhsa_float_denorm_mode_16_64 3
		.amdhsa_dx10_clamp 1
		.amdhsa_ieee_mode 1
		.amdhsa_fp16_overflow 0
		.amdhsa_workgroup_processor_mode 1
		.amdhsa_memory_ordered 1
		.amdhsa_forward_progress 1
		.amdhsa_shared_vgpr_count 0
		.amdhsa_exception_fp_ieee_invalid_op 0
		.amdhsa_exception_fp_denorm_src 0
		.amdhsa_exception_fp_ieee_div_zero 0
		.amdhsa_exception_fp_ieee_overflow 0
		.amdhsa_exception_fp_ieee_underflow 0
		.amdhsa_exception_fp_ieee_inexact 0
		.amdhsa_exception_int_div_zero 0
	.end_amdhsa_kernel
	.section	.text._ZN12_GLOBAL__N_127rocblas_gemm_batched_kernelIiLi16ELi16ELi32ELi32ELi8ELi32ELi8ELi8ELi32ELc67ELc84EKaKiiEEvlllT_PT11_llS5_llS3_PT12_llPT13_lli,"axG",@progbits,_ZN12_GLOBAL__N_127rocblas_gemm_batched_kernelIiLi16ELi16ELi32ELi32ELi8ELi32ELi8ELi8ELi32ELc67ELc84EKaKiiEEvlllT_PT11_llS5_llS3_PT12_llPT13_lli,comdat
.Lfunc_end488:
	.size	_ZN12_GLOBAL__N_127rocblas_gemm_batched_kernelIiLi16ELi16ELi32ELi32ELi8ELi32ELi8ELi8ELi32ELc67ELc84EKaKiiEEvlllT_PT11_llS5_llS3_PT12_llPT13_lli, .Lfunc_end488-_ZN12_GLOBAL__N_127rocblas_gemm_batched_kernelIiLi16ELi16ELi32ELi32ELi8ELi32ELi8ELi8ELi32ELc67ELc84EKaKiiEEvlllT_PT11_llS5_llS3_PT12_llPT13_lli
                                        ; -- End function
	.set _ZN12_GLOBAL__N_127rocblas_gemm_batched_kernelIiLi16ELi16ELi32ELi32ELi8ELi32ELi8ELi8ELi32ELc67ELc84EKaKiiEEvlllT_PT11_llS5_llS3_PT12_llPT13_lli.num_vgpr, 47
	.set _ZN12_GLOBAL__N_127rocblas_gemm_batched_kernelIiLi16ELi16ELi32ELi32ELi8ELi32ELi8ELi8ELi32ELc67ELc84EKaKiiEEvlllT_PT11_llS5_llS3_PT12_llPT13_lli.num_agpr, 0
	.set _ZN12_GLOBAL__N_127rocblas_gemm_batched_kernelIiLi16ELi16ELi32ELi32ELi8ELi32ELi8ELi8ELi32ELc67ELc84EKaKiiEEvlllT_PT11_llS5_llS3_PT12_llPT13_lli.numbered_sgpr, 24
	.set _ZN12_GLOBAL__N_127rocblas_gemm_batched_kernelIiLi16ELi16ELi32ELi32ELi8ELi32ELi8ELi8ELi32ELc67ELc84EKaKiiEEvlllT_PT11_llS5_llS3_PT12_llPT13_lli.num_named_barrier, 0
	.set _ZN12_GLOBAL__N_127rocblas_gemm_batched_kernelIiLi16ELi16ELi32ELi32ELi8ELi32ELi8ELi8ELi32ELc67ELc84EKaKiiEEvlllT_PT11_llS5_llS3_PT12_llPT13_lli.private_seg_size, 0
	.set _ZN12_GLOBAL__N_127rocblas_gemm_batched_kernelIiLi16ELi16ELi32ELi32ELi8ELi32ELi8ELi8ELi32ELc67ELc84EKaKiiEEvlllT_PT11_llS5_llS3_PT12_llPT13_lli.uses_vcc, 1
	.set _ZN12_GLOBAL__N_127rocblas_gemm_batched_kernelIiLi16ELi16ELi32ELi32ELi8ELi32ELi8ELi8ELi32ELc67ELc84EKaKiiEEvlllT_PT11_llS5_llS3_PT12_llPT13_lli.uses_flat_scratch, 0
	.set _ZN12_GLOBAL__N_127rocblas_gemm_batched_kernelIiLi16ELi16ELi32ELi32ELi8ELi32ELi8ELi8ELi32ELc67ELc84EKaKiiEEvlllT_PT11_llS5_llS3_PT12_llPT13_lli.has_dyn_sized_stack, 0
	.set _ZN12_GLOBAL__N_127rocblas_gemm_batched_kernelIiLi16ELi16ELi32ELi32ELi8ELi32ELi8ELi8ELi32ELc67ELc84EKaKiiEEvlllT_PT11_llS5_llS3_PT12_llPT13_lli.has_recursion, 0
	.set _ZN12_GLOBAL__N_127rocblas_gemm_batched_kernelIiLi16ELi16ELi32ELi32ELi8ELi32ELi8ELi8ELi32ELc67ELc84EKaKiiEEvlllT_PT11_llS5_llS3_PT12_llPT13_lli.has_indirect_call, 0
	.section	.AMDGPU.csdata,"",@progbits
; Kernel info:
; codeLenInByte = 1592
; TotalNumSgprs: 26
; NumVgprs: 47
; ScratchSize: 0
; MemoryBound: 0
; FloatMode: 240
; IeeeMode: 1
; LDSByteSize: 2048 bytes/workgroup (compile time only)
; SGPRBlocks: 0
; VGPRBlocks: 5
; NumSGPRsForWavesPerEU: 26
; NumVGPRsForWavesPerEU: 47
; Occupancy: 16
; WaveLimiterHint : 0
; COMPUTE_PGM_RSRC2:SCRATCH_EN: 0
; COMPUTE_PGM_RSRC2:USER_SGPR: 6
; COMPUTE_PGM_RSRC2:TRAP_HANDLER: 0
; COMPUTE_PGM_RSRC2:TGID_X_EN: 1
; COMPUTE_PGM_RSRC2:TGID_Y_EN: 1
; COMPUTE_PGM_RSRC2:TGID_Z_EN: 1
; COMPUTE_PGM_RSRC2:TIDIG_COMP_CNT: 1
	.section	.text._ZN12_GLOBAL__N_127rocblas_gemm_batched_kernelIiLi16ELi16ELi32ELi32ELi8ELi32ELi8ELi8ELi32ELc78ELc67EKaKiiEEvlllT_PT11_llS5_llS3_PT12_llPT13_lli,"axG",@progbits,_ZN12_GLOBAL__N_127rocblas_gemm_batched_kernelIiLi16ELi16ELi32ELi32ELi8ELi32ELi8ELi8ELi32ELc78ELc67EKaKiiEEvlllT_PT11_llS5_llS3_PT12_llPT13_lli,comdat
	.globl	_ZN12_GLOBAL__N_127rocblas_gemm_batched_kernelIiLi16ELi16ELi32ELi32ELi8ELi32ELi8ELi8ELi32ELc78ELc67EKaKiiEEvlllT_PT11_llS5_llS3_PT12_llPT13_lli ; -- Begin function _ZN12_GLOBAL__N_127rocblas_gemm_batched_kernelIiLi16ELi16ELi32ELi32ELi8ELi32ELi8ELi8ELi32ELc78ELc67EKaKiiEEvlllT_PT11_llS5_llS3_PT12_llPT13_lli
	.p2align	8
	.type	_ZN12_GLOBAL__N_127rocblas_gemm_batched_kernelIiLi16ELi16ELi32ELi32ELi8ELi32ELi8ELi8ELi32ELc78ELc67EKaKiiEEvlllT_PT11_llS5_llS3_PT12_llPT13_lli,@function
_ZN12_GLOBAL__N_127rocblas_gemm_batched_kernelIiLi16ELi16ELi32ELi32ELi8ELi32ELi8ELi8ELi32ELc78ELc67EKaKiiEEvlllT_PT11_llS5_llS3_PT12_llPT13_lli: ; @_ZN12_GLOBAL__N_127rocblas_gemm_batched_kernelIiLi16ELi16ELi32ELi32ELi8ELi32ELi8ELi8ELi32ELc78ELc67EKaKiiEEvlllT_PT11_llS5_llS3_PT12_llPT13_lli
; %bb.0:
	s_load_dwordx2 s[22:23], s[4:5], 0x10
	s_mov_b32 s0, s7
	v_mov_b32_e32 v2, 0
	v_mov_b32_e32 v9, 0
	;; [unrolled: 1-line block ×4, first 2 shown]
	s_ashr_i32 s7, s6, 31
	s_ashr_i32 s1, s0, 31
	s_lshl_b64 s[10:11], s[6:7], 5
	s_lshl_b64 s[20:21], s[0:1], 5
	s_waitcnt lgkmcnt(0)
	v_cmp_lt_i64_e64 s2, s[22:23], 1
	s_and_b32 vcc_lo, exec_lo, s2
	s_cbranch_vccnz .LBB489_3
; %bb.1:
	s_clause 0x1
	s_load_dwordx4 s[0:3], s[4:5], 0x40
	s_load_dwordx8 s[12:19], s[4:5], 0x20
	v_lshl_add_u32 v8, v1, 4, v0
	v_mov_b32_e32 v3, 0
	v_and_b32_e32 v16, 7, v0
	v_lshlrev_b32_e32 v10, 2, v0
	v_lshl_add_u32 v11, v1, 5, 0x400
	v_lshrrev_b32_e32 v2, 3, v8
	v_lshrrev_b32_e32 v12, 5, v8
	v_and_b32_e32 v17, 31, v8
	v_lshlrev_b32_e32 v9, 2, v16
	v_mov_b32_e32 v8, v3
	v_lshlrev_b32_e32 v13, 2, v17
	s_waitcnt lgkmcnt(0)
	v_mad_u64_u32 v[4:5], null, s2, s8, v[2:3]
	s_mul_i32 s2, s17, s8
	s_mul_hi_u32 s9, s16, s8
	s_mul_i32 s24, s16, s8
	s_lshl_b64 s[6:7], s[14:15], 3
	s_lshl_b64 s[16:17], s[0:1], 3
	s_add_i32 s9, s9, s2
	v_mad_u64_u32 v[5:6], null, s3, s8, v[5:6]
	s_add_u32 s18, s18, s20
	s_addc_u32 s19, s19, s21
	s_add_u32 s2, s10, s24
	s_addc_u32 s3, s11, s9
	v_lshl_or_b32 v2, v2, 5, v9
	v_mad_u64_u32 v[6:7], null, s14, v12, s[2:3]
	v_mad_u64_u32 v[14:15], null, s0, v16, v[4:5]
	v_mov_b32_e32 v9, v3
	v_mad_u64_u32 v[4:5], null, s15, v12, v[7:8]
	v_lshl_or_b32 v12, v12, 7, v13
	v_add_nc_u32_e32 v13, 0x400, v2
	v_mov_b32_e32 v2, v15
	v_add_co_u32 v5, vcc_lo, v6, v17
	v_add_co_ci_u32_e64 v6, null, 0, v4, vcc_lo
	v_mad_u64_u32 v[15:16], null, s1, v16, v[2:3]
	v_add_co_u32 v4, vcc_lo, s12, v5
	v_add_co_ci_u32_e64 v5, null, s13, v6, vcc_lo
	v_add_co_u32 v6, vcc_lo, s18, v14
	v_add_co_ci_u32_e64 v7, null, s19, v15, vcc_lo
	v_mov_b32_e32 v2, v3
	s_mov_b64 s[0:1], 0
.LBB489_2:                              ; =>This Inner Loop Header: Depth=1
	global_load_sbyte v14, v[4:5], off
	global_load_sbyte v15, v[6:7], off
	s_add_u32 s0, s0, 8
	s_addc_u32 s1, s1, 0
	v_add_co_u32 v6, vcc_lo, v6, s16
	v_cmp_lt_i64_e64 s2, s[0:1], s[22:23]
	v_add_co_ci_u32_e64 v7, null, s17, v7, vcc_lo
	v_add_co_u32 v4, vcc_lo, v4, s6
	v_add_co_ci_u32_e64 v5, null, s7, v5, vcc_lo
	s_and_b32 vcc_lo, exec_lo, s2
	s_waitcnt vmcnt(1)
	ds_write_b32 v12, v14
	s_waitcnt vmcnt(0)
	ds_write_b32 v13, v15
	s_waitcnt lgkmcnt(0)
	s_barrier
	buffer_gl0_inv
	ds_read_b128 v[14:17], v11
	ds_read2_b32 v[30:31], v10 offset1:16
	ds_read_b128 v[18:21], v11 offset:512
	ds_read2_b32 v[32:33], v10 offset0:32 offset1:48
	ds_read2_b32 v[34:35], v10 offset0:64 offset1:80
	;; [unrolled: 1-line block ×3, first 2 shown]
	ds_read_b128 v[22:25], v11 offset:16
	ds_read2_b32 v[38:39], v10 offset0:128 offset1:144
	ds_read_b128 v[26:29], v11 offset:528
	ds_read2_b32 v[40:41], v10 offset0:160 offset1:176
	ds_read2_b32 v[42:43], v10 offset0:192 offset1:208
	;; [unrolled: 1-line block ×3, first 2 shown]
	s_waitcnt lgkmcnt(0)
	s_barrier
	buffer_gl0_inv
	v_mul_lo_u32 v46, v14, v30
	v_mul_lo_u32 v14, v14, v31
	;; [unrolled: 1-line block ×16, first 2 shown]
	v_add3_u32 v2, v2, v46, v31
	v_add3_u32 v9, v9, v14, v15
	;; [unrolled: 1-line block ×4, first 2 shown]
	v_mul_lo_u32 v37, v22, v38
	v_mul_lo_u32 v22, v22, v39
	v_mul_lo_u32 v38, v26, v38
	v_mul_lo_u32 v26, v26, v39
	v_mul_lo_u32 v39, v23, v40
	v_mul_lo_u32 v23, v23, v41
	v_mul_lo_u32 v40, v27, v40
	v_mul_lo_u32 v27, v27, v41
	v_add3_u32 v2, v2, v33, v35
	v_add3_u32 v9, v9, v16, v17
	;; [unrolled: 1-line block ×4, first 2 shown]
	v_mul_lo_u32 v41, v24, v42
	v_mul_lo_u32 v24, v24, v43
	;; [unrolled: 1-line block ×8, first 2 shown]
	v_add3_u32 v2, v2, v37, v39
	v_add3_u32 v9, v9, v22, v23
	;; [unrolled: 1-line block ×8, first 2 shown]
	s_cbranch_vccnz .LBB489_2
.LBB489_3:
	s_clause 0x3
	s_load_dwordx4 s[12:15], s[4:5], 0x78
	s_load_dword s16, s[4:5], 0x18
	s_load_dword s9, s[4:5], 0x50
	s_load_dwordx8 s[0:7], s[4:5], 0x58
	v_add_co_u32 v7, s17, s20, v1
	v_add_co_ci_u32_e64 v10, null, s21, 0, s17
	v_add_co_u32 v5, s10, s10, v0
	v_add_co_ci_u32_e64 v6, null, s11, 0, s10
	v_lshlrev_b64 v[5:6], 2, v[5:6]
	s_waitcnt lgkmcnt(0)
	s_mul_i32 s11, s15, s8
	s_mul_hi_u32 s15, s14, s8
	s_mul_i32 s10, s14, s8
	v_mul_lo_u32 v4, v2, s16
	v_mul_lo_u32 v2, v9, s16
	v_mul_lo_u32 v1, v8, s16
	v_mul_lo_u32 v0, v3, s16
	s_add_i32 s11, s15, s11
	v_mul_lo_u32 v3, v10, s12
	v_mul_lo_u32 v8, v7, s13
	s_lshl_b64 s[10:11], s[10:11], 2
	s_add_u32 s6, s6, s10
	s_addc_u32 s7, s7, s11
	s_cmp_eq_u32 s9, 0
	s_mov_b32 s10, 0
	s_cbranch_scc1 .LBB489_7
; %bb.4:
	v_mul_lo_u32 v11, v10, s2
	v_mul_lo_u32 v12, v7, s3
	v_mad_u64_u32 v[9:10], null, v7, s2, 0
	s_mul_i32 s5, s5, s8
	s_mul_hi_u32 s11, s4, s8
	s_mul_i32 s4, s4, s8
	s_add_i32 s5, s11, s5
	s_lshl_b64 s[4:5], s[4:5], 2
	v_add3_u32 v10, v10, v12, v11
	s_add_u32 s0, s0, s4
	s_addc_u32 s1, s1, s5
	v_mad_u64_u32 v[11:12], null, v7, s12, 0
	v_lshlrev_b64 v[9:10], 2, v[9:10]
	v_add3_u32 v12, v12, v8, v3
	v_add_co_u32 v14, vcc_lo, s0, v9
	v_add_co_ci_u32_e64 v15, null, s1, v10, vcc_lo
	v_lshlrev_b64 v[11:12], 2, v[11:12]
	v_add_co_u32 v9, vcc_lo, v14, v5
	v_add_co_ci_u32_e64 v10, null, v15, v6, vcc_lo
	s_lshl_b64 s[0:1], s[2:3], 6
	v_add_co_u32 v16, vcc_lo, s6, v11
	global_load_dword v13, v[9:10], off
	v_add_co_ci_u32_e64 v17, null, s7, v12, vcc_lo
	s_waitcnt vmcnt(0)
	v_mad_u64_u32 v[11:12], null, v13, s9, v[4:5]
	v_add_co_u32 v12, vcc_lo, v16, v5
	v_add_co_ci_u32_e64 v13, null, v17, v6, vcc_lo
	global_store_dword v[12:13], v11, off
	global_load_dword v9, v[9:10], off offset:64
	v_add_co_u32 v11, vcc_lo, v14, s0
	v_add_co_ci_u32_e64 v14, null, s1, v15, vcc_lo
	s_lshl_b64 s[0:1], s[12:13], 6
	s_waitcnt vmcnt(0)
	v_mad_u64_u32 v[9:10], null, v9, s9, v[2:3]
	v_add_co_u32 v10, vcc_lo, v11, v5
	v_add_co_ci_u32_e64 v11, null, v14, v6, vcc_lo
	v_add_co_u32 v14, vcc_lo, v16, s0
	global_store_dword v[12:13], v9, off offset:64
	global_load_dword v9, v[10:11], off
	v_add_co_ci_u32_e64 v15, null, s1, v17, vcc_lo
	s_waitcnt vmcnt(0)
	v_mad_u64_u32 v[12:13], null, v9, s9, v[1:2]
	v_add_co_u32 v13, vcc_lo, v14, v5
	v_add_co_ci_u32_e64 v14, null, v15, v6, vcc_lo
	global_store_dword v[13:14], v12, off
	global_load_dword v9, v[10:11], off offset:64
	s_waitcnt vmcnt(0)
	v_mad_u64_u32 v[9:10], null, v9, s9, v[0:1]
	global_store_dword v[13:14], v9, off offset:64
	s_andn2_b32 vcc_lo, exec_lo, s10
	s_cbranch_vccnz .LBB489_6
.LBB489_5:
	v_mad_u64_u32 v[9:10], null, v7, s12, 0
	s_lshl_b64 s[0:1], s[12:13], 6
	v_add3_u32 v10, v10, v8, v3
	v_lshlrev_b64 v[7:8], 2, v[9:10]
	v_add_co_u32 v3, vcc_lo, s6, v7
	v_add_co_ci_u32_e64 v8, null, s7, v8, vcc_lo
	v_add_co_u32 v9, vcc_lo, v3, s0
	v_add_co_ci_u32_e64 v10, null, s1, v8, vcc_lo
	;; [unrolled: 2-line block ×4, first 2 shown]
	global_store_dword v[7:8], v4, off
	global_store_dword v[7:8], v2, off offset:64
	global_store_dword v[5:6], v1, off
	global_store_dword v[5:6], v0, off offset:64
.LBB489_6:
	s_endpgm
.LBB489_7:
	s_branch .LBB489_5
	.section	.rodata,"a",@progbits
	.p2align	6, 0x0
	.amdhsa_kernel _ZN12_GLOBAL__N_127rocblas_gemm_batched_kernelIiLi16ELi16ELi32ELi32ELi8ELi32ELi8ELi8ELi32ELc78ELc67EKaKiiEEvlllT_PT11_llS5_llS3_PT12_llPT13_lli
		.amdhsa_group_segment_fixed_size 2048
		.amdhsa_private_segment_fixed_size 0
		.amdhsa_kernarg_size 140
		.amdhsa_user_sgpr_count 6
		.amdhsa_user_sgpr_private_segment_buffer 1
		.amdhsa_user_sgpr_dispatch_ptr 0
		.amdhsa_user_sgpr_queue_ptr 0
		.amdhsa_user_sgpr_kernarg_segment_ptr 1
		.amdhsa_user_sgpr_dispatch_id 0
		.amdhsa_user_sgpr_flat_scratch_init 0
		.amdhsa_user_sgpr_private_segment_size 0
		.amdhsa_wavefront_size32 1
		.amdhsa_uses_dynamic_stack 0
		.amdhsa_system_sgpr_private_segment_wavefront_offset 0
		.amdhsa_system_sgpr_workgroup_id_x 1
		.amdhsa_system_sgpr_workgroup_id_y 1
		.amdhsa_system_sgpr_workgroup_id_z 1
		.amdhsa_system_sgpr_workgroup_info 0
		.amdhsa_system_vgpr_workitem_id 1
		.amdhsa_next_free_vgpr 47
		.amdhsa_next_free_sgpr 25
		.amdhsa_reserve_vcc 1
		.amdhsa_reserve_flat_scratch 0
		.amdhsa_float_round_mode_32 0
		.amdhsa_float_round_mode_16_64 0
		.amdhsa_float_denorm_mode_32 3
		.amdhsa_float_denorm_mode_16_64 3
		.amdhsa_dx10_clamp 1
		.amdhsa_ieee_mode 1
		.amdhsa_fp16_overflow 0
		.amdhsa_workgroup_processor_mode 1
		.amdhsa_memory_ordered 1
		.amdhsa_forward_progress 1
		.amdhsa_shared_vgpr_count 0
		.amdhsa_exception_fp_ieee_invalid_op 0
		.amdhsa_exception_fp_denorm_src 0
		.amdhsa_exception_fp_ieee_div_zero 0
		.amdhsa_exception_fp_ieee_overflow 0
		.amdhsa_exception_fp_ieee_underflow 0
		.amdhsa_exception_fp_ieee_inexact 0
		.amdhsa_exception_int_div_zero 0
	.end_amdhsa_kernel
	.section	.text._ZN12_GLOBAL__N_127rocblas_gemm_batched_kernelIiLi16ELi16ELi32ELi32ELi8ELi32ELi8ELi8ELi32ELc78ELc67EKaKiiEEvlllT_PT11_llS5_llS3_PT12_llPT13_lli,"axG",@progbits,_ZN12_GLOBAL__N_127rocblas_gemm_batched_kernelIiLi16ELi16ELi32ELi32ELi8ELi32ELi8ELi8ELi32ELc78ELc67EKaKiiEEvlllT_PT11_llS5_llS3_PT12_llPT13_lli,comdat
.Lfunc_end489:
	.size	_ZN12_GLOBAL__N_127rocblas_gemm_batched_kernelIiLi16ELi16ELi32ELi32ELi8ELi32ELi8ELi8ELi32ELc78ELc67EKaKiiEEvlllT_PT11_llS5_llS3_PT12_llPT13_lli, .Lfunc_end489-_ZN12_GLOBAL__N_127rocblas_gemm_batched_kernelIiLi16ELi16ELi32ELi32ELi8ELi32ELi8ELi8ELi32ELc78ELc67EKaKiiEEvlllT_PT11_llS5_llS3_PT12_llPT13_lli
                                        ; -- End function
	.set _ZN12_GLOBAL__N_127rocblas_gemm_batched_kernelIiLi16ELi16ELi32ELi32ELi8ELi32ELi8ELi8ELi32ELc78ELc67EKaKiiEEvlllT_PT11_llS5_llS3_PT12_llPT13_lli.num_vgpr, 47
	.set _ZN12_GLOBAL__N_127rocblas_gemm_batched_kernelIiLi16ELi16ELi32ELi32ELi8ELi32ELi8ELi8ELi32ELc78ELc67EKaKiiEEvlllT_PT11_llS5_llS3_PT12_llPT13_lli.num_agpr, 0
	.set _ZN12_GLOBAL__N_127rocblas_gemm_batched_kernelIiLi16ELi16ELi32ELi32ELi8ELi32ELi8ELi8ELi32ELc78ELc67EKaKiiEEvlllT_PT11_llS5_llS3_PT12_llPT13_lli.numbered_sgpr, 25
	.set _ZN12_GLOBAL__N_127rocblas_gemm_batched_kernelIiLi16ELi16ELi32ELi32ELi8ELi32ELi8ELi8ELi32ELc78ELc67EKaKiiEEvlllT_PT11_llS5_llS3_PT12_llPT13_lli.num_named_barrier, 0
	.set _ZN12_GLOBAL__N_127rocblas_gemm_batched_kernelIiLi16ELi16ELi32ELi32ELi8ELi32ELi8ELi8ELi32ELc78ELc67EKaKiiEEvlllT_PT11_llS5_llS3_PT12_llPT13_lli.private_seg_size, 0
	.set _ZN12_GLOBAL__N_127rocblas_gemm_batched_kernelIiLi16ELi16ELi32ELi32ELi8ELi32ELi8ELi8ELi32ELc78ELc67EKaKiiEEvlllT_PT11_llS5_llS3_PT12_llPT13_lli.uses_vcc, 1
	.set _ZN12_GLOBAL__N_127rocblas_gemm_batched_kernelIiLi16ELi16ELi32ELi32ELi8ELi32ELi8ELi8ELi32ELc78ELc67EKaKiiEEvlllT_PT11_llS5_llS3_PT12_llPT13_lli.uses_flat_scratch, 0
	.set _ZN12_GLOBAL__N_127rocblas_gemm_batched_kernelIiLi16ELi16ELi32ELi32ELi8ELi32ELi8ELi8ELi32ELc78ELc67EKaKiiEEvlllT_PT11_llS5_llS3_PT12_llPT13_lli.has_dyn_sized_stack, 0
	.set _ZN12_GLOBAL__N_127rocblas_gemm_batched_kernelIiLi16ELi16ELi32ELi32ELi8ELi32ELi8ELi8ELi32ELc78ELc67EKaKiiEEvlllT_PT11_llS5_llS3_PT12_llPT13_lli.has_recursion, 0
	.set _ZN12_GLOBAL__N_127rocblas_gemm_batched_kernelIiLi16ELi16ELi32ELi32ELi8ELi32ELi8ELi8ELi32ELc78ELc67EKaKiiEEvlllT_PT11_llS5_llS3_PT12_llPT13_lli.has_indirect_call, 0
	.section	.AMDGPU.csdata,"",@progbits
; Kernel info:
; codeLenInByte = 1576
; TotalNumSgprs: 27
; NumVgprs: 47
; ScratchSize: 0
; MemoryBound: 0
; FloatMode: 240
; IeeeMode: 1
; LDSByteSize: 2048 bytes/workgroup (compile time only)
; SGPRBlocks: 0
; VGPRBlocks: 5
; NumSGPRsForWavesPerEU: 27
; NumVGPRsForWavesPerEU: 47
; Occupancy: 16
; WaveLimiterHint : 0
; COMPUTE_PGM_RSRC2:SCRATCH_EN: 0
; COMPUTE_PGM_RSRC2:USER_SGPR: 6
; COMPUTE_PGM_RSRC2:TRAP_HANDLER: 0
; COMPUTE_PGM_RSRC2:TGID_X_EN: 1
; COMPUTE_PGM_RSRC2:TGID_Y_EN: 1
; COMPUTE_PGM_RSRC2:TGID_Z_EN: 1
; COMPUTE_PGM_RSRC2:TIDIG_COMP_CNT: 1
	.section	.text._ZN12_GLOBAL__N_127rocblas_gemm_batched_kernelIiLi16ELi16ELi32ELi32ELi8ELi32ELi8ELi8ELi32ELc84ELc67EKaKiiEEvlllT_PT11_llS5_llS3_PT12_llPT13_lli,"axG",@progbits,_ZN12_GLOBAL__N_127rocblas_gemm_batched_kernelIiLi16ELi16ELi32ELi32ELi8ELi32ELi8ELi8ELi32ELc84ELc67EKaKiiEEvlllT_PT11_llS5_llS3_PT12_llPT13_lli,comdat
	.globl	_ZN12_GLOBAL__N_127rocblas_gemm_batched_kernelIiLi16ELi16ELi32ELi32ELi8ELi32ELi8ELi8ELi32ELc84ELc67EKaKiiEEvlllT_PT11_llS5_llS3_PT12_llPT13_lli ; -- Begin function _ZN12_GLOBAL__N_127rocblas_gemm_batched_kernelIiLi16ELi16ELi32ELi32ELi8ELi32ELi8ELi8ELi32ELc84ELc67EKaKiiEEvlllT_PT11_llS5_llS3_PT12_llPT13_lli
	.p2align	8
	.type	_ZN12_GLOBAL__N_127rocblas_gemm_batched_kernelIiLi16ELi16ELi32ELi32ELi8ELi32ELi8ELi8ELi32ELc84ELc67EKaKiiEEvlllT_PT11_llS5_llS3_PT12_llPT13_lli,@function
_ZN12_GLOBAL__N_127rocblas_gemm_batched_kernelIiLi16ELi16ELi32ELi32ELi8ELi32ELi8ELi8ELi32ELc84ELc67EKaKiiEEvlllT_PT11_llS5_llS3_PT12_llPT13_lli: ; @_ZN12_GLOBAL__N_127rocblas_gemm_batched_kernelIiLi16ELi16ELi32ELi32ELi8ELi32ELi8ELi8ELi32ELc84ELc67EKaKiiEEvlllT_PT11_llS5_llS3_PT12_llPT13_lli
; %bb.0:
	s_load_dwordx2 s[22:23], s[4:5], 0x10
	s_mov_b32 s0, s7
	v_mov_b32_e32 v2, 0
	v_mov_b32_e32 v7, 0
	;; [unrolled: 1-line block ×4, first 2 shown]
	s_ashr_i32 s7, s6, 31
	s_ashr_i32 s1, s0, 31
	s_lshl_b64 s[10:11], s[6:7], 5
	s_lshl_b64 s[20:21], s[0:1], 5
	s_waitcnt lgkmcnt(0)
	v_cmp_lt_i64_e64 s2, s[22:23], 1
	s_and_b32 vcc_lo, exec_lo, s2
	s_cbranch_vccnz .LBB490_3
; %bb.1:
	s_load_dwordx4 s[0:3], s[4:5], 0x40
	v_lshl_add_u32 v6, v1, 4, v0
	v_mov_b32_e32 v3, 0
	s_load_dwordx8 s[12:19], s[4:5], 0x20
	v_and_b32_e32 v16, 7, v0
	v_lshlrev_b32_e32 v8, 2, v0
	v_lshrrev_b32_e32 v2, 3, v6
	v_and_b32_e32 v10, 31, v6
	v_lshrrev_b32_e32 v12, 5, v6
	v_mov_b32_e32 v6, v3
	v_lshlrev_b32_e32 v11, 2, v16
	v_mov_b32_e32 v13, v3
	v_lshlrev_b32_e32 v17, 2, v10
	v_lshl_add_u32 v9, v1, 5, 0x400
	v_mov_b32_e32 v7, v3
	s_waitcnt lgkmcnt(0)
	v_mad_u64_u32 v[4:5], null, s2, s8, v[2:3]
	v_lshl_or_b32 v2, v2, 5, v11
	s_mul_i32 s6, s17, s8
	s_mul_hi_u32 s7, s16, s8
	s_mul_i32 s9, s16, s8
	s_add_i32 s7, s7, s6
	v_add_nc_u32_e32 v11, 0x400, v2
	v_mad_u64_u32 v[14:15], null, s3, s8, v[5:6]
	v_add_co_u32 v15, s2, s10, v10
	v_add_co_ci_u32_e64 v18, null, s11, 0, s2
	v_lshl_or_b32 v10, v12, 7, v17
	v_mad_u64_u32 v[12:13], null, s14, v15, v[12:13]
	v_mov_b32_e32 v5, v14
	v_mul_lo_u32 v14, s14, v18
	v_mul_lo_u32 v15, s15, v15
	s_lshl_b64 s[2:3], s[0:1], 3
	v_mad_u64_u32 v[4:5], null, s0, v16, v[4:5]
	s_add_u32 s0, s18, s20
	s_addc_u32 s6, s19, s21
	s_add_u32 s9, s12, s9
	s_addc_u32 s7, s13, s7
	v_add_co_u32 v12, vcc_lo, s9, v12
	v_mov_b32_e32 v2, v5
	v_add3_u32 v5, v15, v13, v14
	v_mad_u64_u32 v[14:15], null, s1, v16, v[2:3]
	v_add_co_ci_u32_e64 v13, null, s7, v5, vcc_lo
	v_add_co_u32 v4, vcc_lo, s0, v4
	v_mov_b32_e32 v2, v3
	s_mov_b64 s[0:1], 0
	v_add_co_ci_u32_e64 v5, null, s6, v14, vcc_lo
.LBB490_2:                              ; =>This Inner Loop Header: Depth=1
	v_add_co_u32 v14, vcc_lo, v12, s0
	v_add_co_ci_u32_e64 v15, null, s1, v13, vcc_lo
	s_add_u32 s0, s0, 8
	s_addc_u32 s1, s1, 0
	global_load_sbyte v16, v[4:5], off
	global_load_sbyte v14, v[14:15], off
	v_cmp_lt_i64_e64 s6, s[0:1], s[22:23]
	v_add_co_u32 v4, vcc_lo, v4, s2
	v_add_co_ci_u32_e64 v5, null, s3, v5, vcc_lo
	s_waitcnt vmcnt(1)
	ds_write_b32 v11, v16
	s_waitcnt vmcnt(0)
	ds_write_b32 v10, v14
	s_waitcnt lgkmcnt(0)
	s_barrier
	buffer_gl0_inv
	ds_read_b128 v[14:17], v9
	ds_read2_b32 v[30:31], v8 offset1:16
	ds_read_b128 v[18:21], v9 offset:512
	ds_read2_b32 v[32:33], v8 offset0:32 offset1:48
	ds_read2_b32 v[34:35], v8 offset0:64 offset1:80
	;; [unrolled: 1-line block ×3, first 2 shown]
	ds_read_b128 v[22:25], v9 offset:16
	ds_read2_b32 v[38:39], v8 offset0:128 offset1:144
	ds_read_b128 v[26:29], v9 offset:528
	ds_read2_b32 v[40:41], v8 offset0:160 offset1:176
	ds_read2_b32 v[42:43], v8 offset0:192 offset1:208
	;; [unrolled: 1-line block ×3, first 2 shown]
	s_and_b32 vcc_lo, exec_lo, s6
	s_waitcnt lgkmcnt(0)
	s_barrier
	buffer_gl0_inv
	v_mul_lo_u32 v46, v14, v30
	v_mul_lo_u32 v14, v14, v31
	;; [unrolled: 1-line block ×16, first 2 shown]
	v_add3_u32 v2, v2, v46, v31
	v_add3_u32 v7, v7, v14, v15
	;; [unrolled: 1-line block ×4, first 2 shown]
	v_mul_lo_u32 v37, v22, v38
	v_mul_lo_u32 v22, v22, v39
	;; [unrolled: 1-line block ×8, first 2 shown]
	v_add3_u32 v2, v2, v33, v35
	v_add3_u32 v7, v7, v16, v17
	;; [unrolled: 1-line block ×4, first 2 shown]
	v_mul_lo_u32 v41, v24, v42
	v_mul_lo_u32 v24, v24, v43
	v_mul_lo_u32 v42, v28, v42
	v_mul_lo_u32 v28, v28, v43
	v_mul_lo_u32 v43, v25, v44
	v_mul_lo_u32 v25, v25, v45
	v_mul_lo_u32 v14, v29, v44
	v_mul_lo_u32 v15, v29, v45
	v_add3_u32 v2, v2, v37, v39
	v_add3_u32 v7, v7, v22, v23
	;; [unrolled: 1-line block ×8, first 2 shown]
	s_cbranch_vccnz .LBB490_2
.LBB490_3:
	s_clause 0x3
	s_load_dwordx4 s[12:15], s[4:5], 0x78
	s_load_dword s16, s[4:5], 0x18
	s_load_dword s9, s[4:5], 0x50
	s_load_dwordx8 s[0:7], s[4:5], 0x58
	v_add_co_u32 v8, s17, s20, v1
	v_add_co_ci_u32_e64 v9, null, s21, 0, s17
	v_add_co_u32 v10, s10, s10, v0
	v_add_co_ci_u32_e64 v11, null, s11, 0, s10
	s_waitcnt lgkmcnt(0)
	s_mul_i32 s11, s15, s8
	s_mul_hi_u32 s15, s14, s8
	s_mul_i32 s10, s14, s8
	v_mul_lo_u32 v4, v2, s16
	v_mul_lo_u32 v2, v7, s16
	;; [unrolled: 1-line block ×4, first 2 shown]
	s_add_i32 s11, s15, s11
	v_mul_lo_u32 v3, v9, s12
	v_mul_lo_u32 v7, v8, s13
	s_lshl_b64 s[10:11], s[10:11], 2
	v_lshlrev_b64 v[5:6], 2, v[10:11]
	s_add_u32 s6, s6, s10
	s_addc_u32 s7, s7, s11
	s_cmp_eq_u32 s9, 0
	s_mov_b32 s10, 0
	s_cbranch_scc1 .LBB490_7
; %bb.4:
	v_mul_lo_u32 v11, v9, s2
	v_mul_lo_u32 v12, v8, s3
	v_mad_u64_u32 v[9:10], null, v8, s2, 0
	s_mul_i32 s5, s5, s8
	s_mul_hi_u32 s11, s4, s8
	s_mul_i32 s4, s4, s8
	s_add_i32 s5, s11, s5
	s_lshl_b64 s[4:5], s[4:5], 2
	v_add3_u32 v10, v10, v12, v11
	s_add_u32 s0, s0, s4
	s_addc_u32 s1, s1, s5
	v_mad_u64_u32 v[11:12], null, v8, s12, 0
	v_lshlrev_b64 v[9:10], 2, v[9:10]
	v_add3_u32 v12, v12, v7, v3
	v_add_co_u32 v14, vcc_lo, s0, v9
	v_add_co_ci_u32_e64 v15, null, s1, v10, vcc_lo
	v_lshlrev_b64 v[11:12], 2, v[11:12]
	v_add_co_u32 v9, vcc_lo, v14, v5
	v_add_co_ci_u32_e64 v10, null, v15, v6, vcc_lo
	s_lshl_b64 s[0:1], s[2:3], 6
	v_add_co_u32 v16, vcc_lo, s6, v11
	global_load_dword v13, v[9:10], off
	v_add_co_ci_u32_e64 v17, null, s7, v12, vcc_lo
	s_waitcnt vmcnt(0)
	v_mad_u64_u32 v[11:12], null, v13, s9, v[4:5]
	v_add_co_u32 v12, vcc_lo, v16, v5
	v_add_co_ci_u32_e64 v13, null, v17, v6, vcc_lo
	global_store_dword v[12:13], v11, off
	global_load_dword v9, v[9:10], off offset:64
	v_add_co_u32 v11, vcc_lo, v14, s0
	v_add_co_ci_u32_e64 v14, null, s1, v15, vcc_lo
	s_lshl_b64 s[0:1], s[12:13], 6
	s_waitcnt vmcnt(0)
	v_mad_u64_u32 v[9:10], null, v9, s9, v[2:3]
	v_add_co_u32 v10, vcc_lo, v11, v5
	v_add_co_ci_u32_e64 v11, null, v14, v6, vcc_lo
	v_add_co_u32 v14, vcc_lo, v16, s0
	global_store_dword v[12:13], v9, off offset:64
	global_load_dword v9, v[10:11], off
	v_add_co_ci_u32_e64 v15, null, s1, v17, vcc_lo
	s_waitcnt vmcnt(0)
	v_mad_u64_u32 v[12:13], null, v9, s9, v[1:2]
	v_add_co_u32 v13, vcc_lo, v14, v5
	v_add_co_ci_u32_e64 v14, null, v15, v6, vcc_lo
	global_store_dword v[13:14], v12, off
	global_load_dword v9, v[10:11], off offset:64
	s_waitcnt vmcnt(0)
	v_mad_u64_u32 v[9:10], null, v9, s9, v[0:1]
	global_store_dword v[13:14], v9, off offset:64
	s_andn2_b32 vcc_lo, exec_lo, s10
	s_cbranch_vccnz .LBB490_6
.LBB490_5:
	v_mad_u64_u32 v[8:9], null, v8, s12, 0
	s_lshl_b64 s[0:1], s[12:13], 6
	v_add3_u32 v9, v9, v7, v3
	v_lshlrev_b64 v[7:8], 2, v[8:9]
	v_add_co_u32 v3, vcc_lo, s6, v7
	v_add_co_ci_u32_e64 v8, null, s7, v8, vcc_lo
	v_add_co_u32 v9, vcc_lo, v3, s0
	v_add_co_ci_u32_e64 v10, null, s1, v8, vcc_lo
	;; [unrolled: 2-line block ×4, first 2 shown]
	global_store_dword v[7:8], v4, off
	global_store_dword v[7:8], v2, off offset:64
	global_store_dword v[5:6], v1, off
	global_store_dword v[5:6], v0, off offset:64
.LBB490_6:
	s_endpgm
.LBB490_7:
	s_branch .LBB490_5
	.section	.rodata,"a",@progbits
	.p2align	6, 0x0
	.amdhsa_kernel _ZN12_GLOBAL__N_127rocblas_gemm_batched_kernelIiLi16ELi16ELi32ELi32ELi8ELi32ELi8ELi8ELi32ELc84ELc67EKaKiiEEvlllT_PT11_llS5_llS3_PT12_llPT13_lli
		.amdhsa_group_segment_fixed_size 2048
		.amdhsa_private_segment_fixed_size 0
		.amdhsa_kernarg_size 140
		.amdhsa_user_sgpr_count 6
		.amdhsa_user_sgpr_private_segment_buffer 1
		.amdhsa_user_sgpr_dispatch_ptr 0
		.amdhsa_user_sgpr_queue_ptr 0
		.amdhsa_user_sgpr_kernarg_segment_ptr 1
		.amdhsa_user_sgpr_dispatch_id 0
		.amdhsa_user_sgpr_flat_scratch_init 0
		.amdhsa_user_sgpr_private_segment_size 0
		.amdhsa_wavefront_size32 1
		.amdhsa_uses_dynamic_stack 0
		.amdhsa_system_sgpr_private_segment_wavefront_offset 0
		.amdhsa_system_sgpr_workgroup_id_x 1
		.amdhsa_system_sgpr_workgroup_id_y 1
		.amdhsa_system_sgpr_workgroup_id_z 1
		.amdhsa_system_sgpr_workgroup_info 0
		.amdhsa_system_vgpr_workitem_id 1
		.amdhsa_next_free_vgpr 47
		.amdhsa_next_free_sgpr 24
		.amdhsa_reserve_vcc 1
		.amdhsa_reserve_flat_scratch 0
		.amdhsa_float_round_mode_32 0
		.amdhsa_float_round_mode_16_64 0
		.amdhsa_float_denorm_mode_32 3
		.amdhsa_float_denorm_mode_16_64 3
		.amdhsa_dx10_clamp 1
		.amdhsa_ieee_mode 1
		.amdhsa_fp16_overflow 0
		.amdhsa_workgroup_processor_mode 1
		.amdhsa_memory_ordered 1
		.amdhsa_forward_progress 1
		.amdhsa_shared_vgpr_count 0
		.amdhsa_exception_fp_ieee_invalid_op 0
		.amdhsa_exception_fp_denorm_src 0
		.amdhsa_exception_fp_ieee_div_zero 0
		.amdhsa_exception_fp_ieee_overflow 0
		.amdhsa_exception_fp_ieee_underflow 0
		.amdhsa_exception_fp_ieee_inexact 0
		.amdhsa_exception_int_div_zero 0
	.end_amdhsa_kernel
	.section	.text._ZN12_GLOBAL__N_127rocblas_gemm_batched_kernelIiLi16ELi16ELi32ELi32ELi8ELi32ELi8ELi8ELi32ELc84ELc67EKaKiiEEvlllT_PT11_llS5_llS3_PT12_llPT13_lli,"axG",@progbits,_ZN12_GLOBAL__N_127rocblas_gemm_batched_kernelIiLi16ELi16ELi32ELi32ELi8ELi32ELi8ELi8ELi32ELc84ELc67EKaKiiEEvlllT_PT11_llS5_llS3_PT12_llPT13_lli,comdat
.Lfunc_end490:
	.size	_ZN12_GLOBAL__N_127rocblas_gemm_batched_kernelIiLi16ELi16ELi32ELi32ELi8ELi32ELi8ELi8ELi32ELc84ELc67EKaKiiEEvlllT_PT11_llS5_llS3_PT12_llPT13_lli, .Lfunc_end490-_ZN12_GLOBAL__N_127rocblas_gemm_batched_kernelIiLi16ELi16ELi32ELi32ELi8ELi32ELi8ELi8ELi32ELc84ELc67EKaKiiEEvlllT_PT11_llS5_llS3_PT12_llPT13_lli
                                        ; -- End function
	.set _ZN12_GLOBAL__N_127rocblas_gemm_batched_kernelIiLi16ELi16ELi32ELi32ELi8ELi32ELi8ELi8ELi32ELc84ELc67EKaKiiEEvlllT_PT11_llS5_llS3_PT12_llPT13_lli.num_vgpr, 47
	.set _ZN12_GLOBAL__N_127rocblas_gemm_batched_kernelIiLi16ELi16ELi32ELi32ELi8ELi32ELi8ELi8ELi32ELc84ELc67EKaKiiEEvlllT_PT11_llS5_llS3_PT12_llPT13_lli.num_agpr, 0
	.set _ZN12_GLOBAL__N_127rocblas_gemm_batched_kernelIiLi16ELi16ELi32ELi32ELi8ELi32ELi8ELi8ELi32ELc84ELc67EKaKiiEEvlllT_PT11_llS5_llS3_PT12_llPT13_lli.numbered_sgpr, 24
	.set _ZN12_GLOBAL__N_127rocblas_gemm_batched_kernelIiLi16ELi16ELi32ELi32ELi8ELi32ELi8ELi8ELi32ELc84ELc67EKaKiiEEvlllT_PT11_llS5_llS3_PT12_llPT13_lli.num_named_barrier, 0
	.set _ZN12_GLOBAL__N_127rocblas_gemm_batched_kernelIiLi16ELi16ELi32ELi32ELi8ELi32ELi8ELi8ELi32ELc84ELc67EKaKiiEEvlllT_PT11_llS5_llS3_PT12_llPT13_lli.private_seg_size, 0
	.set _ZN12_GLOBAL__N_127rocblas_gemm_batched_kernelIiLi16ELi16ELi32ELi32ELi8ELi32ELi8ELi8ELi32ELc84ELc67EKaKiiEEvlllT_PT11_llS5_llS3_PT12_llPT13_lli.uses_vcc, 1
	.set _ZN12_GLOBAL__N_127rocblas_gemm_batched_kernelIiLi16ELi16ELi32ELi32ELi8ELi32ELi8ELi8ELi32ELc84ELc67EKaKiiEEvlllT_PT11_llS5_llS3_PT12_llPT13_lli.uses_flat_scratch, 0
	.set _ZN12_GLOBAL__N_127rocblas_gemm_batched_kernelIiLi16ELi16ELi32ELi32ELi8ELi32ELi8ELi8ELi32ELc84ELc67EKaKiiEEvlllT_PT11_llS5_llS3_PT12_llPT13_lli.has_dyn_sized_stack, 0
	.set _ZN12_GLOBAL__N_127rocblas_gemm_batched_kernelIiLi16ELi16ELi32ELi32ELi8ELi32ELi8ELi8ELi32ELc84ELc67EKaKiiEEvlllT_PT11_llS5_llS3_PT12_llPT13_lli.has_recursion, 0
	.set _ZN12_GLOBAL__N_127rocblas_gemm_batched_kernelIiLi16ELi16ELi32ELi32ELi8ELi32ELi8ELi8ELi32ELc84ELc67EKaKiiEEvlllT_PT11_llS5_llS3_PT12_llPT13_lli.has_indirect_call, 0
	.section	.AMDGPU.csdata,"",@progbits
; Kernel info:
; codeLenInByte = 1592
; TotalNumSgprs: 26
; NumVgprs: 47
; ScratchSize: 0
; MemoryBound: 0
; FloatMode: 240
; IeeeMode: 1
; LDSByteSize: 2048 bytes/workgroup (compile time only)
; SGPRBlocks: 0
; VGPRBlocks: 5
; NumSGPRsForWavesPerEU: 26
; NumVGPRsForWavesPerEU: 47
; Occupancy: 16
; WaveLimiterHint : 0
; COMPUTE_PGM_RSRC2:SCRATCH_EN: 0
; COMPUTE_PGM_RSRC2:USER_SGPR: 6
; COMPUTE_PGM_RSRC2:TRAP_HANDLER: 0
; COMPUTE_PGM_RSRC2:TGID_X_EN: 1
; COMPUTE_PGM_RSRC2:TGID_Y_EN: 1
; COMPUTE_PGM_RSRC2:TGID_Z_EN: 1
; COMPUTE_PGM_RSRC2:TIDIG_COMP_CNT: 1
	.section	.text._ZN12_GLOBAL__N_135rocblas_gemm_batched_general_kernelIiLi16ELi16ELi32ELi32ELi8ELi32ELi8ELi8ELi32ELc78ELc78EKaKiiEEvlllT_PT11_llS5_llS3_PT12_llPT13_lli,"axG",@progbits,_ZN12_GLOBAL__N_135rocblas_gemm_batched_general_kernelIiLi16ELi16ELi32ELi32ELi8ELi32ELi8ELi8ELi32ELc78ELc78EKaKiiEEvlllT_PT11_llS5_llS3_PT12_llPT13_lli,comdat
	.globl	_ZN12_GLOBAL__N_135rocblas_gemm_batched_general_kernelIiLi16ELi16ELi32ELi32ELi8ELi32ELi8ELi8ELi32ELc78ELc78EKaKiiEEvlllT_PT11_llS5_llS3_PT12_llPT13_lli ; -- Begin function _ZN12_GLOBAL__N_135rocblas_gemm_batched_general_kernelIiLi16ELi16ELi32ELi32ELi8ELi32ELi8ELi8ELi32ELc78ELc78EKaKiiEEvlllT_PT11_llS5_llS3_PT12_llPT13_lli
	.p2align	8
	.type	_ZN12_GLOBAL__N_135rocblas_gemm_batched_general_kernelIiLi16ELi16ELi32ELi32ELi8ELi32ELi8ELi8ELi32ELc78ELc78EKaKiiEEvlllT_PT11_llS5_llS3_PT12_llPT13_lli,@function
_ZN12_GLOBAL__N_135rocblas_gemm_batched_general_kernelIiLi16ELi16ELi32ELi32ELi8ELi32ELi8ELi8ELi32ELc78ELc78EKaKiiEEvlllT_PT11_llS5_llS3_PT12_llPT13_lli: ; @_ZN12_GLOBAL__N_135rocblas_gemm_batched_general_kernelIiLi16ELi16ELi32ELi32ELi8ELi32ELi8ELi8ELi32ELc78ELc78EKaKiiEEvlllT_PT11_llS5_llS3_PT12_llPT13_lli
; %bb.0:
	s_clause 0x1
	s_load_dwordx2 s[24:25], s[4:5], 0x10
	s_load_dwordx4 s[20:23], s[4:5], 0x0
	s_mov_b32 s0, s7
	v_mov_b32_e32 v10, 0
	v_mov_b32_e32 v9, 0
	;; [unrolled: 1-line block ×4, first 2 shown]
	s_ashr_i32 s7, s6, 31
	s_ashr_i32 s1, s0, 31
	s_lshl_b64 s[6:7], s[6:7], 5
	s_lshl_b64 s[10:11], s[0:1], 5
	s_waitcnt lgkmcnt(0)
	v_cmp_lt_i64_e64 s2, s[24:25], 1
	s_and_b32 vcc_lo, exec_lo, s2
	s_cbranch_vccnz .LBB491_7
; %bb.1:
	s_clause 0x1
	s_load_dwordx4 s[0:3], s[4:5], 0x40
	s_load_dwordx8 s[12:19], s[4:5], 0x20
	v_lshl_add_u32 v2, v1, 4, v0
	v_mov_b32_e32 v3, s7
	v_and_b32_e32 v4, 7, v0
	v_mov_b32_e32 v7, 0
	v_lshl_add_u32 v13, v1, 5, 0x400
	v_lshrrev_b32_e32 v6, 3, v2
	v_lshrrev_b32_e32 v5, 5, v2
	v_and_b32_e32 v10, 31, v2
	v_lshlrev_b32_e32 v11, 2, v4
	v_add_co_u32 v8, s9, v6, s10
	v_add_co_ci_u32_e64 v9, null, 0, s11, s9
	v_or_b32_e32 v2, s6, v10
	v_lshlrev_b32_e32 v12, 2, v10
	v_lshl_or_b32 v11, v6, 5, v11
	s_waitcnt lgkmcnt(0)
	s_mul_i32 s3, s3, s8
	s_mul_hi_u32 s9, s2, s8
	s_mul_i32 s17, s17, s8
	s_mul_hi_u32 s26, s16, s8
	s_mul_i32 s16, s16, s8
	s_add_i32 s3, s9, s3
	s_add_i32 s26, s26, s17
	s_add_u32 s16, s6, s16
	s_addc_u32 s17, s7, s26
	s_mul_i32 s2, s2, s8
	v_mad_u64_u32 v[14:15], null, s14, v5, s[16:17]
	v_mad_u64_u32 v[16:17], null, s0, v8, s[2:3]
	v_mul_lo_u32 v18, s0, v9
	v_mul_lo_u32 v19, s1, v8
	v_cmp_gt_i64_e64 s0, s[20:21], v[2:3]
	v_cmp_gt_i64_e64 s1, s[22:23], v[8:9]
	v_mov_b32_e32 v2, v15
	v_lshl_or_b32 v6, v5, 7, v12
	v_add_nc_u32_e32 v11, 0x400, v11
	v_lshlrev_b32_e32 v12, 2, v0
	s_lshl_b64 s[2:3], s[14:15], 3
	v_mad_u64_u32 v[2:3], null, s15, v5, v[2:3]
	v_add3_u32 v8, v19, v17, v18
	v_add_co_u32 v3, vcc_lo, v16, v4
	v_add_co_ci_u32_e64 v8, null, 0, v8, vcc_lo
	v_add_co_u32 v9, vcc_lo, v14, v10
	v_add_co_ci_u32_e64 v10, null, 0, v2, vcc_lo
	;; [unrolled: 2-line block ×4, first 2 shown]
	v_mov_b32_e32 v8, 0
	v_mov_b32_e32 v9, 0
	;; [unrolled: 1-line block ×3, first 2 shown]
	s_mov_b64 s[12:13], 0
	s_branch .LBB491_3
.LBB491_2:                              ;   in Loop: Header=BB491_3 Depth=1
	s_or_b32 exec_lo, exec_lo, s9
	s_waitcnt vmcnt(0)
	ds_write_b32 v11, v17
	s_waitcnt lgkmcnt(0)
	s_barrier
	buffer_gl0_inv
	ds_read_b128 v[16:19], v13
	ds_read2_b32 v[32:33], v12 offset1:16
	ds_read_b128 v[20:23], v13 offset:512
	ds_read2_b32 v[34:35], v12 offset0:32 offset1:48
	ds_read2_b32 v[36:37], v12 offset0:64 offset1:80
	;; [unrolled: 1-line block ×3, first 2 shown]
	ds_read_b128 v[24:27], v13 offset:16
	ds_read2_b32 v[40:41], v12 offset0:128 offset1:144
	ds_read_b128 v[28:31], v13 offset:528
	ds_read2_b32 v[42:43], v12 offset0:160 offset1:176
	s_add_u32 s12, s12, 8
	s_addc_u32 s13, s13, 0
	v_add_co_u32 v2, vcc_lo, v2, s2
	v_cmp_lt_i64_e64 s9, s[12:13], s[24:25]
	v_add_co_ci_u32_e64 v3, null, s3, v3, vcc_lo
	s_and_b32 vcc_lo, exec_lo, s9
	s_waitcnt lgkmcnt(8)
	v_mul_lo_u32 v44, v16, v32
	v_mul_lo_u32 v16, v16, v33
	s_waitcnt lgkmcnt(7)
	v_mul_lo_u32 v32, v20, v32
	v_mul_lo_u32 v20, v20, v33
	;; [unrolled: 3-line block ×3, first 2 shown]
	v_mul_lo_u32 v34, v21, v34
	v_mul_lo_u32 v21, v21, v35
	s_waitcnt lgkmcnt(5)
	v_mul_lo_u32 v35, v18, v36
	v_mul_lo_u32 v18, v18, v37
	;; [unrolled: 1-line block ×4, first 2 shown]
	v_add3_u32 v33, v10, v44, v33
	v_add3_u32 v44, v9, v16, v17
	ds_read2_b32 v[9:10], v12 offset0:192 offset1:208
	ds_read2_b32 v[16:17], v12 offset0:224 offset1:240
	s_waitcnt lgkmcnt(6)
	v_mul_lo_u32 v37, v19, v38
	v_mul_lo_u32 v19, v19, v39
	;; [unrolled: 1-line block ×4, first 2 shown]
	v_add3_u32 v7, v7, v20, v21
	s_waitcnt lgkmcnt(4)
	v_mul_lo_u32 v20, v24, v40
	s_waitcnt lgkmcnt(2)
	v_mul_lo_u32 v21, v25, v42
	v_add3_u32 v8, v8, v32, v34
	v_add3_u32 v32, v33, v35, v37
	;; [unrolled: 1-line block ×3, first 2 shown]
	v_mul_lo_u32 v19, v24, v41
	v_add3_u32 v7, v7, v22, v23
	v_mul_lo_u32 v22, v28, v40
	v_mul_lo_u32 v23, v28, v41
	v_add3_u32 v20, v32, v20, v21
	v_mul_lo_u32 v21, v25, v43
	v_mul_lo_u32 v24, v29, v42
	;; [unrolled: 1-line block ×3, first 2 shown]
	v_add3_u32 v8, v8, v36, v38
	s_waitcnt lgkmcnt(1)
	v_mul_lo_u32 v28, v26, v9
	v_mul_lo_u32 v26, v26, v10
	;; [unrolled: 1-line block ×4, first 2 shown]
	s_waitcnt lgkmcnt(0)
	v_mul_lo_u32 v9, v27, v16
	v_mul_lo_u32 v27, v27, v17
	;; [unrolled: 1-line block ×4, first 2 shown]
	v_add3_u32 v18, v18, v19, v21
	v_add3_u32 v8, v8, v22, v24
	;; [unrolled: 1-line block ×7, first 2 shown]
	s_barrier
	buffer_gl0_inv
	s_cbranch_vccz .LBB491_7
.LBB491_3:                              ; =>This Inner Loop Header: Depth=1
	v_add_co_u32 v16, s9, v5, s12
	v_add_co_ci_u32_e64 v17, null, 0, s13, s9
	v_cmp_gt_i64_e32 vcc_lo, s[24:25], v[16:17]
	v_mov_b32_e32 v16, 0
	s_and_b32 s14, s0, vcc_lo
	s_and_saveexec_b32 s9, s14
	s_cbranch_execz .LBB491_5
; %bb.4:                                ;   in Loop: Header=BB491_3 Depth=1
	global_load_sbyte v16, v[2:3], off
.LBB491_5:                              ;   in Loop: Header=BB491_3 Depth=1
	s_or_b32 exec_lo, exec_lo, s9
	v_add_co_u32 v17, s9, v4, s12
	v_add_co_ci_u32_e64 v18, null, 0, s13, s9
	s_waitcnt vmcnt(0)
	ds_write_b32 v6, v16
	v_cmp_gt_i64_e32 vcc_lo, s[24:25], v[17:18]
	v_mov_b32_e32 v17, 0
	s_and_b32 s14, vcc_lo, s1
	s_and_saveexec_b32 s9, s14
	s_cbranch_execz .LBB491_2
; %bb.6:                                ;   in Loop: Header=BB491_3 Depth=1
	v_add_co_u32 v16, vcc_lo, v14, s12
	v_add_co_ci_u32_e64 v17, null, s13, v15, vcc_lo
	global_load_sbyte v17, v[16:17], off
	s_branch .LBB491_2
.LBB491_7:
	s_clause 0x3
	s_load_dwordx4 s[24:27], s[4:5], 0x78
	s_load_dwordx8 s[12:19], s[4:5], 0x58
	s_load_dword s9, s[4:5], 0x50
	s_load_dword s3, s[4:5], 0x18
	v_add_co_u32 v1, s2, s10, v1
	v_add_co_ci_u32_e64 v2, null, s11, 0, s2
	s_waitcnt lgkmcnt(0)
	s_mul_i32 s0, s27, s8
	s_mul_hi_u32 s1, s26, s8
	s_add_i32 s1, s1, s0
	s_mul_i32 s0, s26, s8
	s_lshl_b64 s[4:5], s[0:1], 2
	v_cmp_gt_i64_e64 s0, s[22:23], v[1:2]
	s_add_u32 s4, s18, s4
	s_addc_u32 s5, s19, s5
	s_cmp_eq_u32 s9, 0
	s_cbranch_scc1 .LBB491_20
; %bb.8:
	s_and_saveexec_b32 s10, s0
	s_cbranch_execz .LBB491_18
; %bb.9:
	v_mul_lo_u32 v5, v2, s14
	v_mul_lo_u32 v6, v1, s15
	v_mad_u64_u32 v[3:4], null, v1, s14, 0
	v_mul_lo_u32 v13, v2, s24
	v_mul_lo_u32 v14, v1, s25
	v_mad_u64_u32 v[11:12], null, v1, s24, 0
	s_mul_i32 s1, s17, s8
	s_mul_hi_u32 s2, s16, s8
	v_add3_u32 v4, v4, v6, v5
	s_add_i32 s17, s2, s1
	s_mul_i32 s16, s16, s8
	v_add_co_u32 v5, s1, s6, v0
	v_add3_u32 v12, v12, v14, v13
	v_lshlrev_b64 v[3:4], 2, v[3:4]
	s_lshl_b64 s[16:17], s[16:17], 2
	v_add_co_ci_u32_e64 v6, null, s7, 0, s1
	v_lshlrev_b64 v[13:14], 2, v[11:12]
	s_add_u32 s1, s12, s16
	s_addc_u32 s2, s13, s17
	v_add_co_u32 v11, s1, s1, v3
	v_add_co_ci_u32_e64 v12, null, s2, v4, s1
	v_add_co_u32 v13, s1, s4, v13
	v_cmp_gt_i64_e32 vcc_lo, s[20:21], v[5:6]
	v_lshlrev_b64 v[3:4], 2, v[5:6]
	v_add_co_ci_u32_e64 v14, null, s5, v14, s1
	s_and_saveexec_b32 s2, vcc_lo
	s_cbranch_execz .LBB491_11
; %bb.10:
	v_add_co_u32 v15, s1, v11, v3
	v_add_co_ci_u32_e64 v16, null, v12, v4, s1
	global_load_dword v16, v[15:16], off
	v_mul_lo_u32 v15, v10, s3
	s_waitcnt vmcnt(0)
	v_mad_u64_u32 v[15:16], null, v16, s9, v[15:16]
	v_add_co_u32 v16, s1, v13, v3
	v_add_co_ci_u32_e64 v17, null, v14, v4, s1
	global_store_dword v[16:17], v15, off
.LBB491_11:
	s_or_b32 exec_lo, exec_lo, s2
	v_add_co_u32 v5, s1, v5, 16
	v_add_co_ci_u32_e64 v6, null, 0, v6, s1
	v_cmp_gt_i64_e64 s1, s[20:21], v[5:6]
	s_and_saveexec_b32 s8, s1
	s_cbranch_execz .LBB491_13
; %bb.12:
	v_add_co_u32 v5, s2, v11, v3
	v_add_co_ci_u32_e64 v6, null, v12, v4, s2
	v_add_co_u32 v15, s2, v13, v3
	v_add_co_ci_u32_e64 v16, null, v14, v4, s2
	global_load_dword v6, v[5:6], off offset:64
	v_mul_lo_u32 v5, v9, s3
	s_waitcnt vmcnt(0)
	v_mad_u64_u32 v[5:6], null, v6, s9, v[5:6]
	global_store_dword v[15:16], v5, off offset:64
.LBB491_13:
	s_or_b32 exec_lo, exec_lo, s8
	v_add_co_u32 v5, s2, v1, 16
	v_add_co_ci_u32_e64 v6, null, 0, v2, s2
	v_cmp_gt_i64_e64 s2, s[22:23], v[5:6]
	s_and_b32 exec_lo, exec_lo, s2
	s_cbranch_execz .LBB491_18
; %bb.14:
	s_lshl_b64 s[12:13], s[14:15], 6
	v_add_co_u32 v5, s2, v11, s12
	v_add_co_ci_u32_e64 v6, null, s13, v12, s2
	s_lshl_b64 s[12:13], s[24:25], 6
	v_add_co_u32 v11, s2, v13, s12
	v_add_co_ci_u32_e64 v12, null, s13, v14, s2
	v_add_co_u32 v5, s2, v5, v3
	v_add_co_ci_u32_e64 v6, null, v6, v4, s2
	;; [unrolled: 2-line block ×3, first 2 shown]
	s_and_saveexec_b32 s2, vcc_lo
	s_cbranch_execz .LBB491_16
; %bb.15:
	global_load_dword v12, v[5:6], off
	v_mul_lo_u32 v11, v8, s3
	s_waitcnt vmcnt(0)
	v_mad_u64_u32 v[11:12], null, v12, s9, v[11:12]
	global_store_dword v[3:4], v11, off
.LBB491_16:
	s_or_b32 exec_lo, exec_lo, s2
	s_and_b32 exec_lo, exec_lo, s1
	s_cbranch_execz .LBB491_18
; %bb.17:
	global_load_dword v6, v[5:6], off offset:64
	v_mul_lo_u32 v5, v7, s3
	s_waitcnt vmcnt(0)
	v_mad_u64_u32 v[5:6], null, v6, s9, v[5:6]
	global_store_dword v[3:4], v5, off offset:64
.LBB491_18:
	s_or_b32 exec_lo, exec_lo, s10
	s_cbranch_execz .LBB491_21
.LBB491_19:
	s_endpgm
.LBB491_20:
.LBB491_21:
	s_and_saveexec_b32 s1, s0
	s_cbranch_execz .LBB491_19
; %bb.22:
	v_mul_lo_u32 v5, v2, s24
	v_mul_lo_u32 v6, v1, s25
	v_mad_u64_u32 v[3:4], null, v1, s24, 0
	v_add3_u32 v4, v4, v6, v5
	v_add_co_u32 v5, s0, s6, v0
	v_add_co_ci_u32_e64 v6, null, s7, 0, s0
	v_lshlrev_b64 v[11:12], 2, v[3:4]
	v_cmp_gt_i64_e32 vcc_lo, s[20:21], v[5:6]
	v_lshlrev_b64 v[3:4], 2, v[5:6]
	v_add_co_u32 v0, s0, s4, v11
	v_add_co_ci_u32_e64 v11, null, s5, v12, s0
	s_and_saveexec_b32 s1, vcc_lo
	s_cbranch_execz .LBB491_24
; %bb.23:
	v_mul_lo_u32 v10, v10, s3
	v_add_co_u32 v12, s0, v0, v3
	v_add_co_ci_u32_e64 v13, null, v11, v4, s0
	global_store_dword v[12:13], v10, off
.LBB491_24:
	s_or_b32 exec_lo, exec_lo, s1
	v_add_co_u32 v5, s0, v5, 16
	v_add_co_ci_u32_e64 v6, null, 0, v6, s0
	v_cmp_gt_i64_e64 s0, s[20:21], v[5:6]
	s_and_saveexec_b32 s2, s0
	s_cbranch_execz .LBB491_26
; %bb.25:
	v_mul_lo_u32 v9, v9, s3
	v_add_co_u32 v5, s1, v0, v3
	v_add_co_ci_u32_e64 v6, null, v11, v4, s1
	global_store_dword v[5:6], v9, off offset:64
.LBB491_26:
	s_or_b32 exec_lo, exec_lo, s2
	v_add_co_u32 v1, s1, v1, 16
	v_add_co_ci_u32_e64 v2, null, 0, v2, s1
	v_cmp_gt_i64_e64 s1, s[22:23], v[1:2]
	s_and_b32 exec_lo, exec_lo, s1
	s_cbranch_execz .LBB491_19
; %bb.27:
	s_lshl_b64 s[4:5], s[24:25], 6
	v_add_co_u32 v0, s1, v0, s4
	v_add_co_ci_u32_e64 v1, null, s5, v11, s1
	v_add_co_u32 v0, s1, v0, v3
	v_add_co_ci_u32_e64 v1, null, v1, v4, s1
	s_and_saveexec_b32 s1, vcc_lo
	s_cbranch_execz .LBB491_29
; %bb.28:
	v_mul_lo_u32 v2, v8, s3
	global_store_dword v[0:1], v2, off
.LBB491_29:
	s_or_b32 exec_lo, exec_lo, s1
	s_and_b32 exec_lo, exec_lo, s0
	s_cbranch_execz .LBB491_19
; %bb.30:
	v_mul_lo_u32 v2, v7, s3
	global_store_dword v[0:1], v2, off offset:64
	s_endpgm
	.section	.rodata,"a",@progbits
	.p2align	6, 0x0
	.amdhsa_kernel _ZN12_GLOBAL__N_135rocblas_gemm_batched_general_kernelIiLi16ELi16ELi32ELi32ELi8ELi32ELi8ELi8ELi32ELc78ELc78EKaKiiEEvlllT_PT11_llS5_llS3_PT12_llPT13_lli
		.amdhsa_group_segment_fixed_size 2048
		.amdhsa_private_segment_fixed_size 0
		.amdhsa_kernarg_size 140
		.amdhsa_user_sgpr_count 6
		.amdhsa_user_sgpr_private_segment_buffer 1
		.amdhsa_user_sgpr_dispatch_ptr 0
		.amdhsa_user_sgpr_queue_ptr 0
		.amdhsa_user_sgpr_kernarg_segment_ptr 1
		.amdhsa_user_sgpr_dispatch_id 0
		.amdhsa_user_sgpr_flat_scratch_init 0
		.amdhsa_user_sgpr_private_segment_size 0
		.amdhsa_wavefront_size32 1
		.amdhsa_uses_dynamic_stack 0
		.amdhsa_system_sgpr_private_segment_wavefront_offset 0
		.amdhsa_system_sgpr_workgroup_id_x 1
		.amdhsa_system_sgpr_workgroup_id_y 1
		.amdhsa_system_sgpr_workgroup_id_z 1
		.amdhsa_system_sgpr_workgroup_info 0
		.amdhsa_system_vgpr_workitem_id 1
		.amdhsa_next_free_vgpr 45
		.amdhsa_next_free_sgpr 28
		.amdhsa_reserve_vcc 1
		.amdhsa_reserve_flat_scratch 0
		.amdhsa_float_round_mode_32 0
		.amdhsa_float_round_mode_16_64 0
		.amdhsa_float_denorm_mode_32 3
		.amdhsa_float_denorm_mode_16_64 3
		.amdhsa_dx10_clamp 1
		.amdhsa_ieee_mode 1
		.amdhsa_fp16_overflow 0
		.amdhsa_workgroup_processor_mode 1
		.amdhsa_memory_ordered 1
		.amdhsa_forward_progress 1
		.amdhsa_shared_vgpr_count 0
		.amdhsa_exception_fp_ieee_invalid_op 0
		.amdhsa_exception_fp_denorm_src 0
		.amdhsa_exception_fp_ieee_div_zero 0
		.amdhsa_exception_fp_ieee_overflow 0
		.amdhsa_exception_fp_ieee_underflow 0
		.amdhsa_exception_fp_ieee_inexact 0
		.amdhsa_exception_int_div_zero 0
	.end_amdhsa_kernel
	.section	.text._ZN12_GLOBAL__N_135rocblas_gemm_batched_general_kernelIiLi16ELi16ELi32ELi32ELi8ELi32ELi8ELi8ELi32ELc78ELc78EKaKiiEEvlllT_PT11_llS5_llS3_PT12_llPT13_lli,"axG",@progbits,_ZN12_GLOBAL__N_135rocblas_gemm_batched_general_kernelIiLi16ELi16ELi32ELi32ELi8ELi32ELi8ELi8ELi32ELc78ELc78EKaKiiEEvlllT_PT11_llS5_llS3_PT12_llPT13_lli,comdat
.Lfunc_end491:
	.size	_ZN12_GLOBAL__N_135rocblas_gemm_batched_general_kernelIiLi16ELi16ELi32ELi32ELi8ELi32ELi8ELi8ELi32ELc78ELc78EKaKiiEEvlllT_PT11_llS5_llS3_PT12_llPT13_lli, .Lfunc_end491-_ZN12_GLOBAL__N_135rocblas_gemm_batched_general_kernelIiLi16ELi16ELi32ELi32ELi8ELi32ELi8ELi8ELi32ELc78ELc78EKaKiiEEvlllT_PT11_llS5_llS3_PT12_llPT13_lli
                                        ; -- End function
	.set _ZN12_GLOBAL__N_135rocblas_gemm_batched_general_kernelIiLi16ELi16ELi32ELi32ELi8ELi32ELi8ELi8ELi32ELc78ELc78EKaKiiEEvlllT_PT11_llS5_llS3_PT12_llPT13_lli.num_vgpr, 45
	.set _ZN12_GLOBAL__N_135rocblas_gemm_batched_general_kernelIiLi16ELi16ELi32ELi32ELi8ELi32ELi8ELi8ELi32ELc78ELc78EKaKiiEEvlllT_PT11_llS5_llS3_PT12_llPT13_lli.num_agpr, 0
	.set _ZN12_GLOBAL__N_135rocblas_gemm_batched_general_kernelIiLi16ELi16ELi32ELi32ELi8ELi32ELi8ELi8ELi32ELc78ELc78EKaKiiEEvlllT_PT11_llS5_llS3_PT12_llPT13_lli.numbered_sgpr, 28
	.set _ZN12_GLOBAL__N_135rocblas_gemm_batched_general_kernelIiLi16ELi16ELi32ELi32ELi8ELi32ELi8ELi8ELi32ELc78ELc78EKaKiiEEvlllT_PT11_llS5_llS3_PT12_llPT13_lli.num_named_barrier, 0
	.set _ZN12_GLOBAL__N_135rocblas_gemm_batched_general_kernelIiLi16ELi16ELi32ELi32ELi8ELi32ELi8ELi8ELi32ELc78ELc78EKaKiiEEvlllT_PT11_llS5_llS3_PT12_llPT13_lli.private_seg_size, 0
	.set _ZN12_GLOBAL__N_135rocblas_gemm_batched_general_kernelIiLi16ELi16ELi32ELi32ELi8ELi32ELi8ELi8ELi32ELc78ELc78EKaKiiEEvlllT_PT11_llS5_llS3_PT12_llPT13_lli.uses_vcc, 1
	.set _ZN12_GLOBAL__N_135rocblas_gemm_batched_general_kernelIiLi16ELi16ELi32ELi32ELi8ELi32ELi8ELi8ELi32ELc78ELc78EKaKiiEEvlllT_PT11_llS5_llS3_PT12_llPT13_lli.uses_flat_scratch, 0
	.set _ZN12_GLOBAL__N_135rocblas_gemm_batched_general_kernelIiLi16ELi16ELi32ELi32ELi8ELi32ELi8ELi8ELi32ELc78ELc78EKaKiiEEvlllT_PT11_llS5_llS3_PT12_llPT13_lli.has_dyn_sized_stack, 0
	.set _ZN12_GLOBAL__N_135rocblas_gemm_batched_general_kernelIiLi16ELi16ELi32ELi32ELi8ELi32ELi8ELi8ELi32ELc78ELc78EKaKiiEEvlllT_PT11_llS5_llS3_PT12_llPT13_lli.has_recursion, 0
	.set _ZN12_GLOBAL__N_135rocblas_gemm_batched_general_kernelIiLi16ELi16ELi32ELi32ELi8ELi32ELi8ELi8ELi32ELc78ELc78EKaKiiEEvlllT_PT11_llS5_llS3_PT12_llPT13_lli.has_indirect_call, 0
	.section	.AMDGPU.csdata,"",@progbits
; Kernel info:
; codeLenInByte = 2116
; TotalNumSgprs: 30
; NumVgprs: 45
; ScratchSize: 0
; MemoryBound: 0
; FloatMode: 240
; IeeeMode: 1
; LDSByteSize: 2048 bytes/workgroup (compile time only)
; SGPRBlocks: 0
; VGPRBlocks: 5
; NumSGPRsForWavesPerEU: 30
; NumVGPRsForWavesPerEU: 45
; Occupancy: 16
; WaveLimiterHint : 0
; COMPUTE_PGM_RSRC2:SCRATCH_EN: 0
; COMPUTE_PGM_RSRC2:USER_SGPR: 6
; COMPUTE_PGM_RSRC2:TRAP_HANDLER: 0
; COMPUTE_PGM_RSRC2:TGID_X_EN: 1
; COMPUTE_PGM_RSRC2:TGID_Y_EN: 1
; COMPUTE_PGM_RSRC2:TGID_Z_EN: 1
; COMPUTE_PGM_RSRC2:TIDIG_COMP_CNT: 1
	.section	.text._ZN12_GLOBAL__N_135rocblas_gemm_batched_general_kernelIiLi16ELi16ELi32ELi32ELi8ELi32ELi8ELi8ELi32ELc84ELc78EKaKiiEEvlllT_PT11_llS5_llS3_PT12_llPT13_lli,"axG",@progbits,_ZN12_GLOBAL__N_135rocblas_gemm_batched_general_kernelIiLi16ELi16ELi32ELi32ELi8ELi32ELi8ELi8ELi32ELc84ELc78EKaKiiEEvlllT_PT11_llS5_llS3_PT12_llPT13_lli,comdat
	.globl	_ZN12_GLOBAL__N_135rocblas_gemm_batched_general_kernelIiLi16ELi16ELi32ELi32ELi8ELi32ELi8ELi8ELi32ELc84ELc78EKaKiiEEvlllT_PT11_llS5_llS3_PT12_llPT13_lli ; -- Begin function _ZN12_GLOBAL__N_135rocblas_gemm_batched_general_kernelIiLi16ELi16ELi32ELi32ELi8ELi32ELi8ELi8ELi32ELc84ELc78EKaKiiEEvlllT_PT11_llS5_llS3_PT12_llPT13_lli
	.p2align	8
	.type	_ZN12_GLOBAL__N_135rocblas_gemm_batched_general_kernelIiLi16ELi16ELi32ELi32ELi8ELi32ELi8ELi8ELi32ELc84ELc78EKaKiiEEvlllT_PT11_llS5_llS3_PT12_llPT13_lli,@function
_ZN12_GLOBAL__N_135rocblas_gemm_batched_general_kernelIiLi16ELi16ELi32ELi32ELi8ELi32ELi8ELi8ELi32ELc84ELc78EKaKiiEEvlllT_PT11_llS5_llS3_PT12_llPT13_lli: ; @_ZN12_GLOBAL__N_135rocblas_gemm_batched_general_kernelIiLi16ELi16ELi32ELi32ELi8ELi32ELi8ELi8ELi32ELc84ELc78EKaKiiEEvlllT_PT11_llS5_llS3_PT12_llPT13_lli
; %bb.0:
	s_clause 0x1
	s_load_dwordx2 s[10:11], s[4:5], 0x10
	s_load_dwordx4 s[20:23], s[4:5], 0x0
	s_mov_b32 s0, s7
	v_mov_b32_e32 v10, 0
	v_mov_b32_e32 v9, 0
	;; [unrolled: 1-line block ×4, first 2 shown]
	s_ashr_i32 s7, s6, 31
	s_ashr_i32 s1, s0, 31
	s_lshl_b64 s[6:7], s[6:7], 5
	s_waitcnt lgkmcnt(0)
	v_cmp_lt_i64_e64 s2, s[10:11], 1
	s_and_b32 vcc_lo, exec_lo, s2
	s_lshl_b64 s[2:3], s[0:1], 5
	s_cbranch_vccnz .LBB492_7
; %bb.1:
	s_clause 0x1
	s_load_dwordx4 s[24:27], s[4:5], 0x40
	s_load_dwordx8 s[12:19], s[4:5], 0x20
	v_lshl_add_u32 v5, v1, 4, v0
	v_and_b32_e32 v4, 7, v0
	v_mov_b32_e32 v6, s7
	v_mov_b32_e32 v3, 0
	v_lshrrev_b32_e32 v9, 3, v5
	v_and_b32_e32 v11, 31, v5
	v_lshrrev_b32_e32 v2, 5, v5
	v_lshlrev_b32_e32 v10, 2, v4
	v_or_b32_e32 v5, s6, v11
	v_lshlrev_b32_e32 v12, 2, v11
	s_waitcnt lgkmcnt(0)
	s_mul_i32 s0, s27, s8
	s_mul_hi_u32 s1, s26, s8
	s_mul_i32 s26, s26, s8
	s_add_i32 s27, s1, s0
	v_add_co_u32 v7, s0, v9, s2
	v_add_co_ci_u32_e64 v8, null, 0, s3, s0
	s_mul_i32 s9, s17, s8
	s_mul_hi_u32 s17, s16, s8
	v_cmp_gt_i64_e64 s0, s[20:21], v[5:6]
	s_add_i32 s17, s17, s9
	v_lshl_or_b32 v5, v2, 7, v12
	v_lshl_or_b32 v6, v9, 5, v10
	v_mad_u64_u32 v[9:10], null, s24, v7, s[26:27]
	v_mul_lo_u32 v12, s24, v8
	v_mul_lo_u32 v13, s25, v7
	v_cmp_gt_i64_e64 s1, s[22:23], v[7:8]
	v_add_co_u32 v8, s9, s6, v11
	v_add_co_ci_u32_e64 v11, null, s7, 0, s9
	v_add_co_u32 v9, vcc_lo, v9, v4
	v_mad_u64_u32 v[14:15], null, s14, v8, v[2:3]
	v_mul_lo_u32 v16, s14, v11
	v_mul_lo_u32 v8, s15, v8
	v_add3_u32 v10, v13, v10, v12
	s_mul_i32 s16, s16, s8
	v_add_nc_u32_e32 v6, 0x400, v6
	s_add_u32 s9, s12, s16
	s_addc_u32 s12, s13, s17
	v_add_co_ci_u32_e64 v10, null, 0, v10, vcc_lo
	v_add3_u32 v8, v8, v15, v16
	v_add_co_u32 v12, vcc_lo, s18, v9
	v_add_co_ci_u32_e64 v13, null, s19, v10, vcc_lo
	v_add_co_u32 v14, vcc_lo, s9, v14
	v_lshlrev_b32_e32 v7, 2, v0
	v_lshl_add_u32 v11, v1, 5, 0x400
	v_add_co_ci_u32_e64 v15, null, s12, v8, vcc_lo
	v_mov_b32_e32 v8, v3
	v_mov_b32_e32 v9, v3
	;; [unrolled: 1-line block ×3, first 2 shown]
	s_mov_b64 s[12:13], 0
	s_branch .LBB492_3
.LBB492_2:                              ;   in Loop: Header=BB492_3 Depth=1
	s_or_b32 exec_lo, exec_lo, s9
	s_waitcnt vmcnt(0)
	ds_write_b32 v6, v17
	s_waitcnt lgkmcnt(0)
	s_barrier
	buffer_gl0_inv
	ds_read_b128 v[16:19], v11
	ds_read2_b32 v[32:33], v7 offset1:16
	ds_read_b128 v[20:23], v11 offset:512
	ds_read2_b32 v[34:35], v7 offset0:32 offset1:48
	ds_read2_b32 v[36:37], v7 offset0:64 offset1:80
	ds_read_b128 v[24:27], v11 offset:16
	ds_read2_b32 v[38:39], v7 offset0:96 offset1:112
	ds_read2_b32 v[40:41], v7 offset0:128 offset1:144
	ds_read_b128 v[28:31], v11 offset:528
	ds_read2_b32 v[42:43], v7 offset0:160 offset1:176
	s_add_u32 s12, s12, 8
	s_addc_u32 s13, s13, 0
	v_cmp_lt_i64_e64 s9, s[12:13], s[10:11]
	s_and_b32 vcc_lo, exec_lo, s9
	s_waitcnt lgkmcnt(8)
	v_mul_lo_u32 v44, v16, v32
	v_mul_lo_u32 v16, v16, v33
	s_waitcnt lgkmcnt(7)
	v_mul_lo_u32 v32, v20, v32
	v_mul_lo_u32 v20, v20, v33
	;; [unrolled: 3-line block ×3, first 2 shown]
	v_mul_lo_u32 v34, v21, v34
	v_mul_lo_u32 v21, v21, v35
	s_waitcnt lgkmcnt(5)
	v_mul_lo_u32 v35, v18, v36
	v_mul_lo_u32 v18, v18, v37
	;; [unrolled: 1-line block ×3, first 2 shown]
	v_add3_u32 v10, v10, v44, v33
	v_add3_u32 v33, v9, v16, v17
	;; [unrolled: 1-line block ×3, first 2 shown]
	ds_read2_b32 v[8:9], v7 offset0:192 offset1:208
	ds_read2_b32 v[16:17], v7 offset0:224 offset1:240
	v_add3_u32 v3, v3, v20, v21
	v_mul_lo_u32 v20, v22, v37
	s_waitcnt lgkmcnt(5)
	v_mul_lo_u32 v21, v19, v38
	v_mul_lo_u32 v19, v19, v39
	;; [unrolled: 1-line block ×4, first 2 shown]
	s_waitcnt lgkmcnt(4)
	v_mul_lo_u32 v34, v24, v40
	v_mul_lo_u32 v24, v24, v41
	s_waitcnt lgkmcnt(2)
	v_mul_lo_u32 v38, v25, v42
	v_mul_lo_u32 v25, v25, v43
	v_mul_lo_u32 v37, v28, v40
	v_mul_lo_u32 v39, v29, v42
	v_add3_u32 v10, v10, v35, v21
	v_add3_u32 v18, v33, v18, v19
	;; [unrolled: 1-line block ×3, first 2 shown]
	v_mul_lo_u32 v20, v28, v41
	v_mul_lo_u32 v21, v29, v43
	v_add3_u32 v19, v32, v36, v22
	v_add3_u32 v18, v18, v24, v25
	s_waitcnt lgkmcnt(1)
	v_mul_lo_u32 v22, v26, v8
	v_mul_lo_u32 v23, v26, v9
	;; [unrolled: 1-line block ×3, first 2 shown]
	s_waitcnt lgkmcnt(0)
	v_mul_lo_u32 v24, v27, v16
	v_mul_lo_u32 v25, v30, v9
	;; [unrolled: 1-line block ×5, first 2 shown]
	v_add3_u32 v10, v10, v34, v38
	v_add3_u32 v19, v19, v37, v39
	;; [unrolled: 1-line block ×3, first 2 shown]
	s_barrier
	v_add3_u32 v10, v10, v22, v24
	v_add3_u32 v9, v18, v23, v9
	;; [unrolled: 1-line block ×4, first 2 shown]
	buffer_gl0_inv
	s_cbranch_vccz .LBB492_7
.LBB492_3:                              ; =>This Inner Loop Header: Depth=1
	v_add_co_u32 v16, s9, v2, s12
	v_add_co_ci_u32_e64 v17, null, 0, s13, s9
	v_cmp_gt_i64_e32 vcc_lo, s[10:11], v[16:17]
	v_mov_b32_e32 v16, 0
	s_and_b32 s14, s0, vcc_lo
	s_and_saveexec_b32 s9, s14
	s_cbranch_execz .LBB492_5
; %bb.4:                                ;   in Loop: Header=BB492_3 Depth=1
	v_add_co_u32 v16, vcc_lo, v14, s12
	v_add_co_ci_u32_e64 v17, null, s13, v15, vcc_lo
	global_load_sbyte v16, v[16:17], off
.LBB492_5:                              ;   in Loop: Header=BB492_3 Depth=1
	s_or_b32 exec_lo, exec_lo, s9
	v_add_co_u32 v17, s9, v4, s12
	v_add_co_ci_u32_e64 v18, null, 0, s13, s9
	s_waitcnt vmcnt(0)
	ds_write_b32 v5, v16
	v_cmp_gt_i64_e32 vcc_lo, s[10:11], v[17:18]
	v_mov_b32_e32 v17, 0
	s_and_b32 s14, vcc_lo, s1
	s_and_saveexec_b32 s9, s14
	s_cbranch_execz .LBB492_2
; %bb.6:                                ;   in Loop: Header=BB492_3 Depth=1
	v_add_co_u32 v16, vcc_lo, v12, s12
	v_add_co_ci_u32_e64 v17, null, s13, v13, vcc_lo
	global_load_sbyte v17, v[16:17], off
	s_branch .LBB492_2
.LBB492_7:
	s_clause 0x3
	s_load_dwordx4 s[24:27], s[4:5], 0x78
	s_load_dwordx8 s[12:19], s[4:5], 0x58
	s_load_dword s9, s[4:5], 0x50
	s_load_dword s4, s[4:5], 0x18
	v_add_co_u32 v1, s2, s2, v1
	v_add_co_ci_u32_e64 v2, null, s3, 0, s2
	s_waitcnt lgkmcnt(0)
	s_mul_i32 s0, s27, s8
	s_mul_hi_u32 s1, s26, s8
	s_add_i32 s1, s1, s0
	s_mul_i32 s0, s26, s8
	s_lshl_b64 s[10:11], s[0:1], 2
	v_cmp_gt_i64_e64 s0, s[22:23], v[1:2]
	s_add_u32 s3, s18, s10
	s_addc_u32 s5, s19, s11
	s_cmp_eq_u32 s9, 0
	s_cbranch_scc1 .LBB492_20
; %bb.8:
	s_and_saveexec_b32 s10, s0
	s_cbranch_execz .LBB492_18
; %bb.9:
	v_mul_lo_u32 v6, v2, s14
	v_mul_lo_u32 v7, v1, s15
	v_mad_u64_u32 v[4:5], null, v1, s14, 0
	v_mul_lo_u32 v13, v2, s24
	v_mul_lo_u32 v14, v1, s25
	v_mad_u64_u32 v[11:12], null, v1, s24, 0
	s_mul_i32 s1, s17, s8
	s_mul_hi_u32 s2, s16, s8
	v_add3_u32 v5, v5, v7, v6
	s_add_i32 s17, s2, s1
	s_mul_i32 s16, s16, s8
	v_add_co_u32 v6, s1, s6, v0
	v_add3_u32 v12, v12, v14, v13
	v_lshlrev_b64 v[4:5], 2, v[4:5]
	s_lshl_b64 s[16:17], s[16:17], 2
	v_add_co_ci_u32_e64 v7, null, s7, 0, s1
	v_lshlrev_b64 v[13:14], 2, v[11:12]
	s_add_u32 s1, s12, s16
	s_addc_u32 s2, s13, s17
	v_add_co_u32 v11, s1, s1, v4
	v_add_co_ci_u32_e64 v12, null, s2, v5, s1
	v_add_co_u32 v13, s1, s3, v13
	v_cmp_gt_i64_e32 vcc_lo, s[20:21], v[6:7]
	v_lshlrev_b64 v[4:5], 2, v[6:7]
	v_add_co_ci_u32_e64 v14, null, s5, v14, s1
	s_and_saveexec_b32 s2, vcc_lo
	s_cbranch_execz .LBB492_11
; %bb.10:
	v_add_co_u32 v15, s1, v11, v4
	v_add_co_ci_u32_e64 v16, null, v12, v5, s1
	global_load_dword v16, v[15:16], off
	v_mul_lo_u32 v15, v10, s4
	s_waitcnt vmcnt(0)
	v_mad_u64_u32 v[15:16], null, v16, s9, v[15:16]
	v_add_co_u32 v16, s1, v13, v4
	v_add_co_ci_u32_e64 v17, null, v14, v5, s1
	global_store_dword v[16:17], v15, off
.LBB492_11:
	s_or_b32 exec_lo, exec_lo, s2
	v_add_co_u32 v6, s1, v6, 16
	v_add_co_ci_u32_e64 v7, null, 0, v7, s1
	v_cmp_gt_i64_e64 s1, s[20:21], v[6:7]
	s_and_saveexec_b32 s8, s1
	s_cbranch_execz .LBB492_13
; %bb.12:
	v_add_co_u32 v6, s2, v11, v4
	v_add_co_ci_u32_e64 v7, null, v12, v5, s2
	v_add_co_u32 v15, s2, v13, v4
	v_add_co_ci_u32_e64 v16, null, v14, v5, s2
	global_load_dword v7, v[6:7], off offset:64
	v_mul_lo_u32 v6, v9, s4
	s_waitcnt vmcnt(0)
	v_mad_u64_u32 v[6:7], null, v7, s9, v[6:7]
	global_store_dword v[15:16], v6, off offset:64
.LBB492_13:
	s_or_b32 exec_lo, exec_lo, s8
	v_add_co_u32 v6, s2, v1, 16
	v_add_co_ci_u32_e64 v7, null, 0, v2, s2
	v_cmp_gt_i64_e64 s2, s[22:23], v[6:7]
	s_and_b32 exec_lo, exec_lo, s2
	s_cbranch_execz .LBB492_18
; %bb.14:
	s_lshl_b64 s[12:13], s[14:15], 6
	v_add_co_u32 v6, s2, v11, s12
	v_add_co_ci_u32_e64 v7, null, s13, v12, s2
	s_lshl_b64 s[12:13], s[24:25], 6
	v_add_co_u32 v11, s2, v13, s12
	v_add_co_ci_u32_e64 v12, null, s13, v14, s2
	v_add_co_u32 v6, s2, v6, v4
	v_add_co_ci_u32_e64 v7, null, v7, v5, s2
	;; [unrolled: 2-line block ×3, first 2 shown]
	s_and_saveexec_b32 s2, vcc_lo
	s_cbranch_execz .LBB492_16
; %bb.15:
	global_load_dword v12, v[6:7], off
	v_mul_lo_u32 v11, v8, s4
	s_waitcnt vmcnt(0)
	v_mad_u64_u32 v[11:12], null, v12, s9, v[11:12]
	global_store_dword v[4:5], v11, off
.LBB492_16:
	s_or_b32 exec_lo, exec_lo, s2
	s_and_b32 exec_lo, exec_lo, s1
	s_cbranch_execz .LBB492_18
; %bb.17:
	global_load_dword v7, v[6:7], off offset:64
	v_mul_lo_u32 v6, v3, s4
	s_waitcnt vmcnt(0)
	v_mad_u64_u32 v[6:7], null, v7, s9, v[6:7]
	global_store_dword v[4:5], v6, off offset:64
.LBB492_18:
	s_or_b32 exec_lo, exec_lo, s10
	s_cbranch_execz .LBB492_21
.LBB492_19:
	s_endpgm
.LBB492_20:
.LBB492_21:
	s_and_saveexec_b32 s1, s0
	s_cbranch_execz .LBB492_19
; %bb.22:
	v_mul_lo_u32 v6, v2, s24
	v_mul_lo_u32 v7, v1, s25
	v_mad_u64_u32 v[4:5], null, v1, s24, 0
	v_add3_u32 v5, v5, v7, v6
	v_add_co_u32 v6, s0, s6, v0
	v_add_co_ci_u32_e64 v7, null, s7, 0, s0
	v_lshlrev_b64 v[11:12], 2, v[4:5]
	v_cmp_gt_i64_e32 vcc_lo, s[20:21], v[6:7]
	v_lshlrev_b64 v[4:5], 2, v[6:7]
	v_add_co_u32 v0, s0, s3, v11
	v_add_co_ci_u32_e64 v11, null, s5, v12, s0
	s_and_saveexec_b32 s1, vcc_lo
	s_cbranch_execz .LBB492_24
; %bb.23:
	v_mul_lo_u32 v10, v10, s4
	v_add_co_u32 v12, s0, v0, v4
	v_add_co_ci_u32_e64 v13, null, v11, v5, s0
	global_store_dword v[12:13], v10, off
.LBB492_24:
	s_or_b32 exec_lo, exec_lo, s1
	v_add_co_u32 v6, s0, v6, 16
	v_add_co_ci_u32_e64 v7, null, 0, v7, s0
	v_cmp_gt_i64_e64 s0, s[20:21], v[6:7]
	s_and_saveexec_b32 s2, s0
	s_cbranch_execz .LBB492_26
; %bb.25:
	v_mul_lo_u32 v9, v9, s4
	v_add_co_u32 v6, s1, v0, v4
	v_add_co_ci_u32_e64 v7, null, v11, v5, s1
	global_store_dword v[6:7], v9, off offset:64
.LBB492_26:
	s_or_b32 exec_lo, exec_lo, s2
	v_add_co_u32 v1, s1, v1, 16
	v_add_co_ci_u32_e64 v2, null, 0, v2, s1
	v_cmp_gt_i64_e64 s1, s[22:23], v[1:2]
	s_and_b32 exec_lo, exec_lo, s1
	s_cbranch_execz .LBB492_19
; %bb.27:
	s_lshl_b64 s[2:3], s[24:25], 6
	v_add_co_u32 v0, s1, v0, s2
	v_add_co_ci_u32_e64 v1, null, s3, v11, s1
	v_add_co_u32 v0, s1, v0, v4
	v_add_co_ci_u32_e64 v1, null, v1, v5, s1
	s_and_saveexec_b32 s1, vcc_lo
	s_cbranch_execz .LBB492_29
; %bb.28:
	v_mul_lo_u32 v2, v8, s4
	global_store_dword v[0:1], v2, off
.LBB492_29:
	s_or_b32 exec_lo, exec_lo, s1
	s_and_b32 exec_lo, exec_lo, s0
	s_cbranch_execz .LBB492_19
; %bb.30:
	v_mul_lo_u32 v2, v3, s4
	global_store_dword v[0:1], v2, off offset:64
	s_endpgm
	.section	.rodata,"a",@progbits
	.p2align	6, 0x0
	.amdhsa_kernel _ZN12_GLOBAL__N_135rocblas_gemm_batched_general_kernelIiLi16ELi16ELi32ELi32ELi8ELi32ELi8ELi8ELi32ELc84ELc78EKaKiiEEvlllT_PT11_llS5_llS3_PT12_llPT13_lli
		.amdhsa_group_segment_fixed_size 2048
		.amdhsa_private_segment_fixed_size 0
		.amdhsa_kernarg_size 140
		.amdhsa_user_sgpr_count 6
		.amdhsa_user_sgpr_private_segment_buffer 1
		.amdhsa_user_sgpr_dispatch_ptr 0
		.amdhsa_user_sgpr_queue_ptr 0
		.amdhsa_user_sgpr_kernarg_segment_ptr 1
		.amdhsa_user_sgpr_dispatch_id 0
		.amdhsa_user_sgpr_flat_scratch_init 0
		.amdhsa_user_sgpr_private_segment_size 0
		.amdhsa_wavefront_size32 1
		.amdhsa_uses_dynamic_stack 0
		.amdhsa_system_sgpr_private_segment_wavefront_offset 0
		.amdhsa_system_sgpr_workgroup_id_x 1
		.amdhsa_system_sgpr_workgroup_id_y 1
		.amdhsa_system_sgpr_workgroup_id_z 1
		.amdhsa_system_sgpr_workgroup_info 0
		.amdhsa_system_vgpr_workitem_id 1
		.amdhsa_next_free_vgpr 45
		.amdhsa_next_free_sgpr 28
		.amdhsa_reserve_vcc 1
		.amdhsa_reserve_flat_scratch 0
		.amdhsa_float_round_mode_32 0
		.amdhsa_float_round_mode_16_64 0
		.amdhsa_float_denorm_mode_32 3
		.amdhsa_float_denorm_mode_16_64 3
		.amdhsa_dx10_clamp 1
		.amdhsa_ieee_mode 1
		.amdhsa_fp16_overflow 0
		.amdhsa_workgroup_processor_mode 1
		.amdhsa_memory_ordered 1
		.amdhsa_forward_progress 1
		.amdhsa_shared_vgpr_count 0
		.amdhsa_exception_fp_ieee_invalid_op 0
		.amdhsa_exception_fp_denorm_src 0
		.amdhsa_exception_fp_ieee_div_zero 0
		.amdhsa_exception_fp_ieee_overflow 0
		.amdhsa_exception_fp_ieee_underflow 0
		.amdhsa_exception_fp_ieee_inexact 0
		.amdhsa_exception_int_div_zero 0
	.end_amdhsa_kernel
	.section	.text._ZN12_GLOBAL__N_135rocblas_gemm_batched_general_kernelIiLi16ELi16ELi32ELi32ELi8ELi32ELi8ELi8ELi32ELc84ELc78EKaKiiEEvlllT_PT11_llS5_llS3_PT12_llPT13_lli,"axG",@progbits,_ZN12_GLOBAL__N_135rocblas_gemm_batched_general_kernelIiLi16ELi16ELi32ELi32ELi8ELi32ELi8ELi8ELi32ELc84ELc78EKaKiiEEvlllT_PT11_llS5_llS3_PT12_llPT13_lli,comdat
.Lfunc_end492:
	.size	_ZN12_GLOBAL__N_135rocblas_gemm_batched_general_kernelIiLi16ELi16ELi32ELi32ELi8ELi32ELi8ELi8ELi32ELc84ELc78EKaKiiEEvlllT_PT11_llS5_llS3_PT12_llPT13_lli, .Lfunc_end492-_ZN12_GLOBAL__N_135rocblas_gemm_batched_general_kernelIiLi16ELi16ELi32ELi32ELi8ELi32ELi8ELi8ELi32ELc84ELc78EKaKiiEEvlllT_PT11_llS5_llS3_PT12_llPT13_lli
                                        ; -- End function
	.set _ZN12_GLOBAL__N_135rocblas_gemm_batched_general_kernelIiLi16ELi16ELi32ELi32ELi8ELi32ELi8ELi8ELi32ELc84ELc78EKaKiiEEvlllT_PT11_llS5_llS3_PT12_llPT13_lli.num_vgpr, 45
	.set _ZN12_GLOBAL__N_135rocblas_gemm_batched_general_kernelIiLi16ELi16ELi32ELi32ELi8ELi32ELi8ELi8ELi32ELc84ELc78EKaKiiEEvlllT_PT11_llS5_llS3_PT12_llPT13_lli.num_agpr, 0
	.set _ZN12_GLOBAL__N_135rocblas_gemm_batched_general_kernelIiLi16ELi16ELi32ELi32ELi8ELi32ELi8ELi8ELi32ELc84ELc78EKaKiiEEvlllT_PT11_llS5_llS3_PT12_llPT13_lli.numbered_sgpr, 28
	.set _ZN12_GLOBAL__N_135rocblas_gemm_batched_general_kernelIiLi16ELi16ELi32ELi32ELi8ELi32ELi8ELi8ELi32ELc84ELc78EKaKiiEEvlllT_PT11_llS5_llS3_PT12_llPT13_lli.num_named_barrier, 0
	.set _ZN12_GLOBAL__N_135rocblas_gemm_batched_general_kernelIiLi16ELi16ELi32ELi32ELi8ELi32ELi8ELi8ELi32ELc84ELc78EKaKiiEEvlllT_PT11_llS5_llS3_PT12_llPT13_lli.private_seg_size, 0
	.set _ZN12_GLOBAL__N_135rocblas_gemm_batched_general_kernelIiLi16ELi16ELi32ELi32ELi8ELi32ELi8ELi8ELi32ELc84ELc78EKaKiiEEvlllT_PT11_llS5_llS3_PT12_llPT13_lli.uses_vcc, 1
	.set _ZN12_GLOBAL__N_135rocblas_gemm_batched_general_kernelIiLi16ELi16ELi32ELi32ELi8ELi32ELi8ELi8ELi32ELc84ELc78EKaKiiEEvlllT_PT11_llS5_llS3_PT12_llPT13_lli.uses_flat_scratch, 0
	.set _ZN12_GLOBAL__N_135rocblas_gemm_batched_general_kernelIiLi16ELi16ELi32ELi32ELi8ELi32ELi8ELi8ELi32ELc84ELc78EKaKiiEEvlllT_PT11_llS5_llS3_PT12_llPT13_lli.has_dyn_sized_stack, 0
	.set _ZN12_GLOBAL__N_135rocblas_gemm_batched_general_kernelIiLi16ELi16ELi32ELi32ELi8ELi32ELi8ELi8ELi32ELc84ELc78EKaKiiEEvlllT_PT11_llS5_llS3_PT12_llPT13_lli.has_recursion, 0
	.set _ZN12_GLOBAL__N_135rocblas_gemm_batched_general_kernelIiLi16ELi16ELi32ELi32ELi8ELi32ELi8ELi8ELi32ELc84ELc78EKaKiiEEvlllT_PT11_llS5_llS3_PT12_llPT13_lli.has_indirect_call, 0
	.section	.AMDGPU.csdata,"",@progbits
; Kernel info:
; codeLenInByte = 2124
; TotalNumSgprs: 30
; NumVgprs: 45
; ScratchSize: 0
; MemoryBound: 0
; FloatMode: 240
; IeeeMode: 1
; LDSByteSize: 2048 bytes/workgroup (compile time only)
; SGPRBlocks: 0
; VGPRBlocks: 5
; NumSGPRsForWavesPerEU: 30
; NumVGPRsForWavesPerEU: 45
; Occupancy: 16
; WaveLimiterHint : 0
; COMPUTE_PGM_RSRC2:SCRATCH_EN: 0
; COMPUTE_PGM_RSRC2:USER_SGPR: 6
; COMPUTE_PGM_RSRC2:TRAP_HANDLER: 0
; COMPUTE_PGM_RSRC2:TGID_X_EN: 1
; COMPUTE_PGM_RSRC2:TGID_Y_EN: 1
; COMPUTE_PGM_RSRC2:TGID_Z_EN: 1
; COMPUTE_PGM_RSRC2:TIDIG_COMP_CNT: 1
	.section	.text._ZN12_GLOBAL__N_135rocblas_gemm_batched_general_kernelIiLi16ELi16ELi32ELi32ELi8ELi32ELi8ELi8ELi32ELc78ELc84EKaKiiEEvlllT_PT11_llS5_llS3_PT12_llPT13_lli,"axG",@progbits,_ZN12_GLOBAL__N_135rocblas_gemm_batched_general_kernelIiLi16ELi16ELi32ELi32ELi8ELi32ELi8ELi8ELi32ELc78ELc84EKaKiiEEvlllT_PT11_llS5_llS3_PT12_llPT13_lli,comdat
	.globl	_ZN12_GLOBAL__N_135rocblas_gemm_batched_general_kernelIiLi16ELi16ELi32ELi32ELi8ELi32ELi8ELi8ELi32ELc78ELc84EKaKiiEEvlllT_PT11_llS5_llS3_PT12_llPT13_lli ; -- Begin function _ZN12_GLOBAL__N_135rocblas_gemm_batched_general_kernelIiLi16ELi16ELi32ELi32ELi8ELi32ELi8ELi8ELi32ELc78ELc84EKaKiiEEvlllT_PT11_llS5_llS3_PT12_llPT13_lli
	.p2align	8
	.type	_ZN12_GLOBAL__N_135rocblas_gemm_batched_general_kernelIiLi16ELi16ELi32ELi32ELi8ELi32ELi8ELi8ELi32ELc78ELc84EKaKiiEEvlllT_PT11_llS5_llS3_PT12_llPT13_lli,@function
_ZN12_GLOBAL__N_135rocblas_gemm_batched_general_kernelIiLi16ELi16ELi32ELi32ELi8ELi32ELi8ELi8ELi32ELc78ELc84EKaKiiEEvlllT_PT11_llS5_llS3_PT12_llPT13_lli: ; @_ZN12_GLOBAL__N_135rocblas_gemm_batched_general_kernelIiLi16ELi16ELi32ELi32ELi8ELi32ELi8ELi8ELi32ELc78ELc84EKaKiiEEvlllT_PT11_llS5_llS3_PT12_llPT13_lli
; %bb.0:
	s_clause 0x1
	s_load_dwordx2 s[10:11], s[4:5], 0x10
	s_load_dwordx4 s[20:23], s[4:5], 0x0
	s_mov_b32 s0, s7
	v_mov_b32_e32 v10, 0
	v_mov_b32_e32 v9, 0
	;; [unrolled: 1-line block ×4, first 2 shown]
	s_ashr_i32 s7, s6, 31
	s_ashr_i32 s1, s0, 31
	s_lshl_b64 s[6:7], s[6:7], 5
	s_waitcnt lgkmcnt(0)
	v_cmp_lt_i64_e64 s2, s[10:11], 1
	s_and_b32 vcc_lo, exec_lo, s2
	s_lshl_b64 s[2:3], s[0:1], 5
	s_cbranch_vccnz .LBB493_7
; %bb.1:
	s_clause 0x1
	s_load_dwordx4 s[24:27], s[4:5], 0x40
	s_load_dwordx8 s[12:19], s[4:5], 0x20
	v_lshl_add_u32 v4, v1, 4, v0
	v_mov_b32_e32 v3, 0
	v_mov_b32_e32 v5, s7
	v_and_b32_e32 v11, 7, v0
	v_lshlrev_b32_e32 v12, 2, v0
	v_lshrrev_b32_e32 v2, 3, v4
	v_lshrrev_b32_e32 v14, 5, v4
	v_and_b32_e32 v20, 31, v4
	v_lshlrev_b32_e32 v21, 2, v11
	v_lshl_add_u32 v13, v1, 5, 0x400
	v_mov_b32_e32 v8, v3
	v_mov_b32_e32 v9, v3
	s_waitcnt lgkmcnt(0)
	v_mad_u64_u32 v[6:7], null, s26, s8, v[2:3]
	s_mul_i32 s0, s17, s8
	s_mul_hi_u32 s1, s16, s8
	s_mul_i32 s9, s16, s8
	s_add_i32 s1, s1, s0
	s_add_u32 s18, s18, s2
	s_addc_u32 s19, s19, s3
	v_mov_b32_e32 v4, v7
	s_lshl_b64 s[16:17], s[24:25], 3
	s_add_u32 s0, s6, s9
	s_addc_u32 s1, s7, s1
	v_mad_u64_u32 v[15:16], null, s27, s8, v[4:5]
	v_mad_u64_u32 v[16:17], null, s14, v14, s[0:1]
	v_or_b32_e32 v4, s6, v20
	v_add_co_u32 v18, s0, v2, s2
	v_add_co_ci_u32_e64 v19, null, 0, s3, s0
	v_mov_b32_e32 v7, v15
	v_mov_b32_e32 v10, v17
	v_cmp_gt_i64_e64 s0, s[20:21], v[4:5]
	v_lshlrev_b32_e32 v15, 2, v20
	v_lshl_or_b32 v17, v2, 5, v21
	v_mad_u64_u32 v[6:7], null, s24, v11, v[6:7]
	v_mad_u64_u32 v[4:5], null, s15, v14, v[10:11]
	v_lshl_or_b32 v2, v14, 7, v15
	v_add_nc_u32_e32 v15, 0x400, v17
	v_cmp_gt_i64_e64 s1, s[22:23], v[18:19]
	v_mov_b32_e32 v5, v7
	v_add_co_u32 v7, vcc_lo, v16, v20
	v_add_co_ci_u32_e64 v10, null, 0, v4, vcc_lo
	v_mad_u64_u32 v[16:17], null, s25, v11, v[5:6]
	v_add_co_u32 v4, vcc_lo, s12, v7
	v_add_co_ci_u32_e64 v5, null, s13, v10, vcc_lo
	v_add_co_u32 v6, vcc_lo, s18, v6
	v_add_co_ci_u32_e64 v7, null, s19, v16, vcc_lo
	v_mov_b32_e32 v10, v3
	s_lshl_b64 s[12:13], s[14:15], 3
	s_mov_b64 s[14:15], 0
	s_branch .LBB493_3
.LBB493_2:                              ;   in Loop: Header=BB493_3 Depth=1
	s_or_b32 exec_lo, exec_lo, s9
	s_waitcnt vmcnt(0)
	ds_write_b32 v15, v17
	s_waitcnt lgkmcnt(0)
	s_barrier
	buffer_gl0_inv
	ds_read_b128 v[16:19], v13
	ds_read2_b32 v[32:33], v12 offset1:16
	ds_read_b128 v[20:23], v13 offset:512
	ds_read2_b32 v[34:35], v12 offset0:32 offset1:48
	ds_read2_b32 v[36:37], v12 offset0:64 offset1:80
	;; [unrolled: 1-line block ×3, first 2 shown]
	ds_read_b128 v[24:27], v13 offset:16
	ds_read2_b32 v[40:41], v12 offset0:128 offset1:144
	ds_read_b128 v[28:31], v13 offset:528
	ds_read2_b32 v[42:43], v12 offset0:160 offset1:176
	s_add_u32 s14, s14, 8
	s_addc_u32 s15, s15, 0
	v_add_co_u32 v6, vcc_lo, v6, s16
	v_cmp_lt_i64_e64 s9, s[14:15], s[10:11]
	v_add_co_ci_u32_e64 v7, null, s17, v7, vcc_lo
	v_add_co_u32 v4, vcc_lo, v4, s12
	v_add_co_ci_u32_e64 v5, null, s13, v5, vcc_lo
	s_waitcnt lgkmcnt(8)
	v_mul_lo_u32 v44, v16, v32
	v_mul_lo_u32 v16, v16, v33
	s_waitcnt lgkmcnt(7)
	v_mul_lo_u32 v32, v20, v32
	v_mul_lo_u32 v20, v20, v33
	;; [unrolled: 3-line block ×3, first 2 shown]
	v_mul_lo_u32 v34, v21, v34
	v_mul_lo_u32 v21, v21, v35
	s_waitcnt lgkmcnt(5)
	v_mul_lo_u32 v35, v18, v36
	v_mul_lo_u32 v18, v18, v37
	;; [unrolled: 1-line block ×4, first 2 shown]
	v_add3_u32 v33, v10, v44, v33
	v_add3_u32 v44, v9, v16, v17
	ds_read2_b32 v[9:10], v12 offset0:192 offset1:208
	ds_read2_b32 v[16:17], v12 offset0:224 offset1:240
	s_waitcnt lgkmcnt(6)
	v_mul_lo_u32 v37, v19, v38
	v_mul_lo_u32 v19, v19, v39
	;; [unrolled: 1-line block ×4, first 2 shown]
	v_add3_u32 v3, v3, v20, v21
	s_waitcnt lgkmcnt(4)
	v_mul_lo_u32 v20, v24, v40
	s_waitcnt lgkmcnt(2)
	v_mul_lo_u32 v21, v25, v42
	v_add3_u32 v8, v8, v32, v34
	v_add3_u32 v32, v33, v35, v37
	;; [unrolled: 1-line block ×3, first 2 shown]
	v_mul_lo_u32 v19, v24, v41
	v_add3_u32 v3, v3, v22, v23
	v_mul_lo_u32 v22, v28, v40
	v_mul_lo_u32 v23, v28, v41
	v_add3_u32 v20, v32, v20, v21
	v_mul_lo_u32 v21, v25, v43
	v_mul_lo_u32 v24, v29, v42
	;; [unrolled: 1-line block ×3, first 2 shown]
	v_add3_u32 v8, v8, v36, v38
	s_waitcnt lgkmcnt(1)
	v_mul_lo_u32 v28, v26, v9
	v_mul_lo_u32 v26, v26, v10
	;; [unrolled: 1-line block ×4, first 2 shown]
	s_waitcnt lgkmcnt(0)
	v_mul_lo_u32 v9, v27, v16
	v_mul_lo_u32 v27, v27, v17
	;; [unrolled: 1-line block ×4, first 2 shown]
	v_add3_u32 v18, v18, v19, v21
	v_add3_u32 v8, v8, v22, v24
	;; [unrolled: 1-line block ×3, first 2 shown]
	s_and_b32 vcc_lo, exec_lo, s9
	v_add3_u32 v10, v20, v28, v9
	v_add3_u32 v9, v18, v26, v27
	;; [unrolled: 1-line block ×4, first 2 shown]
	s_barrier
	buffer_gl0_inv
	s_cbranch_vccz .LBB493_7
.LBB493_3:                              ; =>This Inner Loop Header: Depth=1
	v_add_co_u32 v16, s9, v14, s14
	v_add_co_ci_u32_e64 v17, null, 0, s15, s9
	v_cmp_gt_i64_e32 vcc_lo, s[10:11], v[16:17]
	v_mov_b32_e32 v16, 0
	s_and_b32 s18, s0, vcc_lo
	s_and_saveexec_b32 s9, s18
	s_cbranch_execz .LBB493_5
; %bb.4:                                ;   in Loop: Header=BB493_3 Depth=1
	global_load_sbyte v16, v[4:5], off
.LBB493_5:                              ;   in Loop: Header=BB493_3 Depth=1
	s_or_b32 exec_lo, exec_lo, s9
	v_add_co_u32 v17, s9, v11, s14
	v_add_co_ci_u32_e64 v18, null, 0, s15, s9
	s_waitcnt vmcnt(0)
	ds_write_b32 v2, v16
	v_cmp_gt_i64_e32 vcc_lo, s[10:11], v[17:18]
	v_mov_b32_e32 v17, 0
	s_and_b32 s18, vcc_lo, s1
	s_and_saveexec_b32 s9, s18
	s_cbranch_execz .LBB493_2
; %bb.6:                                ;   in Loop: Header=BB493_3 Depth=1
	global_load_sbyte v17, v[6:7], off
	s_branch .LBB493_2
.LBB493_7:
	s_clause 0x3
	s_load_dwordx4 s[24:27], s[4:5], 0x78
	s_load_dwordx8 s[12:19], s[4:5], 0x58
	s_load_dword s9, s[4:5], 0x50
	s_load_dword s4, s[4:5], 0x18
	v_add_co_u32 v1, s2, s2, v1
	v_add_co_ci_u32_e64 v2, null, s3, 0, s2
	s_waitcnt lgkmcnt(0)
	s_mul_i32 s0, s27, s8
	s_mul_hi_u32 s1, s26, s8
	s_add_i32 s1, s1, s0
	s_mul_i32 s0, s26, s8
	s_lshl_b64 s[10:11], s[0:1], 2
	v_cmp_gt_i64_e64 s0, s[22:23], v[1:2]
	s_add_u32 s3, s18, s10
	s_addc_u32 s5, s19, s11
	s_cmp_eq_u32 s9, 0
	s_cbranch_scc1 .LBB493_20
; %bb.8:
	s_and_saveexec_b32 s10, s0
	s_cbranch_execz .LBB493_18
; %bb.9:
	v_mul_lo_u32 v6, v2, s14
	v_mul_lo_u32 v7, v1, s15
	v_mad_u64_u32 v[4:5], null, v1, s14, 0
	v_mul_lo_u32 v13, v2, s24
	v_mul_lo_u32 v14, v1, s25
	v_mad_u64_u32 v[11:12], null, v1, s24, 0
	s_mul_i32 s1, s17, s8
	s_mul_hi_u32 s2, s16, s8
	v_add3_u32 v5, v5, v7, v6
	s_add_i32 s17, s2, s1
	s_mul_i32 s16, s16, s8
	v_add_co_u32 v6, s1, s6, v0
	v_add3_u32 v12, v12, v14, v13
	v_lshlrev_b64 v[4:5], 2, v[4:5]
	s_lshl_b64 s[16:17], s[16:17], 2
	v_add_co_ci_u32_e64 v7, null, s7, 0, s1
	v_lshlrev_b64 v[13:14], 2, v[11:12]
	s_add_u32 s1, s12, s16
	s_addc_u32 s2, s13, s17
	v_add_co_u32 v11, s1, s1, v4
	v_add_co_ci_u32_e64 v12, null, s2, v5, s1
	v_add_co_u32 v13, s1, s3, v13
	v_cmp_gt_i64_e32 vcc_lo, s[20:21], v[6:7]
	v_lshlrev_b64 v[4:5], 2, v[6:7]
	v_add_co_ci_u32_e64 v14, null, s5, v14, s1
	s_and_saveexec_b32 s2, vcc_lo
	s_cbranch_execz .LBB493_11
; %bb.10:
	v_add_co_u32 v15, s1, v11, v4
	v_add_co_ci_u32_e64 v16, null, v12, v5, s1
	global_load_dword v16, v[15:16], off
	v_mul_lo_u32 v15, v10, s4
	s_waitcnt vmcnt(0)
	v_mad_u64_u32 v[15:16], null, v16, s9, v[15:16]
	v_add_co_u32 v16, s1, v13, v4
	v_add_co_ci_u32_e64 v17, null, v14, v5, s1
	global_store_dword v[16:17], v15, off
.LBB493_11:
	s_or_b32 exec_lo, exec_lo, s2
	v_add_co_u32 v6, s1, v6, 16
	v_add_co_ci_u32_e64 v7, null, 0, v7, s1
	v_cmp_gt_i64_e64 s1, s[20:21], v[6:7]
	s_and_saveexec_b32 s8, s1
	s_cbranch_execz .LBB493_13
; %bb.12:
	v_add_co_u32 v6, s2, v11, v4
	v_add_co_ci_u32_e64 v7, null, v12, v5, s2
	v_add_co_u32 v15, s2, v13, v4
	v_add_co_ci_u32_e64 v16, null, v14, v5, s2
	global_load_dword v7, v[6:7], off offset:64
	v_mul_lo_u32 v6, v9, s4
	s_waitcnt vmcnt(0)
	v_mad_u64_u32 v[6:7], null, v7, s9, v[6:7]
	global_store_dword v[15:16], v6, off offset:64
.LBB493_13:
	s_or_b32 exec_lo, exec_lo, s8
	v_add_co_u32 v6, s2, v1, 16
	v_add_co_ci_u32_e64 v7, null, 0, v2, s2
	v_cmp_gt_i64_e64 s2, s[22:23], v[6:7]
	s_and_b32 exec_lo, exec_lo, s2
	s_cbranch_execz .LBB493_18
; %bb.14:
	s_lshl_b64 s[12:13], s[14:15], 6
	v_add_co_u32 v6, s2, v11, s12
	v_add_co_ci_u32_e64 v7, null, s13, v12, s2
	s_lshl_b64 s[12:13], s[24:25], 6
	v_add_co_u32 v11, s2, v13, s12
	v_add_co_ci_u32_e64 v12, null, s13, v14, s2
	v_add_co_u32 v6, s2, v6, v4
	v_add_co_ci_u32_e64 v7, null, v7, v5, s2
	;; [unrolled: 2-line block ×3, first 2 shown]
	s_and_saveexec_b32 s2, vcc_lo
	s_cbranch_execz .LBB493_16
; %bb.15:
	global_load_dword v12, v[6:7], off
	v_mul_lo_u32 v11, v8, s4
	s_waitcnt vmcnt(0)
	v_mad_u64_u32 v[11:12], null, v12, s9, v[11:12]
	global_store_dword v[4:5], v11, off
.LBB493_16:
	s_or_b32 exec_lo, exec_lo, s2
	s_and_b32 exec_lo, exec_lo, s1
	s_cbranch_execz .LBB493_18
; %bb.17:
	global_load_dword v7, v[6:7], off offset:64
	v_mul_lo_u32 v6, v3, s4
	s_waitcnt vmcnt(0)
	v_mad_u64_u32 v[6:7], null, v7, s9, v[6:7]
	global_store_dword v[4:5], v6, off offset:64
.LBB493_18:
	s_or_b32 exec_lo, exec_lo, s10
	s_cbranch_execz .LBB493_21
.LBB493_19:
	s_endpgm
.LBB493_20:
.LBB493_21:
	s_and_saveexec_b32 s1, s0
	s_cbranch_execz .LBB493_19
; %bb.22:
	v_mul_lo_u32 v6, v2, s24
	v_mul_lo_u32 v7, v1, s25
	v_mad_u64_u32 v[4:5], null, v1, s24, 0
	v_add3_u32 v5, v5, v7, v6
	v_add_co_u32 v6, s0, s6, v0
	v_add_co_ci_u32_e64 v7, null, s7, 0, s0
	v_lshlrev_b64 v[11:12], 2, v[4:5]
	v_cmp_gt_i64_e32 vcc_lo, s[20:21], v[6:7]
	v_lshlrev_b64 v[4:5], 2, v[6:7]
	v_add_co_u32 v0, s0, s3, v11
	v_add_co_ci_u32_e64 v11, null, s5, v12, s0
	s_and_saveexec_b32 s1, vcc_lo
	s_cbranch_execz .LBB493_24
; %bb.23:
	v_mul_lo_u32 v10, v10, s4
	v_add_co_u32 v12, s0, v0, v4
	v_add_co_ci_u32_e64 v13, null, v11, v5, s0
	global_store_dword v[12:13], v10, off
.LBB493_24:
	s_or_b32 exec_lo, exec_lo, s1
	v_add_co_u32 v6, s0, v6, 16
	v_add_co_ci_u32_e64 v7, null, 0, v7, s0
	v_cmp_gt_i64_e64 s0, s[20:21], v[6:7]
	s_and_saveexec_b32 s2, s0
	s_cbranch_execz .LBB493_26
; %bb.25:
	v_mul_lo_u32 v9, v9, s4
	v_add_co_u32 v6, s1, v0, v4
	v_add_co_ci_u32_e64 v7, null, v11, v5, s1
	global_store_dword v[6:7], v9, off offset:64
.LBB493_26:
	s_or_b32 exec_lo, exec_lo, s2
	v_add_co_u32 v1, s1, v1, 16
	v_add_co_ci_u32_e64 v2, null, 0, v2, s1
	v_cmp_gt_i64_e64 s1, s[22:23], v[1:2]
	s_and_b32 exec_lo, exec_lo, s1
	s_cbranch_execz .LBB493_19
; %bb.27:
	s_lshl_b64 s[2:3], s[24:25], 6
	v_add_co_u32 v0, s1, v0, s2
	v_add_co_ci_u32_e64 v1, null, s3, v11, s1
	v_add_co_u32 v0, s1, v0, v4
	v_add_co_ci_u32_e64 v1, null, v1, v5, s1
	s_and_saveexec_b32 s1, vcc_lo
	s_cbranch_execz .LBB493_29
; %bb.28:
	v_mul_lo_u32 v2, v8, s4
	global_store_dword v[0:1], v2, off
.LBB493_29:
	s_or_b32 exec_lo, exec_lo, s1
	s_and_b32 exec_lo, exec_lo, s0
	s_cbranch_execz .LBB493_19
; %bb.30:
	v_mul_lo_u32 v2, v3, s4
	global_store_dword v[0:1], v2, off offset:64
	s_endpgm
	.section	.rodata,"a",@progbits
	.p2align	6, 0x0
	.amdhsa_kernel _ZN12_GLOBAL__N_135rocblas_gemm_batched_general_kernelIiLi16ELi16ELi32ELi32ELi8ELi32ELi8ELi8ELi32ELc78ELc84EKaKiiEEvlllT_PT11_llS5_llS3_PT12_llPT13_lli
		.amdhsa_group_segment_fixed_size 2048
		.amdhsa_private_segment_fixed_size 0
		.amdhsa_kernarg_size 140
		.amdhsa_user_sgpr_count 6
		.amdhsa_user_sgpr_private_segment_buffer 1
		.amdhsa_user_sgpr_dispatch_ptr 0
		.amdhsa_user_sgpr_queue_ptr 0
		.amdhsa_user_sgpr_kernarg_segment_ptr 1
		.amdhsa_user_sgpr_dispatch_id 0
		.amdhsa_user_sgpr_flat_scratch_init 0
		.amdhsa_user_sgpr_private_segment_size 0
		.amdhsa_wavefront_size32 1
		.amdhsa_uses_dynamic_stack 0
		.amdhsa_system_sgpr_private_segment_wavefront_offset 0
		.amdhsa_system_sgpr_workgroup_id_x 1
		.amdhsa_system_sgpr_workgroup_id_y 1
		.amdhsa_system_sgpr_workgroup_id_z 1
		.amdhsa_system_sgpr_workgroup_info 0
		.amdhsa_system_vgpr_workitem_id 1
		.amdhsa_next_free_vgpr 45
		.amdhsa_next_free_sgpr 28
		.amdhsa_reserve_vcc 1
		.amdhsa_reserve_flat_scratch 0
		.amdhsa_float_round_mode_32 0
		.amdhsa_float_round_mode_16_64 0
		.amdhsa_float_denorm_mode_32 3
		.amdhsa_float_denorm_mode_16_64 3
		.amdhsa_dx10_clamp 1
		.amdhsa_ieee_mode 1
		.amdhsa_fp16_overflow 0
		.amdhsa_workgroup_processor_mode 1
		.amdhsa_memory_ordered 1
		.amdhsa_forward_progress 1
		.amdhsa_shared_vgpr_count 0
		.amdhsa_exception_fp_ieee_invalid_op 0
		.amdhsa_exception_fp_denorm_src 0
		.amdhsa_exception_fp_ieee_div_zero 0
		.amdhsa_exception_fp_ieee_overflow 0
		.amdhsa_exception_fp_ieee_underflow 0
		.amdhsa_exception_fp_ieee_inexact 0
		.amdhsa_exception_int_div_zero 0
	.end_amdhsa_kernel
	.section	.text._ZN12_GLOBAL__N_135rocblas_gemm_batched_general_kernelIiLi16ELi16ELi32ELi32ELi8ELi32ELi8ELi8ELi32ELc78ELc84EKaKiiEEvlllT_PT11_llS5_llS3_PT12_llPT13_lli,"axG",@progbits,_ZN12_GLOBAL__N_135rocblas_gemm_batched_general_kernelIiLi16ELi16ELi32ELi32ELi8ELi32ELi8ELi8ELi32ELc78ELc84EKaKiiEEvlllT_PT11_llS5_llS3_PT12_llPT13_lli,comdat
.Lfunc_end493:
	.size	_ZN12_GLOBAL__N_135rocblas_gemm_batched_general_kernelIiLi16ELi16ELi32ELi32ELi8ELi32ELi8ELi8ELi32ELc78ELc84EKaKiiEEvlllT_PT11_llS5_llS3_PT12_llPT13_lli, .Lfunc_end493-_ZN12_GLOBAL__N_135rocblas_gemm_batched_general_kernelIiLi16ELi16ELi32ELi32ELi8ELi32ELi8ELi8ELi32ELc78ELc84EKaKiiEEvlllT_PT11_llS5_llS3_PT12_llPT13_lli
                                        ; -- End function
	.set _ZN12_GLOBAL__N_135rocblas_gemm_batched_general_kernelIiLi16ELi16ELi32ELi32ELi8ELi32ELi8ELi8ELi32ELc78ELc84EKaKiiEEvlllT_PT11_llS5_llS3_PT12_llPT13_lli.num_vgpr, 45
	.set _ZN12_GLOBAL__N_135rocblas_gemm_batched_general_kernelIiLi16ELi16ELi32ELi32ELi8ELi32ELi8ELi8ELi32ELc78ELc84EKaKiiEEvlllT_PT11_llS5_llS3_PT12_llPT13_lli.num_agpr, 0
	.set _ZN12_GLOBAL__N_135rocblas_gemm_batched_general_kernelIiLi16ELi16ELi32ELi32ELi8ELi32ELi8ELi8ELi32ELc78ELc84EKaKiiEEvlllT_PT11_llS5_llS3_PT12_llPT13_lli.numbered_sgpr, 28
	.set _ZN12_GLOBAL__N_135rocblas_gemm_batched_general_kernelIiLi16ELi16ELi32ELi32ELi8ELi32ELi8ELi8ELi32ELc78ELc84EKaKiiEEvlllT_PT11_llS5_llS3_PT12_llPT13_lli.num_named_barrier, 0
	.set _ZN12_GLOBAL__N_135rocblas_gemm_batched_general_kernelIiLi16ELi16ELi32ELi32ELi8ELi32ELi8ELi8ELi32ELc78ELc84EKaKiiEEvlllT_PT11_llS5_llS3_PT12_llPT13_lli.private_seg_size, 0
	.set _ZN12_GLOBAL__N_135rocblas_gemm_batched_general_kernelIiLi16ELi16ELi32ELi32ELi8ELi32ELi8ELi8ELi32ELc78ELc84EKaKiiEEvlllT_PT11_llS5_llS3_PT12_llPT13_lli.uses_vcc, 1
	.set _ZN12_GLOBAL__N_135rocblas_gemm_batched_general_kernelIiLi16ELi16ELi32ELi32ELi8ELi32ELi8ELi8ELi32ELc78ELc84EKaKiiEEvlllT_PT11_llS5_llS3_PT12_llPT13_lli.uses_flat_scratch, 0
	.set _ZN12_GLOBAL__N_135rocblas_gemm_batched_general_kernelIiLi16ELi16ELi32ELi32ELi8ELi32ELi8ELi8ELi32ELc78ELc84EKaKiiEEvlllT_PT11_llS5_llS3_PT12_llPT13_lli.has_dyn_sized_stack, 0
	.set _ZN12_GLOBAL__N_135rocblas_gemm_batched_general_kernelIiLi16ELi16ELi32ELi32ELi8ELi32ELi8ELi8ELi32ELc78ELc84EKaKiiEEvlllT_PT11_llS5_llS3_PT12_llPT13_lli.has_recursion, 0
	.set _ZN12_GLOBAL__N_135rocblas_gemm_batched_general_kernelIiLi16ELi16ELi32ELi32ELi8ELi32ELi8ELi8ELi32ELc78ELc84EKaKiiEEvlllT_PT11_llS5_llS3_PT12_llPT13_lli.has_indirect_call, 0
	.section	.AMDGPU.csdata,"",@progbits
; Kernel info:
; codeLenInByte = 2108
; TotalNumSgprs: 30
; NumVgprs: 45
; ScratchSize: 0
; MemoryBound: 0
; FloatMode: 240
; IeeeMode: 1
; LDSByteSize: 2048 bytes/workgroup (compile time only)
; SGPRBlocks: 0
; VGPRBlocks: 5
; NumSGPRsForWavesPerEU: 30
; NumVGPRsForWavesPerEU: 45
; Occupancy: 16
; WaveLimiterHint : 0
; COMPUTE_PGM_RSRC2:SCRATCH_EN: 0
; COMPUTE_PGM_RSRC2:USER_SGPR: 6
; COMPUTE_PGM_RSRC2:TRAP_HANDLER: 0
; COMPUTE_PGM_RSRC2:TGID_X_EN: 1
; COMPUTE_PGM_RSRC2:TGID_Y_EN: 1
; COMPUTE_PGM_RSRC2:TGID_Z_EN: 1
; COMPUTE_PGM_RSRC2:TIDIG_COMP_CNT: 1
	.section	.text._ZN12_GLOBAL__N_135rocblas_gemm_batched_general_kernelIiLi16ELi16ELi32ELi32ELi8ELi32ELi8ELi8ELi32ELc84ELc84EKaKiiEEvlllT_PT11_llS5_llS3_PT12_llPT13_lli,"axG",@progbits,_ZN12_GLOBAL__N_135rocblas_gemm_batched_general_kernelIiLi16ELi16ELi32ELi32ELi8ELi32ELi8ELi8ELi32ELc84ELc84EKaKiiEEvlllT_PT11_llS5_llS3_PT12_llPT13_lli,comdat
	.globl	_ZN12_GLOBAL__N_135rocblas_gemm_batched_general_kernelIiLi16ELi16ELi32ELi32ELi8ELi32ELi8ELi8ELi32ELc84ELc84EKaKiiEEvlllT_PT11_llS5_llS3_PT12_llPT13_lli ; -- Begin function _ZN12_GLOBAL__N_135rocblas_gemm_batched_general_kernelIiLi16ELi16ELi32ELi32ELi8ELi32ELi8ELi8ELi32ELc84ELc84EKaKiiEEvlllT_PT11_llS5_llS3_PT12_llPT13_lli
	.p2align	8
	.type	_ZN12_GLOBAL__N_135rocblas_gemm_batched_general_kernelIiLi16ELi16ELi32ELi32ELi8ELi32ELi8ELi8ELi32ELc84ELc84EKaKiiEEvlllT_PT11_llS5_llS3_PT12_llPT13_lli,@function
_ZN12_GLOBAL__N_135rocblas_gemm_batched_general_kernelIiLi16ELi16ELi32ELi32ELi8ELi32ELi8ELi8ELi32ELc84ELc84EKaKiiEEvlllT_PT11_llS5_llS3_PT12_llPT13_lli: ; @_ZN12_GLOBAL__N_135rocblas_gemm_batched_general_kernelIiLi16ELi16ELi32ELi32ELi8ELi32ELi8ELi8ELi32ELc84ELc84EKaKiiEEvlllT_PT11_llS5_llS3_PT12_llPT13_lli
; %bb.0:
	s_clause 0x1
	s_load_dwordx2 s[10:11], s[4:5], 0x10
	s_load_dwordx4 s[20:23], s[4:5], 0x0
	s_mov_b32 s0, s7
	v_mov_b32_e32 v10, 0
	v_mov_b32_e32 v9, 0
	;; [unrolled: 1-line block ×4, first 2 shown]
	s_ashr_i32 s7, s6, 31
	s_ashr_i32 s1, s0, 31
	s_lshl_b64 s[6:7], s[6:7], 5
	s_waitcnt lgkmcnt(0)
	v_cmp_lt_i64_e64 s2, s[10:11], 1
	s_and_b32 vcc_lo, exec_lo, s2
	s_lshl_b64 s[2:3], s[0:1], 5
	s_cbranch_vccnz .LBB494_7
; %bb.1:
	s_clause 0x1
	s_load_dwordx4 s[24:27], s[4:5], 0x40
	s_load_dwordx8 s[12:19], s[4:5], 0x20
	v_lshl_add_u32 v4, v1, 4, v0
	v_mov_b32_e32 v3, 0
	v_lshl_add_u32 v11, v1, 5, 0x400
	v_and_b32_e32 v6, 7, v0
	v_mov_b32_e32 v5, s7
	v_lshrrev_b32_e32 v12, 3, v4
	v_mov_b32_e32 v13, v3
	v_and_b32_e32 v20, 31, v4
	v_lshrrev_b32_e32 v2, 5, v4
	v_lshlrev_b32_e32 v7, 2, v0
	v_add_co_u32 v16, s0, v12, s2
	v_add_co_ci_u32_e64 v17, null, 0, s3, s0
	v_or_b32_e32 v4, s6, v20
	v_mov_b32_e32 v8, v3
	v_mov_b32_e32 v9, v3
	v_cmp_gt_i64_e64 s1, s[22:23], v[16:17]
	s_waitcnt lgkmcnt(0)
	v_mad_u64_u32 v[14:15], null, s26, s8, v[12:13]
	v_lshlrev_b32_e32 v13, 2, v6
	s_mul_i32 s9, s17, s8
	s_mul_hi_u32 s17, s16, s8
	s_mul_i32 s16, s16, s8
	s_add_i32 s17, s17, s9
	v_lshl_or_b32 v13, v12, 5, v13
	v_mov_b32_e32 v10, v15
	v_lshlrev_b32_e32 v15, 2, v20
	s_add_u32 s9, s18, s2
	s_addc_u32 s18, s19, s3
	v_add_nc_u32_e32 v13, 0x400, v13
	v_mad_u64_u32 v[18:19], null, s27, s8, v[10:11]
	v_add_co_u32 v10, s0, s6, v20
	v_add_co_ci_u32_e64 v19, null, s7, 0, s0
	v_lshl_or_b32 v12, v2, 7, v15
	v_cmp_gt_i64_e64 s0, s[20:21], v[4:5]
	v_mov_b32_e32 v15, v18
	v_mul_lo_u32 v16, s14, v19
	v_mad_u64_u32 v[4:5], null, s24, v6, v[14:15]
	v_mad_u64_u32 v[14:15], null, s14, v10, v[2:3]
	v_mul_lo_u32 v10, s15, v10
	s_lshl_b64 s[14:15], s[24:25], 3
	s_add_u32 s12, s12, s16
	s_addc_u32 s13, s13, s17
	v_add_co_u32 v14, vcc_lo, s12, v14
	v_add3_u32 v10, v10, v15, v16
	v_mad_u64_u32 v[16:17], null, s25, v6, v[5:6]
	v_add_co_ci_u32_e64 v15, null, s13, v10, vcc_lo
	v_add_co_u32 v4, vcc_lo, s9, v4
	v_add_co_ci_u32_e64 v5, null, s18, v16, vcc_lo
	v_mov_b32_e32 v10, v3
	s_mov_b64 s[12:13], 0
	s_branch .LBB494_3
.LBB494_2:                              ;   in Loop: Header=BB494_3 Depth=1
	s_or_b32 exec_lo, exec_lo, s9
	s_waitcnt vmcnt(0)
	ds_write_b32 v13, v17
	s_waitcnt lgkmcnt(0)
	s_barrier
	buffer_gl0_inv
	ds_read_b128 v[16:19], v11
	ds_read2_b32 v[32:33], v7 offset1:16
	ds_read_b128 v[20:23], v11 offset:512
	ds_read2_b32 v[34:35], v7 offset0:32 offset1:48
	ds_read2_b32 v[36:37], v7 offset0:64 offset1:80
	;; [unrolled: 1-line block ×3, first 2 shown]
	ds_read_b128 v[24:27], v11 offset:16
	ds_read2_b32 v[40:41], v7 offset0:128 offset1:144
	ds_read_b128 v[28:31], v11 offset:528
	ds_read2_b32 v[42:43], v7 offset0:160 offset1:176
	s_add_u32 s12, s12, 8
	s_addc_u32 s13, s13, 0
	v_add_co_u32 v4, vcc_lo, v4, s14
	v_cmp_lt_i64_e64 s9, s[12:13], s[10:11]
	v_add_co_ci_u32_e64 v5, null, s15, v5, vcc_lo
	s_and_b32 vcc_lo, exec_lo, s9
	s_waitcnt lgkmcnt(8)
	v_mul_lo_u32 v44, v16, v32
	v_mul_lo_u32 v16, v16, v33
	s_waitcnt lgkmcnt(7)
	v_mul_lo_u32 v32, v20, v32
	v_mul_lo_u32 v20, v20, v33
	;; [unrolled: 3-line block ×3, first 2 shown]
	v_mul_lo_u32 v34, v21, v34
	v_mul_lo_u32 v21, v21, v35
	s_waitcnt lgkmcnt(5)
	v_mul_lo_u32 v35, v18, v36
	v_mul_lo_u32 v18, v18, v37
	;; [unrolled: 1-line block ×4, first 2 shown]
	v_add3_u32 v33, v10, v44, v33
	v_add3_u32 v44, v9, v16, v17
	ds_read2_b32 v[9:10], v7 offset0:192 offset1:208
	ds_read2_b32 v[16:17], v7 offset0:224 offset1:240
	s_waitcnt lgkmcnt(6)
	v_mul_lo_u32 v37, v19, v38
	v_mul_lo_u32 v19, v19, v39
	;; [unrolled: 1-line block ×4, first 2 shown]
	v_add3_u32 v3, v3, v20, v21
	s_waitcnt lgkmcnt(4)
	v_mul_lo_u32 v20, v24, v40
	s_waitcnt lgkmcnt(2)
	v_mul_lo_u32 v21, v25, v42
	v_add3_u32 v8, v8, v32, v34
	v_add3_u32 v32, v33, v35, v37
	;; [unrolled: 1-line block ×3, first 2 shown]
	v_mul_lo_u32 v19, v24, v41
	v_add3_u32 v3, v3, v22, v23
	v_mul_lo_u32 v22, v28, v40
	v_mul_lo_u32 v23, v28, v41
	v_add3_u32 v20, v32, v20, v21
	v_mul_lo_u32 v21, v25, v43
	v_mul_lo_u32 v24, v29, v42
	;; [unrolled: 1-line block ×3, first 2 shown]
	v_add3_u32 v8, v8, v36, v38
	s_waitcnt lgkmcnt(1)
	v_mul_lo_u32 v28, v26, v9
	v_mul_lo_u32 v26, v26, v10
	;; [unrolled: 1-line block ×4, first 2 shown]
	s_waitcnt lgkmcnt(0)
	v_mul_lo_u32 v9, v27, v16
	v_mul_lo_u32 v27, v27, v17
	v_mul_lo_u32 v16, v31, v16
	v_mul_lo_u32 v17, v31, v17
	v_add3_u32 v18, v18, v19, v21
	v_add3_u32 v8, v8, v22, v24
	;; [unrolled: 1-line block ×7, first 2 shown]
	s_barrier
	buffer_gl0_inv
	s_cbranch_vccz .LBB494_7
.LBB494_3:                              ; =>This Inner Loop Header: Depth=1
	v_add_co_u32 v16, s9, v2, s12
	v_add_co_ci_u32_e64 v17, null, 0, s13, s9
	v_cmp_gt_i64_e32 vcc_lo, s[10:11], v[16:17]
	v_mov_b32_e32 v16, 0
	s_and_b32 s16, s0, vcc_lo
	s_and_saveexec_b32 s9, s16
	s_cbranch_execz .LBB494_5
; %bb.4:                                ;   in Loop: Header=BB494_3 Depth=1
	v_add_co_u32 v16, vcc_lo, v14, s12
	v_add_co_ci_u32_e64 v17, null, s13, v15, vcc_lo
	global_load_sbyte v16, v[16:17], off
.LBB494_5:                              ;   in Loop: Header=BB494_3 Depth=1
	s_or_b32 exec_lo, exec_lo, s9
	v_add_co_u32 v17, s9, v6, s12
	v_add_co_ci_u32_e64 v18, null, 0, s13, s9
	s_waitcnt vmcnt(0)
	ds_write_b32 v12, v16
	v_cmp_gt_i64_e32 vcc_lo, s[10:11], v[17:18]
	v_mov_b32_e32 v17, 0
	s_and_b32 s16, vcc_lo, s1
	s_and_saveexec_b32 s9, s16
	s_cbranch_execz .LBB494_2
; %bb.6:                                ;   in Loop: Header=BB494_3 Depth=1
	global_load_sbyte v17, v[4:5], off
	s_branch .LBB494_2
.LBB494_7:
	s_clause 0x3
	s_load_dwordx4 s[24:27], s[4:5], 0x78
	s_load_dwordx8 s[12:19], s[4:5], 0x58
	s_load_dword s9, s[4:5], 0x50
	s_load_dword s4, s[4:5], 0x18
	v_add_co_u32 v1, s2, s2, v1
	v_add_co_ci_u32_e64 v2, null, s3, 0, s2
	s_waitcnt lgkmcnt(0)
	s_mul_i32 s0, s27, s8
	s_mul_hi_u32 s1, s26, s8
	s_add_i32 s1, s1, s0
	s_mul_i32 s0, s26, s8
	s_lshl_b64 s[10:11], s[0:1], 2
	v_cmp_gt_i64_e64 s0, s[22:23], v[1:2]
	s_add_u32 s3, s18, s10
	s_addc_u32 s5, s19, s11
	s_cmp_eq_u32 s9, 0
	s_cbranch_scc1 .LBB494_20
; %bb.8:
	s_and_saveexec_b32 s10, s0
	s_cbranch_execz .LBB494_18
; %bb.9:
	v_mul_lo_u32 v6, v2, s14
	v_mul_lo_u32 v7, v1, s15
	v_mad_u64_u32 v[4:5], null, v1, s14, 0
	v_mul_lo_u32 v13, v2, s24
	v_mul_lo_u32 v14, v1, s25
	v_mad_u64_u32 v[11:12], null, v1, s24, 0
	s_mul_i32 s1, s17, s8
	s_mul_hi_u32 s2, s16, s8
	v_add3_u32 v5, v5, v7, v6
	s_add_i32 s17, s2, s1
	s_mul_i32 s16, s16, s8
	v_add_co_u32 v6, s1, s6, v0
	v_add3_u32 v12, v12, v14, v13
	v_lshlrev_b64 v[4:5], 2, v[4:5]
	s_lshl_b64 s[16:17], s[16:17], 2
	v_add_co_ci_u32_e64 v7, null, s7, 0, s1
	v_lshlrev_b64 v[13:14], 2, v[11:12]
	s_add_u32 s1, s12, s16
	s_addc_u32 s2, s13, s17
	v_add_co_u32 v11, s1, s1, v4
	v_add_co_ci_u32_e64 v12, null, s2, v5, s1
	v_add_co_u32 v13, s1, s3, v13
	v_cmp_gt_i64_e32 vcc_lo, s[20:21], v[6:7]
	v_lshlrev_b64 v[4:5], 2, v[6:7]
	v_add_co_ci_u32_e64 v14, null, s5, v14, s1
	s_and_saveexec_b32 s2, vcc_lo
	s_cbranch_execz .LBB494_11
; %bb.10:
	v_add_co_u32 v15, s1, v11, v4
	v_add_co_ci_u32_e64 v16, null, v12, v5, s1
	global_load_dword v16, v[15:16], off
	v_mul_lo_u32 v15, v10, s4
	s_waitcnt vmcnt(0)
	v_mad_u64_u32 v[15:16], null, v16, s9, v[15:16]
	v_add_co_u32 v16, s1, v13, v4
	v_add_co_ci_u32_e64 v17, null, v14, v5, s1
	global_store_dword v[16:17], v15, off
.LBB494_11:
	s_or_b32 exec_lo, exec_lo, s2
	v_add_co_u32 v6, s1, v6, 16
	v_add_co_ci_u32_e64 v7, null, 0, v7, s1
	v_cmp_gt_i64_e64 s1, s[20:21], v[6:7]
	s_and_saveexec_b32 s8, s1
	s_cbranch_execz .LBB494_13
; %bb.12:
	v_add_co_u32 v6, s2, v11, v4
	v_add_co_ci_u32_e64 v7, null, v12, v5, s2
	v_add_co_u32 v15, s2, v13, v4
	v_add_co_ci_u32_e64 v16, null, v14, v5, s2
	global_load_dword v7, v[6:7], off offset:64
	v_mul_lo_u32 v6, v9, s4
	s_waitcnt vmcnt(0)
	v_mad_u64_u32 v[6:7], null, v7, s9, v[6:7]
	global_store_dword v[15:16], v6, off offset:64
.LBB494_13:
	s_or_b32 exec_lo, exec_lo, s8
	v_add_co_u32 v6, s2, v1, 16
	v_add_co_ci_u32_e64 v7, null, 0, v2, s2
	v_cmp_gt_i64_e64 s2, s[22:23], v[6:7]
	s_and_b32 exec_lo, exec_lo, s2
	s_cbranch_execz .LBB494_18
; %bb.14:
	s_lshl_b64 s[12:13], s[14:15], 6
	v_add_co_u32 v6, s2, v11, s12
	v_add_co_ci_u32_e64 v7, null, s13, v12, s2
	s_lshl_b64 s[12:13], s[24:25], 6
	v_add_co_u32 v11, s2, v13, s12
	v_add_co_ci_u32_e64 v12, null, s13, v14, s2
	v_add_co_u32 v6, s2, v6, v4
	v_add_co_ci_u32_e64 v7, null, v7, v5, s2
	;; [unrolled: 2-line block ×3, first 2 shown]
	s_and_saveexec_b32 s2, vcc_lo
	s_cbranch_execz .LBB494_16
; %bb.15:
	global_load_dword v12, v[6:7], off
	v_mul_lo_u32 v11, v8, s4
	s_waitcnt vmcnt(0)
	v_mad_u64_u32 v[11:12], null, v12, s9, v[11:12]
	global_store_dword v[4:5], v11, off
.LBB494_16:
	s_or_b32 exec_lo, exec_lo, s2
	s_and_b32 exec_lo, exec_lo, s1
	s_cbranch_execz .LBB494_18
; %bb.17:
	global_load_dword v7, v[6:7], off offset:64
	v_mul_lo_u32 v6, v3, s4
	s_waitcnt vmcnt(0)
	v_mad_u64_u32 v[6:7], null, v7, s9, v[6:7]
	global_store_dword v[4:5], v6, off offset:64
.LBB494_18:
	s_or_b32 exec_lo, exec_lo, s10
	s_cbranch_execz .LBB494_21
.LBB494_19:
	s_endpgm
.LBB494_20:
.LBB494_21:
	s_and_saveexec_b32 s1, s0
	s_cbranch_execz .LBB494_19
; %bb.22:
	v_mul_lo_u32 v6, v2, s24
	v_mul_lo_u32 v7, v1, s25
	v_mad_u64_u32 v[4:5], null, v1, s24, 0
	v_add3_u32 v5, v5, v7, v6
	v_add_co_u32 v6, s0, s6, v0
	v_add_co_ci_u32_e64 v7, null, s7, 0, s0
	v_lshlrev_b64 v[11:12], 2, v[4:5]
	v_cmp_gt_i64_e32 vcc_lo, s[20:21], v[6:7]
	v_lshlrev_b64 v[4:5], 2, v[6:7]
	v_add_co_u32 v0, s0, s3, v11
	v_add_co_ci_u32_e64 v11, null, s5, v12, s0
	s_and_saveexec_b32 s1, vcc_lo
	s_cbranch_execz .LBB494_24
; %bb.23:
	v_mul_lo_u32 v10, v10, s4
	v_add_co_u32 v12, s0, v0, v4
	v_add_co_ci_u32_e64 v13, null, v11, v5, s0
	global_store_dword v[12:13], v10, off
.LBB494_24:
	s_or_b32 exec_lo, exec_lo, s1
	v_add_co_u32 v6, s0, v6, 16
	v_add_co_ci_u32_e64 v7, null, 0, v7, s0
	v_cmp_gt_i64_e64 s0, s[20:21], v[6:7]
	s_and_saveexec_b32 s2, s0
	s_cbranch_execz .LBB494_26
; %bb.25:
	v_mul_lo_u32 v9, v9, s4
	v_add_co_u32 v6, s1, v0, v4
	v_add_co_ci_u32_e64 v7, null, v11, v5, s1
	global_store_dword v[6:7], v9, off offset:64
.LBB494_26:
	s_or_b32 exec_lo, exec_lo, s2
	v_add_co_u32 v1, s1, v1, 16
	v_add_co_ci_u32_e64 v2, null, 0, v2, s1
	v_cmp_gt_i64_e64 s1, s[22:23], v[1:2]
	s_and_b32 exec_lo, exec_lo, s1
	s_cbranch_execz .LBB494_19
; %bb.27:
	s_lshl_b64 s[2:3], s[24:25], 6
	v_add_co_u32 v0, s1, v0, s2
	v_add_co_ci_u32_e64 v1, null, s3, v11, s1
	v_add_co_u32 v0, s1, v0, v4
	v_add_co_ci_u32_e64 v1, null, v1, v5, s1
	s_and_saveexec_b32 s1, vcc_lo
	s_cbranch_execz .LBB494_29
; %bb.28:
	v_mul_lo_u32 v2, v8, s4
	global_store_dword v[0:1], v2, off
.LBB494_29:
	s_or_b32 exec_lo, exec_lo, s1
	s_and_b32 exec_lo, exec_lo, s0
	s_cbranch_execz .LBB494_19
; %bb.30:
	v_mul_lo_u32 v2, v3, s4
	global_store_dword v[0:1], v2, off offset:64
	s_endpgm
	.section	.rodata,"a",@progbits
	.p2align	6, 0x0
	.amdhsa_kernel _ZN12_GLOBAL__N_135rocblas_gemm_batched_general_kernelIiLi16ELi16ELi32ELi32ELi8ELi32ELi8ELi8ELi32ELc84ELc84EKaKiiEEvlllT_PT11_llS5_llS3_PT12_llPT13_lli
		.amdhsa_group_segment_fixed_size 2048
		.amdhsa_private_segment_fixed_size 0
		.amdhsa_kernarg_size 140
		.amdhsa_user_sgpr_count 6
		.amdhsa_user_sgpr_private_segment_buffer 1
		.amdhsa_user_sgpr_dispatch_ptr 0
		.amdhsa_user_sgpr_queue_ptr 0
		.amdhsa_user_sgpr_kernarg_segment_ptr 1
		.amdhsa_user_sgpr_dispatch_id 0
		.amdhsa_user_sgpr_flat_scratch_init 0
		.amdhsa_user_sgpr_private_segment_size 0
		.amdhsa_wavefront_size32 1
		.amdhsa_uses_dynamic_stack 0
		.amdhsa_system_sgpr_private_segment_wavefront_offset 0
		.amdhsa_system_sgpr_workgroup_id_x 1
		.amdhsa_system_sgpr_workgroup_id_y 1
		.amdhsa_system_sgpr_workgroup_id_z 1
		.amdhsa_system_sgpr_workgroup_info 0
		.amdhsa_system_vgpr_workitem_id 1
		.amdhsa_next_free_vgpr 45
		.amdhsa_next_free_sgpr 28
		.amdhsa_reserve_vcc 1
		.amdhsa_reserve_flat_scratch 0
		.amdhsa_float_round_mode_32 0
		.amdhsa_float_round_mode_16_64 0
		.amdhsa_float_denorm_mode_32 3
		.amdhsa_float_denorm_mode_16_64 3
		.amdhsa_dx10_clamp 1
		.amdhsa_ieee_mode 1
		.amdhsa_fp16_overflow 0
		.amdhsa_workgroup_processor_mode 1
		.amdhsa_memory_ordered 1
		.amdhsa_forward_progress 1
		.amdhsa_shared_vgpr_count 0
		.amdhsa_exception_fp_ieee_invalid_op 0
		.amdhsa_exception_fp_denorm_src 0
		.amdhsa_exception_fp_ieee_div_zero 0
		.amdhsa_exception_fp_ieee_overflow 0
		.amdhsa_exception_fp_ieee_underflow 0
		.amdhsa_exception_fp_ieee_inexact 0
		.amdhsa_exception_int_div_zero 0
	.end_amdhsa_kernel
	.section	.text._ZN12_GLOBAL__N_135rocblas_gemm_batched_general_kernelIiLi16ELi16ELi32ELi32ELi8ELi32ELi8ELi8ELi32ELc84ELc84EKaKiiEEvlllT_PT11_llS5_llS3_PT12_llPT13_lli,"axG",@progbits,_ZN12_GLOBAL__N_135rocblas_gemm_batched_general_kernelIiLi16ELi16ELi32ELi32ELi8ELi32ELi8ELi8ELi32ELc84ELc84EKaKiiEEvlllT_PT11_llS5_llS3_PT12_llPT13_lli,comdat
.Lfunc_end494:
	.size	_ZN12_GLOBAL__N_135rocblas_gemm_batched_general_kernelIiLi16ELi16ELi32ELi32ELi8ELi32ELi8ELi8ELi32ELc84ELc84EKaKiiEEvlllT_PT11_llS5_llS3_PT12_llPT13_lli, .Lfunc_end494-_ZN12_GLOBAL__N_135rocblas_gemm_batched_general_kernelIiLi16ELi16ELi32ELi32ELi8ELi32ELi8ELi8ELi32ELc84ELc84EKaKiiEEvlllT_PT11_llS5_llS3_PT12_llPT13_lli
                                        ; -- End function
	.set _ZN12_GLOBAL__N_135rocblas_gemm_batched_general_kernelIiLi16ELi16ELi32ELi32ELi8ELi32ELi8ELi8ELi32ELc84ELc84EKaKiiEEvlllT_PT11_llS5_llS3_PT12_llPT13_lli.num_vgpr, 45
	.set _ZN12_GLOBAL__N_135rocblas_gemm_batched_general_kernelIiLi16ELi16ELi32ELi32ELi8ELi32ELi8ELi8ELi32ELc84ELc84EKaKiiEEvlllT_PT11_llS5_llS3_PT12_llPT13_lli.num_agpr, 0
	.set _ZN12_GLOBAL__N_135rocblas_gemm_batched_general_kernelIiLi16ELi16ELi32ELi32ELi8ELi32ELi8ELi8ELi32ELc84ELc84EKaKiiEEvlllT_PT11_llS5_llS3_PT12_llPT13_lli.numbered_sgpr, 28
	.set _ZN12_GLOBAL__N_135rocblas_gemm_batched_general_kernelIiLi16ELi16ELi32ELi32ELi8ELi32ELi8ELi8ELi32ELc84ELc84EKaKiiEEvlllT_PT11_llS5_llS3_PT12_llPT13_lli.num_named_barrier, 0
	.set _ZN12_GLOBAL__N_135rocblas_gemm_batched_general_kernelIiLi16ELi16ELi32ELi32ELi8ELi32ELi8ELi8ELi32ELc84ELc84EKaKiiEEvlllT_PT11_llS5_llS3_PT12_llPT13_lli.private_seg_size, 0
	.set _ZN12_GLOBAL__N_135rocblas_gemm_batched_general_kernelIiLi16ELi16ELi32ELi32ELi8ELi32ELi8ELi8ELi32ELc84ELc84EKaKiiEEvlllT_PT11_llS5_llS3_PT12_llPT13_lli.uses_vcc, 1
	.set _ZN12_GLOBAL__N_135rocblas_gemm_batched_general_kernelIiLi16ELi16ELi32ELi32ELi8ELi32ELi8ELi8ELi32ELc84ELc84EKaKiiEEvlllT_PT11_llS5_llS3_PT12_llPT13_lli.uses_flat_scratch, 0
	.set _ZN12_GLOBAL__N_135rocblas_gemm_batched_general_kernelIiLi16ELi16ELi32ELi32ELi8ELi32ELi8ELi8ELi32ELc84ELc84EKaKiiEEvlllT_PT11_llS5_llS3_PT12_llPT13_lli.has_dyn_sized_stack, 0
	.set _ZN12_GLOBAL__N_135rocblas_gemm_batched_general_kernelIiLi16ELi16ELi32ELi32ELi8ELi32ELi8ELi8ELi32ELc84ELc84EKaKiiEEvlllT_PT11_llS5_llS3_PT12_llPT13_lli.has_recursion, 0
	.set _ZN12_GLOBAL__N_135rocblas_gemm_batched_general_kernelIiLi16ELi16ELi32ELi32ELi8ELi32ELi8ELi8ELi32ELc84ELc84EKaKiiEEvlllT_PT11_llS5_llS3_PT12_llPT13_lli.has_indirect_call, 0
	.section	.AMDGPU.csdata,"",@progbits
; Kernel info:
; codeLenInByte = 2116
; TotalNumSgprs: 30
; NumVgprs: 45
; ScratchSize: 0
; MemoryBound: 0
; FloatMode: 240
; IeeeMode: 1
; LDSByteSize: 2048 bytes/workgroup (compile time only)
; SGPRBlocks: 0
; VGPRBlocks: 5
; NumSGPRsForWavesPerEU: 30
; NumVGPRsForWavesPerEU: 45
; Occupancy: 16
; WaveLimiterHint : 0
; COMPUTE_PGM_RSRC2:SCRATCH_EN: 0
; COMPUTE_PGM_RSRC2:USER_SGPR: 6
; COMPUTE_PGM_RSRC2:TRAP_HANDLER: 0
; COMPUTE_PGM_RSRC2:TGID_X_EN: 1
; COMPUTE_PGM_RSRC2:TGID_Y_EN: 1
; COMPUTE_PGM_RSRC2:TGID_Z_EN: 1
; COMPUTE_PGM_RSRC2:TIDIG_COMP_CNT: 1
	.section	.text._ZN12_GLOBAL__N_135rocblas_gemm_batched_general_kernelIiLi16ELi16ELi32ELi32ELi8ELi32ELi8ELi8ELi32ELc67ELc67EKaKiiEEvlllT_PT11_llS5_llS3_PT12_llPT13_lli,"axG",@progbits,_ZN12_GLOBAL__N_135rocblas_gemm_batched_general_kernelIiLi16ELi16ELi32ELi32ELi8ELi32ELi8ELi8ELi32ELc67ELc67EKaKiiEEvlllT_PT11_llS5_llS3_PT12_llPT13_lli,comdat
	.globl	_ZN12_GLOBAL__N_135rocblas_gemm_batched_general_kernelIiLi16ELi16ELi32ELi32ELi8ELi32ELi8ELi8ELi32ELc67ELc67EKaKiiEEvlllT_PT11_llS5_llS3_PT12_llPT13_lli ; -- Begin function _ZN12_GLOBAL__N_135rocblas_gemm_batched_general_kernelIiLi16ELi16ELi32ELi32ELi8ELi32ELi8ELi8ELi32ELc67ELc67EKaKiiEEvlllT_PT11_llS5_llS3_PT12_llPT13_lli
	.p2align	8
	.type	_ZN12_GLOBAL__N_135rocblas_gemm_batched_general_kernelIiLi16ELi16ELi32ELi32ELi8ELi32ELi8ELi8ELi32ELc67ELc67EKaKiiEEvlllT_PT11_llS5_llS3_PT12_llPT13_lli,@function
_ZN12_GLOBAL__N_135rocblas_gemm_batched_general_kernelIiLi16ELi16ELi32ELi32ELi8ELi32ELi8ELi8ELi32ELc67ELc67EKaKiiEEvlllT_PT11_llS5_llS3_PT12_llPT13_lli: ; @_ZN12_GLOBAL__N_135rocblas_gemm_batched_general_kernelIiLi16ELi16ELi32ELi32ELi8ELi32ELi8ELi8ELi32ELc67ELc67EKaKiiEEvlllT_PT11_llS5_llS3_PT12_llPT13_lli
; %bb.0:
	s_clause 0x1
	s_load_dwordx2 s[10:11], s[4:5], 0x10
	s_load_dwordx4 s[20:23], s[4:5], 0x0
	s_mov_b32 s0, s7
	v_mov_b32_e32 v10, 0
	v_mov_b32_e32 v9, 0
	v_mov_b32_e32 v8, 0
	v_mov_b32_e32 v3, 0
	s_ashr_i32 s7, s6, 31
	s_ashr_i32 s1, s0, 31
	s_lshl_b64 s[6:7], s[6:7], 5
	s_waitcnt lgkmcnt(0)
	v_cmp_lt_i64_e64 s2, s[10:11], 1
	s_and_b32 vcc_lo, exec_lo, s2
	s_lshl_b64 s[2:3], s[0:1], 5
	s_cbranch_vccnz .LBB495_7
; %bb.1:
	s_clause 0x1
	s_load_dwordx4 s[24:27], s[4:5], 0x40
	s_load_dwordx8 s[12:19], s[4:5], 0x20
	v_lshl_add_u32 v4, v1, 4, v0
	v_mov_b32_e32 v3, 0
	v_lshl_add_u32 v11, v1, 5, 0x400
	v_and_b32_e32 v6, 7, v0
	v_mov_b32_e32 v5, s7
	v_lshrrev_b32_e32 v12, 3, v4
	v_mov_b32_e32 v13, v3
	v_and_b32_e32 v20, 31, v4
	v_lshrrev_b32_e32 v2, 5, v4
	v_lshlrev_b32_e32 v7, 2, v0
	v_add_co_u32 v16, s0, v12, s2
	v_add_co_ci_u32_e64 v17, null, 0, s3, s0
	v_or_b32_e32 v4, s6, v20
	v_mov_b32_e32 v8, v3
	v_mov_b32_e32 v9, v3
	v_cmp_gt_i64_e64 s1, s[22:23], v[16:17]
	s_waitcnt lgkmcnt(0)
	v_mad_u64_u32 v[14:15], null, s26, s8, v[12:13]
	v_lshlrev_b32_e32 v13, 2, v6
	s_mul_i32 s9, s17, s8
	s_mul_hi_u32 s17, s16, s8
	s_mul_i32 s16, s16, s8
	s_add_i32 s17, s17, s9
	v_lshl_or_b32 v13, v12, 5, v13
	v_mov_b32_e32 v10, v15
	v_lshlrev_b32_e32 v15, 2, v20
	s_add_u32 s9, s18, s2
	s_addc_u32 s18, s19, s3
	v_add_nc_u32_e32 v13, 0x400, v13
	v_mad_u64_u32 v[18:19], null, s27, s8, v[10:11]
	v_add_co_u32 v10, s0, s6, v20
	v_add_co_ci_u32_e64 v19, null, s7, 0, s0
	v_lshl_or_b32 v12, v2, 7, v15
	v_cmp_gt_i64_e64 s0, s[20:21], v[4:5]
	v_mov_b32_e32 v15, v18
	v_mul_lo_u32 v16, s14, v19
	v_mad_u64_u32 v[4:5], null, s24, v6, v[14:15]
	v_mad_u64_u32 v[14:15], null, s14, v10, v[2:3]
	v_mul_lo_u32 v10, s15, v10
	s_lshl_b64 s[14:15], s[24:25], 3
	s_add_u32 s12, s12, s16
	s_addc_u32 s13, s13, s17
	v_add_co_u32 v14, vcc_lo, s12, v14
	v_add3_u32 v10, v10, v15, v16
	v_mad_u64_u32 v[16:17], null, s25, v6, v[5:6]
	v_add_co_ci_u32_e64 v15, null, s13, v10, vcc_lo
	v_add_co_u32 v4, vcc_lo, s9, v4
	v_add_co_ci_u32_e64 v5, null, s18, v16, vcc_lo
	v_mov_b32_e32 v10, v3
	s_mov_b64 s[12:13], 0
	s_branch .LBB495_3
.LBB495_2:                              ;   in Loop: Header=BB495_3 Depth=1
	s_or_b32 exec_lo, exec_lo, s9
	s_waitcnt vmcnt(0)
	ds_write_b32 v13, v17
	s_waitcnt lgkmcnt(0)
	s_barrier
	buffer_gl0_inv
	ds_read_b128 v[16:19], v11
	ds_read2_b32 v[32:33], v7 offset1:16
	ds_read_b128 v[20:23], v11 offset:512
	ds_read2_b32 v[34:35], v7 offset0:32 offset1:48
	ds_read2_b32 v[36:37], v7 offset0:64 offset1:80
	;; [unrolled: 1-line block ×3, first 2 shown]
	ds_read_b128 v[24:27], v11 offset:16
	ds_read2_b32 v[40:41], v7 offset0:128 offset1:144
	ds_read_b128 v[28:31], v11 offset:528
	ds_read2_b32 v[42:43], v7 offset0:160 offset1:176
	s_add_u32 s12, s12, 8
	s_addc_u32 s13, s13, 0
	v_add_co_u32 v4, vcc_lo, v4, s14
	v_cmp_lt_i64_e64 s9, s[12:13], s[10:11]
	v_add_co_ci_u32_e64 v5, null, s15, v5, vcc_lo
	s_and_b32 vcc_lo, exec_lo, s9
	s_waitcnt lgkmcnt(8)
	v_mul_lo_u32 v44, v16, v32
	v_mul_lo_u32 v16, v16, v33
	s_waitcnt lgkmcnt(7)
	v_mul_lo_u32 v32, v20, v32
	v_mul_lo_u32 v20, v20, v33
	;; [unrolled: 3-line block ×3, first 2 shown]
	v_mul_lo_u32 v34, v21, v34
	v_mul_lo_u32 v21, v21, v35
	s_waitcnt lgkmcnt(5)
	v_mul_lo_u32 v35, v18, v36
	v_mul_lo_u32 v18, v18, v37
	;; [unrolled: 1-line block ×4, first 2 shown]
	v_add3_u32 v33, v10, v44, v33
	v_add3_u32 v44, v9, v16, v17
	ds_read2_b32 v[9:10], v7 offset0:192 offset1:208
	ds_read2_b32 v[16:17], v7 offset0:224 offset1:240
	s_waitcnt lgkmcnt(6)
	v_mul_lo_u32 v37, v19, v38
	v_mul_lo_u32 v19, v19, v39
	;; [unrolled: 1-line block ×4, first 2 shown]
	v_add3_u32 v3, v3, v20, v21
	s_waitcnt lgkmcnt(4)
	v_mul_lo_u32 v20, v24, v40
	s_waitcnt lgkmcnt(2)
	v_mul_lo_u32 v21, v25, v42
	v_add3_u32 v8, v8, v32, v34
	v_add3_u32 v32, v33, v35, v37
	;; [unrolled: 1-line block ×3, first 2 shown]
	v_mul_lo_u32 v19, v24, v41
	v_add3_u32 v3, v3, v22, v23
	v_mul_lo_u32 v22, v28, v40
	v_mul_lo_u32 v23, v28, v41
	v_add3_u32 v20, v32, v20, v21
	v_mul_lo_u32 v21, v25, v43
	v_mul_lo_u32 v24, v29, v42
	;; [unrolled: 1-line block ×3, first 2 shown]
	v_add3_u32 v8, v8, v36, v38
	s_waitcnt lgkmcnt(1)
	v_mul_lo_u32 v28, v26, v9
	v_mul_lo_u32 v26, v26, v10
	;; [unrolled: 1-line block ×4, first 2 shown]
	s_waitcnt lgkmcnt(0)
	v_mul_lo_u32 v9, v27, v16
	v_mul_lo_u32 v27, v27, v17
	v_mul_lo_u32 v16, v31, v16
	v_mul_lo_u32 v17, v31, v17
	v_add3_u32 v18, v18, v19, v21
	v_add3_u32 v8, v8, v22, v24
	;; [unrolled: 1-line block ×7, first 2 shown]
	s_barrier
	buffer_gl0_inv
	s_cbranch_vccz .LBB495_7
.LBB495_3:                              ; =>This Inner Loop Header: Depth=1
	v_add_co_u32 v16, s9, v2, s12
	v_add_co_ci_u32_e64 v17, null, 0, s13, s9
	v_cmp_gt_i64_e32 vcc_lo, s[10:11], v[16:17]
	v_mov_b32_e32 v16, 0
	s_and_b32 s16, s0, vcc_lo
	s_and_saveexec_b32 s9, s16
	s_cbranch_execz .LBB495_5
; %bb.4:                                ;   in Loop: Header=BB495_3 Depth=1
	v_add_co_u32 v16, vcc_lo, v14, s12
	v_add_co_ci_u32_e64 v17, null, s13, v15, vcc_lo
	global_load_sbyte v16, v[16:17], off
.LBB495_5:                              ;   in Loop: Header=BB495_3 Depth=1
	s_or_b32 exec_lo, exec_lo, s9
	v_add_co_u32 v17, s9, v6, s12
	v_add_co_ci_u32_e64 v18, null, 0, s13, s9
	s_waitcnt vmcnt(0)
	ds_write_b32 v12, v16
	v_cmp_gt_i64_e32 vcc_lo, s[10:11], v[17:18]
	v_mov_b32_e32 v17, 0
	s_and_b32 s16, vcc_lo, s1
	s_and_saveexec_b32 s9, s16
	s_cbranch_execz .LBB495_2
; %bb.6:                                ;   in Loop: Header=BB495_3 Depth=1
	global_load_sbyte v17, v[4:5], off
	s_branch .LBB495_2
.LBB495_7:
	s_clause 0x3
	s_load_dwordx4 s[24:27], s[4:5], 0x78
	s_load_dwordx8 s[12:19], s[4:5], 0x58
	s_load_dword s9, s[4:5], 0x50
	s_load_dword s4, s[4:5], 0x18
	v_add_co_u32 v1, s2, s2, v1
	v_add_co_ci_u32_e64 v2, null, s3, 0, s2
	s_waitcnt lgkmcnt(0)
	s_mul_i32 s0, s27, s8
	s_mul_hi_u32 s1, s26, s8
	s_add_i32 s1, s1, s0
	s_mul_i32 s0, s26, s8
	s_lshl_b64 s[10:11], s[0:1], 2
	v_cmp_gt_i64_e64 s0, s[22:23], v[1:2]
	s_add_u32 s3, s18, s10
	s_addc_u32 s5, s19, s11
	s_cmp_eq_u32 s9, 0
	s_cbranch_scc1 .LBB495_20
; %bb.8:
	s_and_saveexec_b32 s10, s0
	s_cbranch_execz .LBB495_18
; %bb.9:
	v_mul_lo_u32 v6, v2, s14
	v_mul_lo_u32 v7, v1, s15
	v_mad_u64_u32 v[4:5], null, v1, s14, 0
	v_mul_lo_u32 v13, v2, s24
	v_mul_lo_u32 v14, v1, s25
	v_mad_u64_u32 v[11:12], null, v1, s24, 0
	s_mul_i32 s1, s17, s8
	s_mul_hi_u32 s2, s16, s8
	v_add3_u32 v5, v5, v7, v6
	s_add_i32 s17, s2, s1
	s_mul_i32 s16, s16, s8
	v_add_co_u32 v6, s1, s6, v0
	v_add3_u32 v12, v12, v14, v13
	v_lshlrev_b64 v[4:5], 2, v[4:5]
	s_lshl_b64 s[16:17], s[16:17], 2
	v_add_co_ci_u32_e64 v7, null, s7, 0, s1
	v_lshlrev_b64 v[13:14], 2, v[11:12]
	s_add_u32 s1, s12, s16
	s_addc_u32 s2, s13, s17
	v_add_co_u32 v11, s1, s1, v4
	v_add_co_ci_u32_e64 v12, null, s2, v5, s1
	v_add_co_u32 v13, s1, s3, v13
	v_cmp_gt_i64_e32 vcc_lo, s[20:21], v[6:7]
	v_lshlrev_b64 v[4:5], 2, v[6:7]
	v_add_co_ci_u32_e64 v14, null, s5, v14, s1
	s_and_saveexec_b32 s2, vcc_lo
	s_cbranch_execz .LBB495_11
; %bb.10:
	v_add_co_u32 v15, s1, v11, v4
	v_add_co_ci_u32_e64 v16, null, v12, v5, s1
	global_load_dword v16, v[15:16], off
	v_mul_lo_u32 v15, v10, s4
	s_waitcnt vmcnt(0)
	v_mad_u64_u32 v[15:16], null, v16, s9, v[15:16]
	v_add_co_u32 v16, s1, v13, v4
	v_add_co_ci_u32_e64 v17, null, v14, v5, s1
	global_store_dword v[16:17], v15, off
.LBB495_11:
	s_or_b32 exec_lo, exec_lo, s2
	v_add_co_u32 v6, s1, v6, 16
	v_add_co_ci_u32_e64 v7, null, 0, v7, s1
	v_cmp_gt_i64_e64 s1, s[20:21], v[6:7]
	s_and_saveexec_b32 s8, s1
	s_cbranch_execz .LBB495_13
; %bb.12:
	v_add_co_u32 v6, s2, v11, v4
	v_add_co_ci_u32_e64 v7, null, v12, v5, s2
	v_add_co_u32 v15, s2, v13, v4
	v_add_co_ci_u32_e64 v16, null, v14, v5, s2
	global_load_dword v7, v[6:7], off offset:64
	v_mul_lo_u32 v6, v9, s4
	s_waitcnt vmcnt(0)
	v_mad_u64_u32 v[6:7], null, v7, s9, v[6:7]
	global_store_dword v[15:16], v6, off offset:64
.LBB495_13:
	s_or_b32 exec_lo, exec_lo, s8
	v_add_co_u32 v6, s2, v1, 16
	v_add_co_ci_u32_e64 v7, null, 0, v2, s2
	v_cmp_gt_i64_e64 s2, s[22:23], v[6:7]
	s_and_b32 exec_lo, exec_lo, s2
	s_cbranch_execz .LBB495_18
; %bb.14:
	s_lshl_b64 s[12:13], s[14:15], 6
	v_add_co_u32 v6, s2, v11, s12
	v_add_co_ci_u32_e64 v7, null, s13, v12, s2
	s_lshl_b64 s[12:13], s[24:25], 6
	v_add_co_u32 v11, s2, v13, s12
	v_add_co_ci_u32_e64 v12, null, s13, v14, s2
	v_add_co_u32 v6, s2, v6, v4
	v_add_co_ci_u32_e64 v7, null, v7, v5, s2
	;; [unrolled: 2-line block ×3, first 2 shown]
	s_and_saveexec_b32 s2, vcc_lo
	s_cbranch_execz .LBB495_16
; %bb.15:
	global_load_dword v12, v[6:7], off
	v_mul_lo_u32 v11, v8, s4
	s_waitcnt vmcnt(0)
	v_mad_u64_u32 v[11:12], null, v12, s9, v[11:12]
	global_store_dword v[4:5], v11, off
.LBB495_16:
	s_or_b32 exec_lo, exec_lo, s2
	s_and_b32 exec_lo, exec_lo, s1
	s_cbranch_execz .LBB495_18
; %bb.17:
	global_load_dword v7, v[6:7], off offset:64
	v_mul_lo_u32 v6, v3, s4
	s_waitcnt vmcnt(0)
	v_mad_u64_u32 v[6:7], null, v7, s9, v[6:7]
	global_store_dword v[4:5], v6, off offset:64
.LBB495_18:
	s_or_b32 exec_lo, exec_lo, s10
	s_cbranch_execz .LBB495_21
.LBB495_19:
	s_endpgm
.LBB495_20:
.LBB495_21:
	s_and_saveexec_b32 s1, s0
	s_cbranch_execz .LBB495_19
; %bb.22:
	v_mul_lo_u32 v6, v2, s24
	v_mul_lo_u32 v7, v1, s25
	v_mad_u64_u32 v[4:5], null, v1, s24, 0
	v_add3_u32 v5, v5, v7, v6
	v_add_co_u32 v6, s0, s6, v0
	v_add_co_ci_u32_e64 v7, null, s7, 0, s0
	v_lshlrev_b64 v[11:12], 2, v[4:5]
	v_cmp_gt_i64_e32 vcc_lo, s[20:21], v[6:7]
	v_lshlrev_b64 v[4:5], 2, v[6:7]
	v_add_co_u32 v0, s0, s3, v11
	v_add_co_ci_u32_e64 v11, null, s5, v12, s0
	s_and_saveexec_b32 s1, vcc_lo
	s_cbranch_execz .LBB495_24
; %bb.23:
	v_mul_lo_u32 v10, v10, s4
	v_add_co_u32 v12, s0, v0, v4
	v_add_co_ci_u32_e64 v13, null, v11, v5, s0
	global_store_dword v[12:13], v10, off
.LBB495_24:
	s_or_b32 exec_lo, exec_lo, s1
	v_add_co_u32 v6, s0, v6, 16
	v_add_co_ci_u32_e64 v7, null, 0, v7, s0
	v_cmp_gt_i64_e64 s0, s[20:21], v[6:7]
	s_and_saveexec_b32 s2, s0
	s_cbranch_execz .LBB495_26
; %bb.25:
	v_mul_lo_u32 v9, v9, s4
	v_add_co_u32 v6, s1, v0, v4
	v_add_co_ci_u32_e64 v7, null, v11, v5, s1
	global_store_dword v[6:7], v9, off offset:64
.LBB495_26:
	s_or_b32 exec_lo, exec_lo, s2
	v_add_co_u32 v1, s1, v1, 16
	v_add_co_ci_u32_e64 v2, null, 0, v2, s1
	v_cmp_gt_i64_e64 s1, s[22:23], v[1:2]
	s_and_b32 exec_lo, exec_lo, s1
	s_cbranch_execz .LBB495_19
; %bb.27:
	s_lshl_b64 s[2:3], s[24:25], 6
	v_add_co_u32 v0, s1, v0, s2
	v_add_co_ci_u32_e64 v1, null, s3, v11, s1
	v_add_co_u32 v0, s1, v0, v4
	v_add_co_ci_u32_e64 v1, null, v1, v5, s1
	s_and_saveexec_b32 s1, vcc_lo
	s_cbranch_execz .LBB495_29
; %bb.28:
	v_mul_lo_u32 v2, v8, s4
	global_store_dword v[0:1], v2, off
.LBB495_29:
	s_or_b32 exec_lo, exec_lo, s1
	s_and_b32 exec_lo, exec_lo, s0
	s_cbranch_execz .LBB495_19
; %bb.30:
	v_mul_lo_u32 v2, v3, s4
	global_store_dword v[0:1], v2, off offset:64
	s_endpgm
	.section	.rodata,"a",@progbits
	.p2align	6, 0x0
	.amdhsa_kernel _ZN12_GLOBAL__N_135rocblas_gemm_batched_general_kernelIiLi16ELi16ELi32ELi32ELi8ELi32ELi8ELi8ELi32ELc67ELc67EKaKiiEEvlllT_PT11_llS5_llS3_PT12_llPT13_lli
		.amdhsa_group_segment_fixed_size 2048
		.amdhsa_private_segment_fixed_size 0
		.amdhsa_kernarg_size 140
		.amdhsa_user_sgpr_count 6
		.amdhsa_user_sgpr_private_segment_buffer 1
		.amdhsa_user_sgpr_dispatch_ptr 0
		.amdhsa_user_sgpr_queue_ptr 0
		.amdhsa_user_sgpr_kernarg_segment_ptr 1
		.amdhsa_user_sgpr_dispatch_id 0
		.amdhsa_user_sgpr_flat_scratch_init 0
		.amdhsa_user_sgpr_private_segment_size 0
		.amdhsa_wavefront_size32 1
		.amdhsa_uses_dynamic_stack 0
		.amdhsa_system_sgpr_private_segment_wavefront_offset 0
		.amdhsa_system_sgpr_workgroup_id_x 1
		.amdhsa_system_sgpr_workgroup_id_y 1
		.amdhsa_system_sgpr_workgroup_id_z 1
		.amdhsa_system_sgpr_workgroup_info 0
		.amdhsa_system_vgpr_workitem_id 1
		.amdhsa_next_free_vgpr 45
		.amdhsa_next_free_sgpr 28
		.amdhsa_reserve_vcc 1
		.amdhsa_reserve_flat_scratch 0
		.amdhsa_float_round_mode_32 0
		.amdhsa_float_round_mode_16_64 0
		.amdhsa_float_denorm_mode_32 3
		.amdhsa_float_denorm_mode_16_64 3
		.amdhsa_dx10_clamp 1
		.amdhsa_ieee_mode 1
		.amdhsa_fp16_overflow 0
		.amdhsa_workgroup_processor_mode 1
		.amdhsa_memory_ordered 1
		.amdhsa_forward_progress 1
		.amdhsa_shared_vgpr_count 0
		.amdhsa_exception_fp_ieee_invalid_op 0
		.amdhsa_exception_fp_denorm_src 0
		.amdhsa_exception_fp_ieee_div_zero 0
		.amdhsa_exception_fp_ieee_overflow 0
		.amdhsa_exception_fp_ieee_underflow 0
		.amdhsa_exception_fp_ieee_inexact 0
		.amdhsa_exception_int_div_zero 0
	.end_amdhsa_kernel
	.section	.text._ZN12_GLOBAL__N_135rocblas_gemm_batched_general_kernelIiLi16ELi16ELi32ELi32ELi8ELi32ELi8ELi8ELi32ELc67ELc67EKaKiiEEvlllT_PT11_llS5_llS3_PT12_llPT13_lli,"axG",@progbits,_ZN12_GLOBAL__N_135rocblas_gemm_batched_general_kernelIiLi16ELi16ELi32ELi32ELi8ELi32ELi8ELi8ELi32ELc67ELc67EKaKiiEEvlllT_PT11_llS5_llS3_PT12_llPT13_lli,comdat
.Lfunc_end495:
	.size	_ZN12_GLOBAL__N_135rocblas_gemm_batched_general_kernelIiLi16ELi16ELi32ELi32ELi8ELi32ELi8ELi8ELi32ELc67ELc67EKaKiiEEvlllT_PT11_llS5_llS3_PT12_llPT13_lli, .Lfunc_end495-_ZN12_GLOBAL__N_135rocblas_gemm_batched_general_kernelIiLi16ELi16ELi32ELi32ELi8ELi32ELi8ELi8ELi32ELc67ELc67EKaKiiEEvlllT_PT11_llS5_llS3_PT12_llPT13_lli
                                        ; -- End function
	.set _ZN12_GLOBAL__N_135rocblas_gemm_batched_general_kernelIiLi16ELi16ELi32ELi32ELi8ELi32ELi8ELi8ELi32ELc67ELc67EKaKiiEEvlllT_PT11_llS5_llS3_PT12_llPT13_lli.num_vgpr, 45
	.set _ZN12_GLOBAL__N_135rocblas_gemm_batched_general_kernelIiLi16ELi16ELi32ELi32ELi8ELi32ELi8ELi8ELi32ELc67ELc67EKaKiiEEvlllT_PT11_llS5_llS3_PT12_llPT13_lli.num_agpr, 0
	.set _ZN12_GLOBAL__N_135rocblas_gemm_batched_general_kernelIiLi16ELi16ELi32ELi32ELi8ELi32ELi8ELi8ELi32ELc67ELc67EKaKiiEEvlllT_PT11_llS5_llS3_PT12_llPT13_lli.numbered_sgpr, 28
	.set _ZN12_GLOBAL__N_135rocblas_gemm_batched_general_kernelIiLi16ELi16ELi32ELi32ELi8ELi32ELi8ELi8ELi32ELc67ELc67EKaKiiEEvlllT_PT11_llS5_llS3_PT12_llPT13_lli.num_named_barrier, 0
	.set _ZN12_GLOBAL__N_135rocblas_gemm_batched_general_kernelIiLi16ELi16ELi32ELi32ELi8ELi32ELi8ELi8ELi32ELc67ELc67EKaKiiEEvlllT_PT11_llS5_llS3_PT12_llPT13_lli.private_seg_size, 0
	.set _ZN12_GLOBAL__N_135rocblas_gemm_batched_general_kernelIiLi16ELi16ELi32ELi32ELi8ELi32ELi8ELi8ELi32ELc67ELc67EKaKiiEEvlllT_PT11_llS5_llS3_PT12_llPT13_lli.uses_vcc, 1
	.set _ZN12_GLOBAL__N_135rocblas_gemm_batched_general_kernelIiLi16ELi16ELi32ELi32ELi8ELi32ELi8ELi8ELi32ELc67ELc67EKaKiiEEvlllT_PT11_llS5_llS3_PT12_llPT13_lli.uses_flat_scratch, 0
	.set _ZN12_GLOBAL__N_135rocblas_gemm_batched_general_kernelIiLi16ELi16ELi32ELi32ELi8ELi32ELi8ELi8ELi32ELc67ELc67EKaKiiEEvlllT_PT11_llS5_llS3_PT12_llPT13_lli.has_dyn_sized_stack, 0
	.set _ZN12_GLOBAL__N_135rocblas_gemm_batched_general_kernelIiLi16ELi16ELi32ELi32ELi8ELi32ELi8ELi8ELi32ELc67ELc67EKaKiiEEvlllT_PT11_llS5_llS3_PT12_llPT13_lli.has_recursion, 0
	.set _ZN12_GLOBAL__N_135rocblas_gemm_batched_general_kernelIiLi16ELi16ELi32ELi32ELi8ELi32ELi8ELi8ELi32ELc67ELc67EKaKiiEEvlllT_PT11_llS5_llS3_PT12_llPT13_lli.has_indirect_call, 0
	.section	.AMDGPU.csdata,"",@progbits
; Kernel info:
; codeLenInByte = 2116
; TotalNumSgprs: 30
; NumVgprs: 45
; ScratchSize: 0
; MemoryBound: 0
; FloatMode: 240
; IeeeMode: 1
; LDSByteSize: 2048 bytes/workgroup (compile time only)
; SGPRBlocks: 0
; VGPRBlocks: 5
; NumSGPRsForWavesPerEU: 30
; NumVGPRsForWavesPerEU: 45
; Occupancy: 16
; WaveLimiterHint : 0
; COMPUTE_PGM_RSRC2:SCRATCH_EN: 0
; COMPUTE_PGM_RSRC2:USER_SGPR: 6
; COMPUTE_PGM_RSRC2:TRAP_HANDLER: 0
; COMPUTE_PGM_RSRC2:TGID_X_EN: 1
; COMPUTE_PGM_RSRC2:TGID_Y_EN: 1
; COMPUTE_PGM_RSRC2:TGID_Z_EN: 1
; COMPUTE_PGM_RSRC2:TIDIG_COMP_CNT: 1
	.section	.text._ZN12_GLOBAL__N_135rocblas_gemm_batched_general_kernelIiLi16ELi16ELi32ELi32ELi8ELi32ELi8ELi8ELi32ELc67ELc78EKaKiiEEvlllT_PT11_llS5_llS3_PT12_llPT13_lli,"axG",@progbits,_ZN12_GLOBAL__N_135rocblas_gemm_batched_general_kernelIiLi16ELi16ELi32ELi32ELi8ELi32ELi8ELi8ELi32ELc67ELc78EKaKiiEEvlllT_PT11_llS5_llS3_PT12_llPT13_lli,comdat
	.globl	_ZN12_GLOBAL__N_135rocblas_gemm_batched_general_kernelIiLi16ELi16ELi32ELi32ELi8ELi32ELi8ELi8ELi32ELc67ELc78EKaKiiEEvlllT_PT11_llS5_llS3_PT12_llPT13_lli ; -- Begin function _ZN12_GLOBAL__N_135rocblas_gemm_batched_general_kernelIiLi16ELi16ELi32ELi32ELi8ELi32ELi8ELi8ELi32ELc67ELc78EKaKiiEEvlllT_PT11_llS5_llS3_PT12_llPT13_lli
	.p2align	8
	.type	_ZN12_GLOBAL__N_135rocblas_gemm_batched_general_kernelIiLi16ELi16ELi32ELi32ELi8ELi32ELi8ELi8ELi32ELc67ELc78EKaKiiEEvlllT_PT11_llS5_llS3_PT12_llPT13_lli,@function
_ZN12_GLOBAL__N_135rocblas_gemm_batched_general_kernelIiLi16ELi16ELi32ELi32ELi8ELi32ELi8ELi8ELi32ELc67ELc78EKaKiiEEvlllT_PT11_llS5_llS3_PT12_llPT13_lli: ; @_ZN12_GLOBAL__N_135rocblas_gemm_batched_general_kernelIiLi16ELi16ELi32ELi32ELi8ELi32ELi8ELi8ELi32ELc67ELc78EKaKiiEEvlllT_PT11_llS5_llS3_PT12_llPT13_lli
; %bb.0:
	s_clause 0x1
	s_load_dwordx2 s[10:11], s[4:5], 0x10
	s_load_dwordx4 s[20:23], s[4:5], 0x0
	s_mov_b32 s0, s7
	v_mov_b32_e32 v10, 0
	v_mov_b32_e32 v9, 0
	;; [unrolled: 1-line block ×4, first 2 shown]
	s_ashr_i32 s7, s6, 31
	s_ashr_i32 s1, s0, 31
	s_lshl_b64 s[6:7], s[6:7], 5
	s_waitcnt lgkmcnt(0)
	v_cmp_lt_i64_e64 s2, s[10:11], 1
	s_and_b32 vcc_lo, exec_lo, s2
	s_lshl_b64 s[2:3], s[0:1], 5
	s_cbranch_vccnz .LBB496_7
; %bb.1:
	s_clause 0x1
	s_load_dwordx4 s[24:27], s[4:5], 0x40
	s_load_dwordx8 s[12:19], s[4:5], 0x20
	v_lshl_add_u32 v5, v1, 4, v0
	v_and_b32_e32 v4, 7, v0
	v_mov_b32_e32 v6, s7
	v_mov_b32_e32 v3, 0
	v_lshrrev_b32_e32 v9, 3, v5
	v_and_b32_e32 v11, 31, v5
	v_lshrrev_b32_e32 v2, 5, v5
	v_lshlrev_b32_e32 v10, 2, v4
	v_or_b32_e32 v5, s6, v11
	v_lshlrev_b32_e32 v12, 2, v11
	s_waitcnt lgkmcnt(0)
	s_mul_i32 s0, s27, s8
	s_mul_hi_u32 s1, s26, s8
	s_mul_i32 s26, s26, s8
	s_add_i32 s27, s1, s0
	v_add_co_u32 v7, s0, v9, s2
	v_add_co_ci_u32_e64 v8, null, 0, s3, s0
	s_mul_i32 s9, s17, s8
	s_mul_hi_u32 s17, s16, s8
	v_cmp_gt_i64_e64 s0, s[20:21], v[5:6]
	s_add_i32 s17, s17, s9
	v_lshl_or_b32 v5, v2, 7, v12
	v_lshl_or_b32 v6, v9, 5, v10
	v_mad_u64_u32 v[9:10], null, s24, v7, s[26:27]
	v_mul_lo_u32 v12, s24, v8
	v_mul_lo_u32 v13, s25, v7
	v_cmp_gt_i64_e64 s1, s[22:23], v[7:8]
	v_add_co_u32 v8, s9, s6, v11
	v_add_co_ci_u32_e64 v11, null, s7, 0, s9
	v_add_co_u32 v9, vcc_lo, v9, v4
	v_mad_u64_u32 v[14:15], null, s14, v8, v[2:3]
	v_mul_lo_u32 v16, s14, v11
	v_mul_lo_u32 v8, s15, v8
	v_add3_u32 v10, v13, v10, v12
	s_mul_i32 s16, s16, s8
	v_add_nc_u32_e32 v6, 0x400, v6
	s_add_u32 s9, s12, s16
	s_addc_u32 s12, s13, s17
	v_add_co_ci_u32_e64 v10, null, 0, v10, vcc_lo
	v_add3_u32 v8, v8, v15, v16
	v_add_co_u32 v12, vcc_lo, s18, v9
	v_add_co_ci_u32_e64 v13, null, s19, v10, vcc_lo
	v_add_co_u32 v14, vcc_lo, s9, v14
	v_lshlrev_b32_e32 v7, 2, v0
	v_lshl_add_u32 v11, v1, 5, 0x400
	v_add_co_ci_u32_e64 v15, null, s12, v8, vcc_lo
	v_mov_b32_e32 v8, v3
	v_mov_b32_e32 v9, v3
	;; [unrolled: 1-line block ×3, first 2 shown]
	s_mov_b64 s[12:13], 0
	s_branch .LBB496_3
.LBB496_2:                              ;   in Loop: Header=BB496_3 Depth=1
	s_or_b32 exec_lo, exec_lo, s9
	s_waitcnt vmcnt(0)
	ds_write_b32 v6, v17
	s_waitcnt lgkmcnt(0)
	s_barrier
	buffer_gl0_inv
	ds_read_b128 v[16:19], v11
	ds_read2_b32 v[32:33], v7 offset1:16
	ds_read_b128 v[20:23], v11 offset:512
	ds_read2_b32 v[34:35], v7 offset0:32 offset1:48
	ds_read2_b32 v[36:37], v7 offset0:64 offset1:80
	ds_read_b128 v[24:27], v11 offset:16
	ds_read2_b32 v[38:39], v7 offset0:96 offset1:112
	ds_read2_b32 v[40:41], v7 offset0:128 offset1:144
	ds_read_b128 v[28:31], v11 offset:528
	ds_read2_b32 v[42:43], v7 offset0:160 offset1:176
	s_add_u32 s12, s12, 8
	s_addc_u32 s13, s13, 0
	v_cmp_lt_i64_e64 s9, s[12:13], s[10:11]
	s_and_b32 vcc_lo, exec_lo, s9
	s_waitcnt lgkmcnt(8)
	v_mul_lo_u32 v44, v16, v32
	v_mul_lo_u32 v16, v16, v33
	s_waitcnt lgkmcnt(7)
	v_mul_lo_u32 v32, v20, v32
	v_mul_lo_u32 v20, v20, v33
	;; [unrolled: 3-line block ×3, first 2 shown]
	v_mul_lo_u32 v34, v21, v34
	v_mul_lo_u32 v21, v21, v35
	s_waitcnt lgkmcnt(5)
	v_mul_lo_u32 v35, v18, v36
	v_mul_lo_u32 v18, v18, v37
	;; [unrolled: 1-line block ×3, first 2 shown]
	v_add3_u32 v10, v10, v44, v33
	v_add3_u32 v33, v9, v16, v17
	;; [unrolled: 1-line block ×3, first 2 shown]
	ds_read2_b32 v[8:9], v7 offset0:192 offset1:208
	ds_read2_b32 v[16:17], v7 offset0:224 offset1:240
	v_add3_u32 v3, v3, v20, v21
	v_mul_lo_u32 v20, v22, v37
	s_waitcnt lgkmcnt(5)
	v_mul_lo_u32 v21, v19, v38
	v_mul_lo_u32 v19, v19, v39
	;; [unrolled: 1-line block ×4, first 2 shown]
	s_waitcnt lgkmcnt(4)
	v_mul_lo_u32 v34, v24, v40
	v_mul_lo_u32 v24, v24, v41
	s_waitcnt lgkmcnt(2)
	v_mul_lo_u32 v38, v25, v42
	v_mul_lo_u32 v25, v25, v43
	;; [unrolled: 1-line block ×4, first 2 shown]
	v_add3_u32 v10, v10, v35, v21
	v_add3_u32 v18, v33, v18, v19
	;; [unrolled: 1-line block ×3, first 2 shown]
	v_mul_lo_u32 v20, v28, v41
	v_mul_lo_u32 v21, v29, v43
	v_add3_u32 v19, v32, v36, v22
	v_add3_u32 v18, v18, v24, v25
	s_waitcnt lgkmcnt(1)
	v_mul_lo_u32 v22, v26, v8
	v_mul_lo_u32 v23, v26, v9
	;; [unrolled: 1-line block ×3, first 2 shown]
	s_waitcnt lgkmcnt(0)
	v_mul_lo_u32 v24, v27, v16
	v_mul_lo_u32 v25, v30, v9
	;; [unrolled: 1-line block ×5, first 2 shown]
	v_add3_u32 v10, v10, v34, v38
	v_add3_u32 v19, v19, v37, v39
	;; [unrolled: 1-line block ×3, first 2 shown]
	s_barrier
	v_add3_u32 v10, v10, v22, v24
	v_add3_u32 v9, v18, v23, v9
	;; [unrolled: 1-line block ×4, first 2 shown]
	buffer_gl0_inv
	s_cbranch_vccz .LBB496_7
.LBB496_3:                              ; =>This Inner Loop Header: Depth=1
	v_add_co_u32 v16, s9, v2, s12
	v_add_co_ci_u32_e64 v17, null, 0, s13, s9
	v_cmp_gt_i64_e32 vcc_lo, s[10:11], v[16:17]
	v_mov_b32_e32 v16, 0
	s_and_b32 s14, s0, vcc_lo
	s_and_saveexec_b32 s9, s14
	s_cbranch_execz .LBB496_5
; %bb.4:                                ;   in Loop: Header=BB496_3 Depth=1
	v_add_co_u32 v16, vcc_lo, v14, s12
	v_add_co_ci_u32_e64 v17, null, s13, v15, vcc_lo
	global_load_sbyte v16, v[16:17], off
.LBB496_5:                              ;   in Loop: Header=BB496_3 Depth=1
	s_or_b32 exec_lo, exec_lo, s9
	v_add_co_u32 v17, s9, v4, s12
	v_add_co_ci_u32_e64 v18, null, 0, s13, s9
	s_waitcnt vmcnt(0)
	ds_write_b32 v5, v16
	v_cmp_gt_i64_e32 vcc_lo, s[10:11], v[17:18]
	v_mov_b32_e32 v17, 0
	s_and_b32 s14, vcc_lo, s1
	s_and_saveexec_b32 s9, s14
	s_cbranch_execz .LBB496_2
; %bb.6:                                ;   in Loop: Header=BB496_3 Depth=1
	v_add_co_u32 v16, vcc_lo, v12, s12
	v_add_co_ci_u32_e64 v17, null, s13, v13, vcc_lo
	global_load_sbyte v17, v[16:17], off
	s_branch .LBB496_2
.LBB496_7:
	s_clause 0x3
	s_load_dwordx4 s[24:27], s[4:5], 0x78
	s_load_dwordx8 s[12:19], s[4:5], 0x58
	s_load_dword s9, s[4:5], 0x50
	s_load_dword s4, s[4:5], 0x18
	v_add_co_u32 v1, s2, s2, v1
	v_add_co_ci_u32_e64 v2, null, s3, 0, s2
	s_waitcnt lgkmcnt(0)
	s_mul_i32 s0, s27, s8
	s_mul_hi_u32 s1, s26, s8
	s_add_i32 s1, s1, s0
	s_mul_i32 s0, s26, s8
	s_lshl_b64 s[10:11], s[0:1], 2
	v_cmp_gt_i64_e64 s0, s[22:23], v[1:2]
	s_add_u32 s3, s18, s10
	s_addc_u32 s5, s19, s11
	s_cmp_eq_u32 s9, 0
	s_cbranch_scc1 .LBB496_20
; %bb.8:
	s_and_saveexec_b32 s10, s0
	s_cbranch_execz .LBB496_18
; %bb.9:
	v_mul_lo_u32 v6, v2, s14
	v_mul_lo_u32 v7, v1, s15
	v_mad_u64_u32 v[4:5], null, v1, s14, 0
	v_mul_lo_u32 v13, v2, s24
	v_mul_lo_u32 v14, v1, s25
	v_mad_u64_u32 v[11:12], null, v1, s24, 0
	s_mul_i32 s1, s17, s8
	s_mul_hi_u32 s2, s16, s8
	v_add3_u32 v5, v5, v7, v6
	s_add_i32 s17, s2, s1
	s_mul_i32 s16, s16, s8
	v_add_co_u32 v6, s1, s6, v0
	v_add3_u32 v12, v12, v14, v13
	v_lshlrev_b64 v[4:5], 2, v[4:5]
	s_lshl_b64 s[16:17], s[16:17], 2
	v_add_co_ci_u32_e64 v7, null, s7, 0, s1
	v_lshlrev_b64 v[13:14], 2, v[11:12]
	s_add_u32 s1, s12, s16
	s_addc_u32 s2, s13, s17
	v_add_co_u32 v11, s1, s1, v4
	v_add_co_ci_u32_e64 v12, null, s2, v5, s1
	v_add_co_u32 v13, s1, s3, v13
	v_cmp_gt_i64_e32 vcc_lo, s[20:21], v[6:7]
	v_lshlrev_b64 v[4:5], 2, v[6:7]
	v_add_co_ci_u32_e64 v14, null, s5, v14, s1
	s_and_saveexec_b32 s2, vcc_lo
	s_cbranch_execz .LBB496_11
; %bb.10:
	v_add_co_u32 v15, s1, v11, v4
	v_add_co_ci_u32_e64 v16, null, v12, v5, s1
	global_load_dword v16, v[15:16], off
	v_mul_lo_u32 v15, v10, s4
	s_waitcnt vmcnt(0)
	v_mad_u64_u32 v[15:16], null, v16, s9, v[15:16]
	v_add_co_u32 v16, s1, v13, v4
	v_add_co_ci_u32_e64 v17, null, v14, v5, s1
	global_store_dword v[16:17], v15, off
.LBB496_11:
	s_or_b32 exec_lo, exec_lo, s2
	v_add_co_u32 v6, s1, v6, 16
	v_add_co_ci_u32_e64 v7, null, 0, v7, s1
	v_cmp_gt_i64_e64 s1, s[20:21], v[6:7]
	s_and_saveexec_b32 s8, s1
	s_cbranch_execz .LBB496_13
; %bb.12:
	v_add_co_u32 v6, s2, v11, v4
	v_add_co_ci_u32_e64 v7, null, v12, v5, s2
	v_add_co_u32 v15, s2, v13, v4
	v_add_co_ci_u32_e64 v16, null, v14, v5, s2
	global_load_dword v7, v[6:7], off offset:64
	v_mul_lo_u32 v6, v9, s4
	s_waitcnt vmcnt(0)
	v_mad_u64_u32 v[6:7], null, v7, s9, v[6:7]
	global_store_dword v[15:16], v6, off offset:64
.LBB496_13:
	s_or_b32 exec_lo, exec_lo, s8
	v_add_co_u32 v6, s2, v1, 16
	v_add_co_ci_u32_e64 v7, null, 0, v2, s2
	v_cmp_gt_i64_e64 s2, s[22:23], v[6:7]
	s_and_b32 exec_lo, exec_lo, s2
	s_cbranch_execz .LBB496_18
; %bb.14:
	s_lshl_b64 s[12:13], s[14:15], 6
	v_add_co_u32 v6, s2, v11, s12
	v_add_co_ci_u32_e64 v7, null, s13, v12, s2
	s_lshl_b64 s[12:13], s[24:25], 6
	v_add_co_u32 v11, s2, v13, s12
	v_add_co_ci_u32_e64 v12, null, s13, v14, s2
	v_add_co_u32 v6, s2, v6, v4
	v_add_co_ci_u32_e64 v7, null, v7, v5, s2
	;; [unrolled: 2-line block ×3, first 2 shown]
	s_and_saveexec_b32 s2, vcc_lo
	s_cbranch_execz .LBB496_16
; %bb.15:
	global_load_dword v12, v[6:7], off
	v_mul_lo_u32 v11, v8, s4
	s_waitcnt vmcnt(0)
	v_mad_u64_u32 v[11:12], null, v12, s9, v[11:12]
	global_store_dword v[4:5], v11, off
.LBB496_16:
	s_or_b32 exec_lo, exec_lo, s2
	s_and_b32 exec_lo, exec_lo, s1
	s_cbranch_execz .LBB496_18
; %bb.17:
	global_load_dword v7, v[6:7], off offset:64
	v_mul_lo_u32 v6, v3, s4
	s_waitcnt vmcnt(0)
	v_mad_u64_u32 v[6:7], null, v7, s9, v[6:7]
	global_store_dword v[4:5], v6, off offset:64
.LBB496_18:
	s_or_b32 exec_lo, exec_lo, s10
	s_cbranch_execz .LBB496_21
.LBB496_19:
	s_endpgm
.LBB496_20:
.LBB496_21:
	s_and_saveexec_b32 s1, s0
	s_cbranch_execz .LBB496_19
; %bb.22:
	v_mul_lo_u32 v6, v2, s24
	v_mul_lo_u32 v7, v1, s25
	v_mad_u64_u32 v[4:5], null, v1, s24, 0
	v_add3_u32 v5, v5, v7, v6
	v_add_co_u32 v6, s0, s6, v0
	v_add_co_ci_u32_e64 v7, null, s7, 0, s0
	v_lshlrev_b64 v[11:12], 2, v[4:5]
	v_cmp_gt_i64_e32 vcc_lo, s[20:21], v[6:7]
	v_lshlrev_b64 v[4:5], 2, v[6:7]
	v_add_co_u32 v0, s0, s3, v11
	v_add_co_ci_u32_e64 v11, null, s5, v12, s0
	s_and_saveexec_b32 s1, vcc_lo
	s_cbranch_execz .LBB496_24
; %bb.23:
	v_mul_lo_u32 v10, v10, s4
	v_add_co_u32 v12, s0, v0, v4
	v_add_co_ci_u32_e64 v13, null, v11, v5, s0
	global_store_dword v[12:13], v10, off
.LBB496_24:
	s_or_b32 exec_lo, exec_lo, s1
	v_add_co_u32 v6, s0, v6, 16
	v_add_co_ci_u32_e64 v7, null, 0, v7, s0
	v_cmp_gt_i64_e64 s0, s[20:21], v[6:7]
	s_and_saveexec_b32 s2, s0
	s_cbranch_execz .LBB496_26
; %bb.25:
	v_mul_lo_u32 v9, v9, s4
	v_add_co_u32 v6, s1, v0, v4
	v_add_co_ci_u32_e64 v7, null, v11, v5, s1
	global_store_dword v[6:7], v9, off offset:64
.LBB496_26:
	s_or_b32 exec_lo, exec_lo, s2
	v_add_co_u32 v1, s1, v1, 16
	v_add_co_ci_u32_e64 v2, null, 0, v2, s1
	v_cmp_gt_i64_e64 s1, s[22:23], v[1:2]
	s_and_b32 exec_lo, exec_lo, s1
	s_cbranch_execz .LBB496_19
; %bb.27:
	s_lshl_b64 s[2:3], s[24:25], 6
	v_add_co_u32 v0, s1, v0, s2
	v_add_co_ci_u32_e64 v1, null, s3, v11, s1
	v_add_co_u32 v0, s1, v0, v4
	v_add_co_ci_u32_e64 v1, null, v1, v5, s1
	s_and_saveexec_b32 s1, vcc_lo
	s_cbranch_execz .LBB496_29
; %bb.28:
	v_mul_lo_u32 v2, v8, s4
	global_store_dword v[0:1], v2, off
.LBB496_29:
	s_or_b32 exec_lo, exec_lo, s1
	s_and_b32 exec_lo, exec_lo, s0
	s_cbranch_execz .LBB496_19
; %bb.30:
	v_mul_lo_u32 v2, v3, s4
	global_store_dword v[0:1], v2, off offset:64
	s_endpgm
	.section	.rodata,"a",@progbits
	.p2align	6, 0x0
	.amdhsa_kernel _ZN12_GLOBAL__N_135rocblas_gemm_batched_general_kernelIiLi16ELi16ELi32ELi32ELi8ELi32ELi8ELi8ELi32ELc67ELc78EKaKiiEEvlllT_PT11_llS5_llS3_PT12_llPT13_lli
		.amdhsa_group_segment_fixed_size 2048
		.amdhsa_private_segment_fixed_size 0
		.amdhsa_kernarg_size 140
		.amdhsa_user_sgpr_count 6
		.amdhsa_user_sgpr_private_segment_buffer 1
		.amdhsa_user_sgpr_dispatch_ptr 0
		.amdhsa_user_sgpr_queue_ptr 0
		.amdhsa_user_sgpr_kernarg_segment_ptr 1
		.amdhsa_user_sgpr_dispatch_id 0
		.amdhsa_user_sgpr_flat_scratch_init 0
		.amdhsa_user_sgpr_private_segment_size 0
		.amdhsa_wavefront_size32 1
		.amdhsa_uses_dynamic_stack 0
		.amdhsa_system_sgpr_private_segment_wavefront_offset 0
		.amdhsa_system_sgpr_workgroup_id_x 1
		.amdhsa_system_sgpr_workgroup_id_y 1
		.amdhsa_system_sgpr_workgroup_id_z 1
		.amdhsa_system_sgpr_workgroup_info 0
		.amdhsa_system_vgpr_workitem_id 1
		.amdhsa_next_free_vgpr 45
		.amdhsa_next_free_sgpr 28
		.amdhsa_reserve_vcc 1
		.amdhsa_reserve_flat_scratch 0
		.amdhsa_float_round_mode_32 0
		.amdhsa_float_round_mode_16_64 0
		.amdhsa_float_denorm_mode_32 3
		.amdhsa_float_denorm_mode_16_64 3
		.amdhsa_dx10_clamp 1
		.amdhsa_ieee_mode 1
		.amdhsa_fp16_overflow 0
		.amdhsa_workgroup_processor_mode 1
		.amdhsa_memory_ordered 1
		.amdhsa_forward_progress 1
		.amdhsa_shared_vgpr_count 0
		.amdhsa_exception_fp_ieee_invalid_op 0
		.amdhsa_exception_fp_denorm_src 0
		.amdhsa_exception_fp_ieee_div_zero 0
		.amdhsa_exception_fp_ieee_overflow 0
		.amdhsa_exception_fp_ieee_underflow 0
		.amdhsa_exception_fp_ieee_inexact 0
		.amdhsa_exception_int_div_zero 0
	.end_amdhsa_kernel
	.section	.text._ZN12_GLOBAL__N_135rocblas_gemm_batched_general_kernelIiLi16ELi16ELi32ELi32ELi8ELi32ELi8ELi8ELi32ELc67ELc78EKaKiiEEvlllT_PT11_llS5_llS3_PT12_llPT13_lli,"axG",@progbits,_ZN12_GLOBAL__N_135rocblas_gemm_batched_general_kernelIiLi16ELi16ELi32ELi32ELi8ELi32ELi8ELi8ELi32ELc67ELc78EKaKiiEEvlllT_PT11_llS5_llS3_PT12_llPT13_lli,comdat
.Lfunc_end496:
	.size	_ZN12_GLOBAL__N_135rocblas_gemm_batched_general_kernelIiLi16ELi16ELi32ELi32ELi8ELi32ELi8ELi8ELi32ELc67ELc78EKaKiiEEvlllT_PT11_llS5_llS3_PT12_llPT13_lli, .Lfunc_end496-_ZN12_GLOBAL__N_135rocblas_gemm_batched_general_kernelIiLi16ELi16ELi32ELi32ELi8ELi32ELi8ELi8ELi32ELc67ELc78EKaKiiEEvlllT_PT11_llS5_llS3_PT12_llPT13_lli
                                        ; -- End function
	.set _ZN12_GLOBAL__N_135rocblas_gemm_batched_general_kernelIiLi16ELi16ELi32ELi32ELi8ELi32ELi8ELi8ELi32ELc67ELc78EKaKiiEEvlllT_PT11_llS5_llS3_PT12_llPT13_lli.num_vgpr, 45
	.set _ZN12_GLOBAL__N_135rocblas_gemm_batched_general_kernelIiLi16ELi16ELi32ELi32ELi8ELi32ELi8ELi8ELi32ELc67ELc78EKaKiiEEvlllT_PT11_llS5_llS3_PT12_llPT13_lli.num_agpr, 0
	.set _ZN12_GLOBAL__N_135rocblas_gemm_batched_general_kernelIiLi16ELi16ELi32ELi32ELi8ELi32ELi8ELi8ELi32ELc67ELc78EKaKiiEEvlllT_PT11_llS5_llS3_PT12_llPT13_lli.numbered_sgpr, 28
	.set _ZN12_GLOBAL__N_135rocblas_gemm_batched_general_kernelIiLi16ELi16ELi32ELi32ELi8ELi32ELi8ELi8ELi32ELc67ELc78EKaKiiEEvlllT_PT11_llS5_llS3_PT12_llPT13_lli.num_named_barrier, 0
	.set _ZN12_GLOBAL__N_135rocblas_gemm_batched_general_kernelIiLi16ELi16ELi32ELi32ELi8ELi32ELi8ELi8ELi32ELc67ELc78EKaKiiEEvlllT_PT11_llS5_llS3_PT12_llPT13_lli.private_seg_size, 0
	.set _ZN12_GLOBAL__N_135rocblas_gemm_batched_general_kernelIiLi16ELi16ELi32ELi32ELi8ELi32ELi8ELi8ELi32ELc67ELc78EKaKiiEEvlllT_PT11_llS5_llS3_PT12_llPT13_lli.uses_vcc, 1
	.set _ZN12_GLOBAL__N_135rocblas_gemm_batched_general_kernelIiLi16ELi16ELi32ELi32ELi8ELi32ELi8ELi8ELi32ELc67ELc78EKaKiiEEvlllT_PT11_llS5_llS3_PT12_llPT13_lli.uses_flat_scratch, 0
	.set _ZN12_GLOBAL__N_135rocblas_gemm_batched_general_kernelIiLi16ELi16ELi32ELi32ELi8ELi32ELi8ELi8ELi32ELc67ELc78EKaKiiEEvlllT_PT11_llS5_llS3_PT12_llPT13_lli.has_dyn_sized_stack, 0
	.set _ZN12_GLOBAL__N_135rocblas_gemm_batched_general_kernelIiLi16ELi16ELi32ELi32ELi8ELi32ELi8ELi8ELi32ELc67ELc78EKaKiiEEvlllT_PT11_llS5_llS3_PT12_llPT13_lli.has_recursion, 0
	.set _ZN12_GLOBAL__N_135rocblas_gemm_batched_general_kernelIiLi16ELi16ELi32ELi32ELi8ELi32ELi8ELi8ELi32ELc67ELc78EKaKiiEEvlllT_PT11_llS5_llS3_PT12_llPT13_lli.has_indirect_call, 0
	.section	.AMDGPU.csdata,"",@progbits
; Kernel info:
; codeLenInByte = 2124
; TotalNumSgprs: 30
; NumVgprs: 45
; ScratchSize: 0
; MemoryBound: 0
; FloatMode: 240
; IeeeMode: 1
; LDSByteSize: 2048 bytes/workgroup (compile time only)
; SGPRBlocks: 0
; VGPRBlocks: 5
; NumSGPRsForWavesPerEU: 30
; NumVGPRsForWavesPerEU: 45
; Occupancy: 16
; WaveLimiterHint : 0
; COMPUTE_PGM_RSRC2:SCRATCH_EN: 0
; COMPUTE_PGM_RSRC2:USER_SGPR: 6
; COMPUTE_PGM_RSRC2:TRAP_HANDLER: 0
; COMPUTE_PGM_RSRC2:TGID_X_EN: 1
; COMPUTE_PGM_RSRC2:TGID_Y_EN: 1
; COMPUTE_PGM_RSRC2:TGID_Z_EN: 1
; COMPUTE_PGM_RSRC2:TIDIG_COMP_CNT: 1
	.section	.text._ZN12_GLOBAL__N_135rocblas_gemm_batched_general_kernelIiLi16ELi16ELi32ELi32ELi8ELi32ELi8ELi8ELi32ELc67ELc84EKaKiiEEvlllT_PT11_llS5_llS3_PT12_llPT13_lli,"axG",@progbits,_ZN12_GLOBAL__N_135rocblas_gemm_batched_general_kernelIiLi16ELi16ELi32ELi32ELi8ELi32ELi8ELi8ELi32ELc67ELc84EKaKiiEEvlllT_PT11_llS5_llS3_PT12_llPT13_lli,comdat
	.globl	_ZN12_GLOBAL__N_135rocblas_gemm_batched_general_kernelIiLi16ELi16ELi32ELi32ELi8ELi32ELi8ELi8ELi32ELc67ELc84EKaKiiEEvlllT_PT11_llS5_llS3_PT12_llPT13_lli ; -- Begin function _ZN12_GLOBAL__N_135rocblas_gemm_batched_general_kernelIiLi16ELi16ELi32ELi32ELi8ELi32ELi8ELi8ELi32ELc67ELc84EKaKiiEEvlllT_PT11_llS5_llS3_PT12_llPT13_lli
	.p2align	8
	.type	_ZN12_GLOBAL__N_135rocblas_gemm_batched_general_kernelIiLi16ELi16ELi32ELi32ELi8ELi32ELi8ELi8ELi32ELc67ELc84EKaKiiEEvlllT_PT11_llS5_llS3_PT12_llPT13_lli,@function
_ZN12_GLOBAL__N_135rocblas_gemm_batched_general_kernelIiLi16ELi16ELi32ELi32ELi8ELi32ELi8ELi8ELi32ELc67ELc84EKaKiiEEvlllT_PT11_llS5_llS3_PT12_llPT13_lli: ; @_ZN12_GLOBAL__N_135rocblas_gemm_batched_general_kernelIiLi16ELi16ELi32ELi32ELi8ELi32ELi8ELi8ELi32ELc67ELc84EKaKiiEEvlllT_PT11_llS5_llS3_PT12_llPT13_lli
; %bb.0:
	s_clause 0x1
	s_load_dwordx2 s[10:11], s[4:5], 0x10
	s_load_dwordx4 s[20:23], s[4:5], 0x0
	s_mov_b32 s0, s7
	v_mov_b32_e32 v10, 0
	v_mov_b32_e32 v9, 0
	;; [unrolled: 1-line block ×4, first 2 shown]
	s_ashr_i32 s7, s6, 31
	s_ashr_i32 s1, s0, 31
	s_lshl_b64 s[6:7], s[6:7], 5
	s_waitcnt lgkmcnt(0)
	v_cmp_lt_i64_e64 s2, s[10:11], 1
	s_and_b32 vcc_lo, exec_lo, s2
	s_lshl_b64 s[2:3], s[0:1], 5
	s_cbranch_vccnz .LBB497_7
; %bb.1:
	s_clause 0x1
	s_load_dwordx4 s[24:27], s[4:5], 0x40
	s_load_dwordx8 s[12:19], s[4:5], 0x20
	v_lshl_add_u32 v4, v1, 4, v0
	v_mov_b32_e32 v3, 0
	v_lshl_add_u32 v11, v1, 5, 0x400
	v_and_b32_e32 v6, 7, v0
	v_mov_b32_e32 v5, s7
	v_lshrrev_b32_e32 v12, 3, v4
	v_mov_b32_e32 v13, v3
	v_and_b32_e32 v20, 31, v4
	v_lshrrev_b32_e32 v2, 5, v4
	v_lshlrev_b32_e32 v7, 2, v0
	v_add_co_u32 v16, s0, v12, s2
	v_add_co_ci_u32_e64 v17, null, 0, s3, s0
	v_or_b32_e32 v4, s6, v20
	v_mov_b32_e32 v8, v3
	v_mov_b32_e32 v9, v3
	v_cmp_gt_i64_e64 s1, s[22:23], v[16:17]
	s_waitcnt lgkmcnt(0)
	v_mad_u64_u32 v[14:15], null, s26, s8, v[12:13]
	v_lshlrev_b32_e32 v13, 2, v6
	s_mul_i32 s9, s17, s8
	s_mul_hi_u32 s17, s16, s8
	s_mul_i32 s16, s16, s8
	s_add_i32 s17, s17, s9
	v_lshl_or_b32 v13, v12, 5, v13
	v_mov_b32_e32 v10, v15
	v_lshlrev_b32_e32 v15, 2, v20
	s_add_u32 s9, s18, s2
	s_addc_u32 s18, s19, s3
	v_add_nc_u32_e32 v13, 0x400, v13
	v_mad_u64_u32 v[18:19], null, s27, s8, v[10:11]
	v_add_co_u32 v10, s0, s6, v20
	v_add_co_ci_u32_e64 v19, null, s7, 0, s0
	v_lshl_or_b32 v12, v2, 7, v15
	v_cmp_gt_i64_e64 s0, s[20:21], v[4:5]
	v_mov_b32_e32 v15, v18
	v_mul_lo_u32 v16, s14, v19
	v_mad_u64_u32 v[4:5], null, s24, v6, v[14:15]
	v_mad_u64_u32 v[14:15], null, s14, v10, v[2:3]
	v_mul_lo_u32 v10, s15, v10
	s_lshl_b64 s[14:15], s[24:25], 3
	s_add_u32 s12, s12, s16
	s_addc_u32 s13, s13, s17
	v_add_co_u32 v14, vcc_lo, s12, v14
	v_add3_u32 v10, v10, v15, v16
	v_mad_u64_u32 v[16:17], null, s25, v6, v[5:6]
	v_add_co_ci_u32_e64 v15, null, s13, v10, vcc_lo
	v_add_co_u32 v4, vcc_lo, s9, v4
	v_add_co_ci_u32_e64 v5, null, s18, v16, vcc_lo
	v_mov_b32_e32 v10, v3
	s_mov_b64 s[12:13], 0
	s_branch .LBB497_3
.LBB497_2:                              ;   in Loop: Header=BB497_3 Depth=1
	s_or_b32 exec_lo, exec_lo, s9
	s_waitcnt vmcnt(0)
	ds_write_b32 v13, v17
	s_waitcnt lgkmcnt(0)
	s_barrier
	buffer_gl0_inv
	ds_read_b128 v[16:19], v11
	ds_read2_b32 v[32:33], v7 offset1:16
	ds_read_b128 v[20:23], v11 offset:512
	ds_read2_b32 v[34:35], v7 offset0:32 offset1:48
	ds_read2_b32 v[36:37], v7 offset0:64 offset1:80
	;; [unrolled: 1-line block ×3, first 2 shown]
	ds_read_b128 v[24:27], v11 offset:16
	ds_read2_b32 v[40:41], v7 offset0:128 offset1:144
	ds_read_b128 v[28:31], v11 offset:528
	ds_read2_b32 v[42:43], v7 offset0:160 offset1:176
	s_add_u32 s12, s12, 8
	s_addc_u32 s13, s13, 0
	v_add_co_u32 v4, vcc_lo, v4, s14
	v_cmp_lt_i64_e64 s9, s[12:13], s[10:11]
	v_add_co_ci_u32_e64 v5, null, s15, v5, vcc_lo
	s_and_b32 vcc_lo, exec_lo, s9
	s_waitcnt lgkmcnt(8)
	v_mul_lo_u32 v44, v16, v32
	v_mul_lo_u32 v16, v16, v33
	s_waitcnt lgkmcnt(7)
	v_mul_lo_u32 v32, v20, v32
	v_mul_lo_u32 v20, v20, v33
	s_waitcnt lgkmcnt(6)
	v_mul_lo_u32 v33, v17, v34
	v_mul_lo_u32 v17, v17, v35
	v_mul_lo_u32 v34, v21, v34
	v_mul_lo_u32 v21, v21, v35
	s_waitcnt lgkmcnt(5)
	v_mul_lo_u32 v35, v18, v36
	v_mul_lo_u32 v18, v18, v37
	;; [unrolled: 1-line block ×4, first 2 shown]
	v_add3_u32 v33, v10, v44, v33
	v_add3_u32 v44, v9, v16, v17
	ds_read2_b32 v[9:10], v7 offset0:192 offset1:208
	ds_read2_b32 v[16:17], v7 offset0:224 offset1:240
	s_waitcnt lgkmcnt(6)
	v_mul_lo_u32 v37, v19, v38
	v_mul_lo_u32 v19, v19, v39
	;; [unrolled: 1-line block ×4, first 2 shown]
	v_add3_u32 v3, v3, v20, v21
	s_waitcnt lgkmcnt(4)
	v_mul_lo_u32 v20, v24, v40
	s_waitcnt lgkmcnt(2)
	v_mul_lo_u32 v21, v25, v42
	v_add3_u32 v8, v8, v32, v34
	v_add3_u32 v32, v33, v35, v37
	v_add3_u32 v18, v44, v18, v19
	v_mul_lo_u32 v19, v24, v41
	v_add3_u32 v3, v3, v22, v23
	v_mul_lo_u32 v22, v28, v40
	v_mul_lo_u32 v23, v28, v41
	v_add3_u32 v20, v32, v20, v21
	v_mul_lo_u32 v21, v25, v43
	v_mul_lo_u32 v24, v29, v42
	;; [unrolled: 1-line block ×3, first 2 shown]
	v_add3_u32 v8, v8, v36, v38
	s_waitcnt lgkmcnt(1)
	v_mul_lo_u32 v28, v26, v9
	v_mul_lo_u32 v26, v26, v10
	;; [unrolled: 1-line block ×4, first 2 shown]
	s_waitcnt lgkmcnt(0)
	v_mul_lo_u32 v9, v27, v16
	v_mul_lo_u32 v27, v27, v17
	;; [unrolled: 1-line block ×4, first 2 shown]
	v_add3_u32 v18, v18, v19, v21
	v_add3_u32 v8, v8, v22, v24
	;; [unrolled: 1-line block ×7, first 2 shown]
	s_barrier
	buffer_gl0_inv
	s_cbranch_vccz .LBB497_7
.LBB497_3:                              ; =>This Inner Loop Header: Depth=1
	v_add_co_u32 v16, s9, v2, s12
	v_add_co_ci_u32_e64 v17, null, 0, s13, s9
	v_cmp_gt_i64_e32 vcc_lo, s[10:11], v[16:17]
	v_mov_b32_e32 v16, 0
	s_and_b32 s16, s0, vcc_lo
	s_and_saveexec_b32 s9, s16
	s_cbranch_execz .LBB497_5
; %bb.4:                                ;   in Loop: Header=BB497_3 Depth=1
	v_add_co_u32 v16, vcc_lo, v14, s12
	v_add_co_ci_u32_e64 v17, null, s13, v15, vcc_lo
	global_load_sbyte v16, v[16:17], off
.LBB497_5:                              ;   in Loop: Header=BB497_3 Depth=1
	s_or_b32 exec_lo, exec_lo, s9
	v_add_co_u32 v17, s9, v6, s12
	v_add_co_ci_u32_e64 v18, null, 0, s13, s9
	s_waitcnt vmcnt(0)
	ds_write_b32 v12, v16
	v_cmp_gt_i64_e32 vcc_lo, s[10:11], v[17:18]
	v_mov_b32_e32 v17, 0
	s_and_b32 s16, vcc_lo, s1
	s_and_saveexec_b32 s9, s16
	s_cbranch_execz .LBB497_2
; %bb.6:                                ;   in Loop: Header=BB497_3 Depth=1
	global_load_sbyte v17, v[4:5], off
	s_branch .LBB497_2
.LBB497_7:
	s_clause 0x3
	s_load_dwordx4 s[24:27], s[4:5], 0x78
	s_load_dwordx8 s[12:19], s[4:5], 0x58
	s_load_dword s9, s[4:5], 0x50
	s_load_dword s4, s[4:5], 0x18
	v_add_co_u32 v1, s2, s2, v1
	v_add_co_ci_u32_e64 v2, null, s3, 0, s2
	s_waitcnt lgkmcnt(0)
	s_mul_i32 s0, s27, s8
	s_mul_hi_u32 s1, s26, s8
	s_add_i32 s1, s1, s0
	s_mul_i32 s0, s26, s8
	s_lshl_b64 s[10:11], s[0:1], 2
	v_cmp_gt_i64_e64 s0, s[22:23], v[1:2]
	s_add_u32 s3, s18, s10
	s_addc_u32 s5, s19, s11
	s_cmp_eq_u32 s9, 0
	s_cbranch_scc1 .LBB497_20
; %bb.8:
	s_and_saveexec_b32 s10, s0
	s_cbranch_execz .LBB497_18
; %bb.9:
	v_mul_lo_u32 v6, v2, s14
	v_mul_lo_u32 v7, v1, s15
	v_mad_u64_u32 v[4:5], null, v1, s14, 0
	v_mul_lo_u32 v13, v2, s24
	v_mul_lo_u32 v14, v1, s25
	v_mad_u64_u32 v[11:12], null, v1, s24, 0
	s_mul_i32 s1, s17, s8
	s_mul_hi_u32 s2, s16, s8
	v_add3_u32 v5, v5, v7, v6
	s_add_i32 s17, s2, s1
	s_mul_i32 s16, s16, s8
	v_add_co_u32 v6, s1, s6, v0
	v_add3_u32 v12, v12, v14, v13
	v_lshlrev_b64 v[4:5], 2, v[4:5]
	s_lshl_b64 s[16:17], s[16:17], 2
	v_add_co_ci_u32_e64 v7, null, s7, 0, s1
	v_lshlrev_b64 v[13:14], 2, v[11:12]
	s_add_u32 s1, s12, s16
	s_addc_u32 s2, s13, s17
	v_add_co_u32 v11, s1, s1, v4
	v_add_co_ci_u32_e64 v12, null, s2, v5, s1
	v_add_co_u32 v13, s1, s3, v13
	v_cmp_gt_i64_e32 vcc_lo, s[20:21], v[6:7]
	v_lshlrev_b64 v[4:5], 2, v[6:7]
	v_add_co_ci_u32_e64 v14, null, s5, v14, s1
	s_and_saveexec_b32 s2, vcc_lo
	s_cbranch_execz .LBB497_11
; %bb.10:
	v_add_co_u32 v15, s1, v11, v4
	v_add_co_ci_u32_e64 v16, null, v12, v5, s1
	global_load_dword v16, v[15:16], off
	v_mul_lo_u32 v15, v10, s4
	s_waitcnt vmcnt(0)
	v_mad_u64_u32 v[15:16], null, v16, s9, v[15:16]
	v_add_co_u32 v16, s1, v13, v4
	v_add_co_ci_u32_e64 v17, null, v14, v5, s1
	global_store_dword v[16:17], v15, off
.LBB497_11:
	s_or_b32 exec_lo, exec_lo, s2
	v_add_co_u32 v6, s1, v6, 16
	v_add_co_ci_u32_e64 v7, null, 0, v7, s1
	v_cmp_gt_i64_e64 s1, s[20:21], v[6:7]
	s_and_saveexec_b32 s8, s1
	s_cbranch_execz .LBB497_13
; %bb.12:
	v_add_co_u32 v6, s2, v11, v4
	v_add_co_ci_u32_e64 v7, null, v12, v5, s2
	v_add_co_u32 v15, s2, v13, v4
	v_add_co_ci_u32_e64 v16, null, v14, v5, s2
	global_load_dword v7, v[6:7], off offset:64
	v_mul_lo_u32 v6, v9, s4
	s_waitcnt vmcnt(0)
	v_mad_u64_u32 v[6:7], null, v7, s9, v[6:7]
	global_store_dword v[15:16], v6, off offset:64
.LBB497_13:
	s_or_b32 exec_lo, exec_lo, s8
	v_add_co_u32 v6, s2, v1, 16
	v_add_co_ci_u32_e64 v7, null, 0, v2, s2
	v_cmp_gt_i64_e64 s2, s[22:23], v[6:7]
	s_and_b32 exec_lo, exec_lo, s2
	s_cbranch_execz .LBB497_18
; %bb.14:
	s_lshl_b64 s[12:13], s[14:15], 6
	v_add_co_u32 v6, s2, v11, s12
	v_add_co_ci_u32_e64 v7, null, s13, v12, s2
	s_lshl_b64 s[12:13], s[24:25], 6
	v_add_co_u32 v11, s2, v13, s12
	v_add_co_ci_u32_e64 v12, null, s13, v14, s2
	v_add_co_u32 v6, s2, v6, v4
	v_add_co_ci_u32_e64 v7, null, v7, v5, s2
	;; [unrolled: 2-line block ×3, first 2 shown]
	s_and_saveexec_b32 s2, vcc_lo
	s_cbranch_execz .LBB497_16
; %bb.15:
	global_load_dword v12, v[6:7], off
	v_mul_lo_u32 v11, v8, s4
	s_waitcnt vmcnt(0)
	v_mad_u64_u32 v[11:12], null, v12, s9, v[11:12]
	global_store_dword v[4:5], v11, off
.LBB497_16:
	s_or_b32 exec_lo, exec_lo, s2
	s_and_b32 exec_lo, exec_lo, s1
	s_cbranch_execz .LBB497_18
; %bb.17:
	global_load_dword v7, v[6:7], off offset:64
	v_mul_lo_u32 v6, v3, s4
	s_waitcnt vmcnt(0)
	v_mad_u64_u32 v[6:7], null, v7, s9, v[6:7]
	global_store_dword v[4:5], v6, off offset:64
.LBB497_18:
	s_or_b32 exec_lo, exec_lo, s10
	s_cbranch_execz .LBB497_21
.LBB497_19:
	s_endpgm
.LBB497_20:
.LBB497_21:
	s_and_saveexec_b32 s1, s0
	s_cbranch_execz .LBB497_19
; %bb.22:
	v_mul_lo_u32 v6, v2, s24
	v_mul_lo_u32 v7, v1, s25
	v_mad_u64_u32 v[4:5], null, v1, s24, 0
	v_add3_u32 v5, v5, v7, v6
	v_add_co_u32 v6, s0, s6, v0
	v_add_co_ci_u32_e64 v7, null, s7, 0, s0
	v_lshlrev_b64 v[11:12], 2, v[4:5]
	v_cmp_gt_i64_e32 vcc_lo, s[20:21], v[6:7]
	v_lshlrev_b64 v[4:5], 2, v[6:7]
	v_add_co_u32 v0, s0, s3, v11
	v_add_co_ci_u32_e64 v11, null, s5, v12, s0
	s_and_saveexec_b32 s1, vcc_lo
	s_cbranch_execz .LBB497_24
; %bb.23:
	v_mul_lo_u32 v10, v10, s4
	v_add_co_u32 v12, s0, v0, v4
	v_add_co_ci_u32_e64 v13, null, v11, v5, s0
	global_store_dword v[12:13], v10, off
.LBB497_24:
	s_or_b32 exec_lo, exec_lo, s1
	v_add_co_u32 v6, s0, v6, 16
	v_add_co_ci_u32_e64 v7, null, 0, v7, s0
	v_cmp_gt_i64_e64 s0, s[20:21], v[6:7]
	s_and_saveexec_b32 s2, s0
	s_cbranch_execz .LBB497_26
; %bb.25:
	v_mul_lo_u32 v9, v9, s4
	v_add_co_u32 v6, s1, v0, v4
	v_add_co_ci_u32_e64 v7, null, v11, v5, s1
	global_store_dword v[6:7], v9, off offset:64
.LBB497_26:
	s_or_b32 exec_lo, exec_lo, s2
	v_add_co_u32 v1, s1, v1, 16
	v_add_co_ci_u32_e64 v2, null, 0, v2, s1
	v_cmp_gt_i64_e64 s1, s[22:23], v[1:2]
	s_and_b32 exec_lo, exec_lo, s1
	s_cbranch_execz .LBB497_19
; %bb.27:
	s_lshl_b64 s[2:3], s[24:25], 6
	v_add_co_u32 v0, s1, v0, s2
	v_add_co_ci_u32_e64 v1, null, s3, v11, s1
	v_add_co_u32 v0, s1, v0, v4
	v_add_co_ci_u32_e64 v1, null, v1, v5, s1
	s_and_saveexec_b32 s1, vcc_lo
	s_cbranch_execz .LBB497_29
; %bb.28:
	v_mul_lo_u32 v2, v8, s4
	global_store_dword v[0:1], v2, off
.LBB497_29:
	s_or_b32 exec_lo, exec_lo, s1
	s_and_b32 exec_lo, exec_lo, s0
	s_cbranch_execz .LBB497_19
; %bb.30:
	v_mul_lo_u32 v2, v3, s4
	global_store_dword v[0:1], v2, off offset:64
	s_endpgm
	.section	.rodata,"a",@progbits
	.p2align	6, 0x0
	.amdhsa_kernel _ZN12_GLOBAL__N_135rocblas_gemm_batched_general_kernelIiLi16ELi16ELi32ELi32ELi8ELi32ELi8ELi8ELi32ELc67ELc84EKaKiiEEvlllT_PT11_llS5_llS3_PT12_llPT13_lli
		.amdhsa_group_segment_fixed_size 2048
		.amdhsa_private_segment_fixed_size 0
		.amdhsa_kernarg_size 140
		.amdhsa_user_sgpr_count 6
		.amdhsa_user_sgpr_private_segment_buffer 1
		.amdhsa_user_sgpr_dispatch_ptr 0
		.amdhsa_user_sgpr_queue_ptr 0
		.amdhsa_user_sgpr_kernarg_segment_ptr 1
		.amdhsa_user_sgpr_dispatch_id 0
		.amdhsa_user_sgpr_flat_scratch_init 0
		.amdhsa_user_sgpr_private_segment_size 0
		.amdhsa_wavefront_size32 1
		.amdhsa_uses_dynamic_stack 0
		.amdhsa_system_sgpr_private_segment_wavefront_offset 0
		.amdhsa_system_sgpr_workgroup_id_x 1
		.amdhsa_system_sgpr_workgroup_id_y 1
		.amdhsa_system_sgpr_workgroup_id_z 1
		.amdhsa_system_sgpr_workgroup_info 0
		.amdhsa_system_vgpr_workitem_id 1
		.amdhsa_next_free_vgpr 45
		.amdhsa_next_free_sgpr 28
		.amdhsa_reserve_vcc 1
		.amdhsa_reserve_flat_scratch 0
		.amdhsa_float_round_mode_32 0
		.amdhsa_float_round_mode_16_64 0
		.amdhsa_float_denorm_mode_32 3
		.amdhsa_float_denorm_mode_16_64 3
		.amdhsa_dx10_clamp 1
		.amdhsa_ieee_mode 1
		.amdhsa_fp16_overflow 0
		.amdhsa_workgroup_processor_mode 1
		.amdhsa_memory_ordered 1
		.amdhsa_forward_progress 1
		.amdhsa_shared_vgpr_count 0
		.amdhsa_exception_fp_ieee_invalid_op 0
		.amdhsa_exception_fp_denorm_src 0
		.amdhsa_exception_fp_ieee_div_zero 0
		.amdhsa_exception_fp_ieee_overflow 0
		.amdhsa_exception_fp_ieee_underflow 0
		.amdhsa_exception_fp_ieee_inexact 0
		.amdhsa_exception_int_div_zero 0
	.end_amdhsa_kernel
	.section	.text._ZN12_GLOBAL__N_135rocblas_gemm_batched_general_kernelIiLi16ELi16ELi32ELi32ELi8ELi32ELi8ELi8ELi32ELc67ELc84EKaKiiEEvlllT_PT11_llS5_llS3_PT12_llPT13_lli,"axG",@progbits,_ZN12_GLOBAL__N_135rocblas_gemm_batched_general_kernelIiLi16ELi16ELi32ELi32ELi8ELi32ELi8ELi8ELi32ELc67ELc84EKaKiiEEvlllT_PT11_llS5_llS3_PT12_llPT13_lli,comdat
.Lfunc_end497:
	.size	_ZN12_GLOBAL__N_135rocblas_gemm_batched_general_kernelIiLi16ELi16ELi32ELi32ELi8ELi32ELi8ELi8ELi32ELc67ELc84EKaKiiEEvlllT_PT11_llS5_llS3_PT12_llPT13_lli, .Lfunc_end497-_ZN12_GLOBAL__N_135rocblas_gemm_batched_general_kernelIiLi16ELi16ELi32ELi32ELi8ELi32ELi8ELi8ELi32ELc67ELc84EKaKiiEEvlllT_PT11_llS5_llS3_PT12_llPT13_lli
                                        ; -- End function
	.set _ZN12_GLOBAL__N_135rocblas_gemm_batched_general_kernelIiLi16ELi16ELi32ELi32ELi8ELi32ELi8ELi8ELi32ELc67ELc84EKaKiiEEvlllT_PT11_llS5_llS3_PT12_llPT13_lli.num_vgpr, 45
	.set _ZN12_GLOBAL__N_135rocblas_gemm_batched_general_kernelIiLi16ELi16ELi32ELi32ELi8ELi32ELi8ELi8ELi32ELc67ELc84EKaKiiEEvlllT_PT11_llS5_llS3_PT12_llPT13_lli.num_agpr, 0
	.set _ZN12_GLOBAL__N_135rocblas_gemm_batched_general_kernelIiLi16ELi16ELi32ELi32ELi8ELi32ELi8ELi8ELi32ELc67ELc84EKaKiiEEvlllT_PT11_llS5_llS3_PT12_llPT13_lli.numbered_sgpr, 28
	.set _ZN12_GLOBAL__N_135rocblas_gemm_batched_general_kernelIiLi16ELi16ELi32ELi32ELi8ELi32ELi8ELi8ELi32ELc67ELc84EKaKiiEEvlllT_PT11_llS5_llS3_PT12_llPT13_lli.num_named_barrier, 0
	.set _ZN12_GLOBAL__N_135rocblas_gemm_batched_general_kernelIiLi16ELi16ELi32ELi32ELi8ELi32ELi8ELi8ELi32ELc67ELc84EKaKiiEEvlllT_PT11_llS5_llS3_PT12_llPT13_lli.private_seg_size, 0
	.set _ZN12_GLOBAL__N_135rocblas_gemm_batched_general_kernelIiLi16ELi16ELi32ELi32ELi8ELi32ELi8ELi8ELi32ELc67ELc84EKaKiiEEvlllT_PT11_llS5_llS3_PT12_llPT13_lli.uses_vcc, 1
	.set _ZN12_GLOBAL__N_135rocblas_gemm_batched_general_kernelIiLi16ELi16ELi32ELi32ELi8ELi32ELi8ELi8ELi32ELc67ELc84EKaKiiEEvlllT_PT11_llS5_llS3_PT12_llPT13_lli.uses_flat_scratch, 0
	.set _ZN12_GLOBAL__N_135rocblas_gemm_batched_general_kernelIiLi16ELi16ELi32ELi32ELi8ELi32ELi8ELi8ELi32ELc67ELc84EKaKiiEEvlllT_PT11_llS5_llS3_PT12_llPT13_lli.has_dyn_sized_stack, 0
	.set _ZN12_GLOBAL__N_135rocblas_gemm_batched_general_kernelIiLi16ELi16ELi32ELi32ELi8ELi32ELi8ELi8ELi32ELc67ELc84EKaKiiEEvlllT_PT11_llS5_llS3_PT12_llPT13_lli.has_recursion, 0
	.set _ZN12_GLOBAL__N_135rocblas_gemm_batched_general_kernelIiLi16ELi16ELi32ELi32ELi8ELi32ELi8ELi8ELi32ELc67ELc84EKaKiiEEvlllT_PT11_llS5_llS3_PT12_llPT13_lli.has_indirect_call, 0
	.section	.AMDGPU.csdata,"",@progbits
; Kernel info:
; codeLenInByte = 2116
; TotalNumSgprs: 30
; NumVgprs: 45
; ScratchSize: 0
; MemoryBound: 0
; FloatMode: 240
; IeeeMode: 1
; LDSByteSize: 2048 bytes/workgroup (compile time only)
; SGPRBlocks: 0
; VGPRBlocks: 5
; NumSGPRsForWavesPerEU: 30
; NumVGPRsForWavesPerEU: 45
; Occupancy: 16
; WaveLimiterHint : 0
; COMPUTE_PGM_RSRC2:SCRATCH_EN: 0
; COMPUTE_PGM_RSRC2:USER_SGPR: 6
; COMPUTE_PGM_RSRC2:TRAP_HANDLER: 0
; COMPUTE_PGM_RSRC2:TGID_X_EN: 1
; COMPUTE_PGM_RSRC2:TGID_Y_EN: 1
; COMPUTE_PGM_RSRC2:TGID_Z_EN: 1
; COMPUTE_PGM_RSRC2:TIDIG_COMP_CNT: 1
	.section	.text._ZN12_GLOBAL__N_135rocblas_gemm_batched_general_kernelIiLi16ELi16ELi32ELi32ELi8ELi32ELi8ELi8ELi32ELc78ELc67EKaKiiEEvlllT_PT11_llS5_llS3_PT12_llPT13_lli,"axG",@progbits,_ZN12_GLOBAL__N_135rocblas_gemm_batched_general_kernelIiLi16ELi16ELi32ELi32ELi8ELi32ELi8ELi8ELi32ELc78ELc67EKaKiiEEvlllT_PT11_llS5_llS3_PT12_llPT13_lli,comdat
	.globl	_ZN12_GLOBAL__N_135rocblas_gemm_batched_general_kernelIiLi16ELi16ELi32ELi32ELi8ELi32ELi8ELi8ELi32ELc78ELc67EKaKiiEEvlllT_PT11_llS5_llS3_PT12_llPT13_lli ; -- Begin function _ZN12_GLOBAL__N_135rocblas_gemm_batched_general_kernelIiLi16ELi16ELi32ELi32ELi8ELi32ELi8ELi8ELi32ELc78ELc67EKaKiiEEvlllT_PT11_llS5_llS3_PT12_llPT13_lli
	.p2align	8
	.type	_ZN12_GLOBAL__N_135rocblas_gemm_batched_general_kernelIiLi16ELi16ELi32ELi32ELi8ELi32ELi8ELi8ELi32ELc78ELc67EKaKiiEEvlllT_PT11_llS5_llS3_PT12_llPT13_lli,@function
_ZN12_GLOBAL__N_135rocblas_gemm_batched_general_kernelIiLi16ELi16ELi32ELi32ELi8ELi32ELi8ELi8ELi32ELc78ELc67EKaKiiEEvlllT_PT11_llS5_llS3_PT12_llPT13_lli: ; @_ZN12_GLOBAL__N_135rocblas_gemm_batched_general_kernelIiLi16ELi16ELi32ELi32ELi8ELi32ELi8ELi8ELi32ELc78ELc67EKaKiiEEvlllT_PT11_llS5_llS3_PT12_llPT13_lli
; %bb.0:
	s_clause 0x1
	s_load_dwordx2 s[10:11], s[4:5], 0x10
	s_load_dwordx4 s[20:23], s[4:5], 0x0
	s_mov_b32 s0, s7
	v_mov_b32_e32 v10, 0
	v_mov_b32_e32 v9, 0
	;; [unrolled: 1-line block ×4, first 2 shown]
	s_ashr_i32 s7, s6, 31
	s_ashr_i32 s1, s0, 31
	s_lshl_b64 s[6:7], s[6:7], 5
	s_waitcnt lgkmcnt(0)
	v_cmp_lt_i64_e64 s2, s[10:11], 1
	s_and_b32 vcc_lo, exec_lo, s2
	s_lshl_b64 s[2:3], s[0:1], 5
	s_cbranch_vccnz .LBB498_7
; %bb.1:
	s_clause 0x1
	s_load_dwordx4 s[24:27], s[4:5], 0x40
	s_load_dwordx8 s[12:19], s[4:5], 0x20
	v_lshl_add_u32 v4, v1, 4, v0
	v_mov_b32_e32 v3, 0
	v_mov_b32_e32 v5, s7
	v_and_b32_e32 v11, 7, v0
	v_lshlrev_b32_e32 v12, 2, v0
	v_lshrrev_b32_e32 v2, 3, v4
	v_lshrrev_b32_e32 v14, 5, v4
	v_and_b32_e32 v20, 31, v4
	v_lshlrev_b32_e32 v21, 2, v11
	v_lshl_add_u32 v13, v1, 5, 0x400
	v_mov_b32_e32 v8, v3
	v_mov_b32_e32 v9, v3
	s_waitcnt lgkmcnt(0)
	v_mad_u64_u32 v[6:7], null, s26, s8, v[2:3]
	s_mul_i32 s0, s17, s8
	s_mul_hi_u32 s1, s16, s8
	s_mul_i32 s9, s16, s8
	s_add_i32 s1, s1, s0
	s_add_u32 s18, s18, s2
	s_addc_u32 s19, s19, s3
	v_mov_b32_e32 v4, v7
	s_lshl_b64 s[16:17], s[24:25], 3
	s_add_u32 s0, s6, s9
	s_addc_u32 s1, s7, s1
	v_mad_u64_u32 v[15:16], null, s27, s8, v[4:5]
	v_mad_u64_u32 v[16:17], null, s14, v14, s[0:1]
	v_or_b32_e32 v4, s6, v20
	v_add_co_u32 v18, s0, v2, s2
	v_add_co_ci_u32_e64 v19, null, 0, s3, s0
	v_mov_b32_e32 v7, v15
	v_mov_b32_e32 v10, v17
	v_cmp_gt_i64_e64 s0, s[20:21], v[4:5]
	v_lshlrev_b32_e32 v15, 2, v20
	v_lshl_or_b32 v17, v2, 5, v21
	v_mad_u64_u32 v[6:7], null, s24, v11, v[6:7]
	v_mad_u64_u32 v[4:5], null, s15, v14, v[10:11]
	v_lshl_or_b32 v2, v14, 7, v15
	v_add_nc_u32_e32 v15, 0x400, v17
	v_cmp_gt_i64_e64 s1, s[22:23], v[18:19]
	v_mov_b32_e32 v5, v7
	v_add_co_u32 v7, vcc_lo, v16, v20
	v_add_co_ci_u32_e64 v10, null, 0, v4, vcc_lo
	v_mad_u64_u32 v[16:17], null, s25, v11, v[5:6]
	v_add_co_u32 v4, vcc_lo, s12, v7
	v_add_co_ci_u32_e64 v5, null, s13, v10, vcc_lo
	v_add_co_u32 v6, vcc_lo, s18, v6
	v_add_co_ci_u32_e64 v7, null, s19, v16, vcc_lo
	v_mov_b32_e32 v10, v3
	s_lshl_b64 s[12:13], s[14:15], 3
	s_mov_b64 s[14:15], 0
	s_branch .LBB498_3
.LBB498_2:                              ;   in Loop: Header=BB498_3 Depth=1
	s_or_b32 exec_lo, exec_lo, s9
	s_waitcnt vmcnt(0)
	ds_write_b32 v15, v17
	s_waitcnt lgkmcnt(0)
	s_barrier
	buffer_gl0_inv
	ds_read_b128 v[16:19], v13
	ds_read2_b32 v[32:33], v12 offset1:16
	ds_read_b128 v[20:23], v13 offset:512
	ds_read2_b32 v[34:35], v12 offset0:32 offset1:48
	ds_read2_b32 v[36:37], v12 offset0:64 offset1:80
	;; [unrolled: 1-line block ×3, first 2 shown]
	ds_read_b128 v[24:27], v13 offset:16
	ds_read2_b32 v[40:41], v12 offset0:128 offset1:144
	ds_read_b128 v[28:31], v13 offset:528
	ds_read2_b32 v[42:43], v12 offset0:160 offset1:176
	s_add_u32 s14, s14, 8
	s_addc_u32 s15, s15, 0
	v_add_co_u32 v6, vcc_lo, v6, s16
	v_cmp_lt_i64_e64 s9, s[14:15], s[10:11]
	v_add_co_ci_u32_e64 v7, null, s17, v7, vcc_lo
	v_add_co_u32 v4, vcc_lo, v4, s12
	v_add_co_ci_u32_e64 v5, null, s13, v5, vcc_lo
	s_waitcnt lgkmcnt(8)
	v_mul_lo_u32 v44, v16, v32
	v_mul_lo_u32 v16, v16, v33
	s_waitcnt lgkmcnt(7)
	v_mul_lo_u32 v32, v20, v32
	v_mul_lo_u32 v20, v20, v33
	;; [unrolled: 3-line block ×3, first 2 shown]
	v_mul_lo_u32 v34, v21, v34
	v_mul_lo_u32 v21, v21, v35
	s_waitcnt lgkmcnt(5)
	v_mul_lo_u32 v35, v18, v36
	v_mul_lo_u32 v18, v18, v37
	;; [unrolled: 1-line block ×4, first 2 shown]
	v_add3_u32 v33, v10, v44, v33
	v_add3_u32 v44, v9, v16, v17
	ds_read2_b32 v[9:10], v12 offset0:192 offset1:208
	ds_read2_b32 v[16:17], v12 offset0:224 offset1:240
	s_waitcnt lgkmcnt(6)
	v_mul_lo_u32 v37, v19, v38
	v_mul_lo_u32 v19, v19, v39
	;; [unrolled: 1-line block ×4, first 2 shown]
	v_add3_u32 v3, v3, v20, v21
	s_waitcnt lgkmcnt(4)
	v_mul_lo_u32 v20, v24, v40
	s_waitcnt lgkmcnt(2)
	v_mul_lo_u32 v21, v25, v42
	v_add3_u32 v8, v8, v32, v34
	v_add3_u32 v32, v33, v35, v37
	v_add3_u32 v18, v44, v18, v19
	v_mul_lo_u32 v19, v24, v41
	v_add3_u32 v3, v3, v22, v23
	v_mul_lo_u32 v22, v28, v40
	v_mul_lo_u32 v23, v28, v41
	v_add3_u32 v20, v32, v20, v21
	v_mul_lo_u32 v21, v25, v43
	v_mul_lo_u32 v24, v29, v42
	;; [unrolled: 1-line block ×3, first 2 shown]
	v_add3_u32 v8, v8, v36, v38
	s_waitcnt lgkmcnt(1)
	v_mul_lo_u32 v28, v26, v9
	v_mul_lo_u32 v26, v26, v10
	v_mul_lo_u32 v29, v30, v9
	v_mul_lo_u32 v30, v30, v10
	s_waitcnt lgkmcnt(0)
	v_mul_lo_u32 v9, v27, v16
	v_mul_lo_u32 v27, v27, v17
	;; [unrolled: 1-line block ×4, first 2 shown]
	v_add3_u32 v18, v18, v19, v21
	v_add3_u32 v8, v8, v22, v24
	;; [unrolled: 1-line block ×3, first 2 shown]
	s_and_b32 vcc_lo, exec_lo, s9
	v_add3_u32 v10, v20, v28, v9
	v_add3_u32 v9, v18, v26, v27
	v_add3_u32 v8, v8, v29, v16
	v_add3_u32 v3, v3, v30, v17
	s_barrier
	buffer_gl0_inv
	s_cbranch_vccz .LBB498_7
.LBB498_3:                              ; =>This Inner Loop Header: Depth=1
	v_add_co_u32 v16, s9, v14, s14
	v_add_co_ci_u32_e64 v17, null, 0, s15, s9
	v_cmp_gt_i64_e32 vcc_lo, s[10:11], v[16:17]
	v_mov_b32_e32 v16, 0
	s_and_b32 s18, s0, vcc_lo
	s_and_saveexec_b32 s9, s18
	s_cbranch_execz .LBB498_5
; %bb.4:                                ;   in Loop: Header=BB498_3 Depth=1
	global_load_sbyte v16, v[4:5], off
.LBB498_5:                              ;   in Loop: Header=BB498_3 Depth=1
	s_or_b32 exec_lo, exec_lo, s9
	v_add_co_u32 v17, s9, v11, s14
	v_add_co_ci_u32_e64 v18, null, 0, s15, s9
	s_waitcnt vmcnt(0)
	ds_write_b32 v2, v16
	v_cmp_gt_i64_e32 vcc_lo, s[10:11], v[17:18]
	v_mov_b32_e32 v17, 0
	s_and_b32 s18, vcc_lo, s1
	s_and_saveexec_b32 s9, s18
	s_cbranch_execz .LBB498_2
; %bb.6:                                ;   in Loop: Header=BB498_3 Depth=1
	global_load_sbyte v17, v[6:7], off
	s_branch .LBB498_2
.LBB498_7:
	s_clause 0x3
	s_load_dwordx4 s[24:27], s[4:5], 0x78
	s_load_dwordx8 s[12:19], s[4:5], 0x58
	s_load_dword s9, s[4:5], 0x50
	s_load_dword s4, s[4:5], 0x18
	v_add_co_u32 v1, s2, s2, v1
	v_add_co_ci_u32_e64 v2, null, s3, 0, s2
	s_waitcnt lgkmcnt(0)
	s_mul_i32 s0, s27, s8
	s_mul_hi_u32 s1, s26, s8
	s_add_i32 s1, s1, s0
	s_mul_i32 s0, s26, s8
	s_lshl_b64 s[10:11], s[0:1], 2
	v_cmp_gt_i64_e64 s0, s[22:23], v[1:2]
	s_add_u32 s3, s18, s10
	s_addc_u32 s5, s19, s11
	s_cmp_eq_u32 s9, 0
	s_cbranch_scc1 .LBB498_20
; %bb.8:
	s_and_saveexec_b32 s10, s0
	s_cbranch_execz .LBB498_18
; %bb.9:
	v_mul_lo_u32 v6, v2, s14
	v_mul_lo_u32 v7, v1, s15
	v_mad_u64_u32 v[4:5], null, v1, s14, 0
	v_mul_lo_u32 v13, v2, s24
	v_mul_lo_u32 v14, v1, s25
	v_mad_u64_u32 v[11:12], null, v1, s24, 0
	s_mul_i32 s1, s17, s8
	s_mul_hi_u32 s2, s16, s8
	v_add3_u32 v5, v5, v7, v6
	s_add_i32 s17, s2, s1
	s_mul_i32 s16, s16, s8
	v_add_co_u32 v6, s1, s6, v0
	v_add3_u32 v12, v12, v14, v13
	v_lshlrev_b64 v[4:5], 2, v[4:5]
	s_lshl_b64 s[16:17], s[16:17], 2
	v_add_co_ci_u32_e64 v7, null, s7, 0, s1
	v_lshlrev_b64 v[13:14], 2, v[11:12]
	s_add_u32 s1, s12, s16
	s_addc_u32 s2, s13, s17
	v_add_co_u32 v11, s1, s1, v4
	v_add_co_ci_u32_e64 v12, null, s2, v5, s1
	v_add_co_u32 v13, s1, s3, v13
	v_cmp_gt_i64_e32 vcc_lo, s[20:21], v[6:7]
	v_lshlrev_b64 v[4:5], 2, v[6:7]
	v_add_co_ci_u32_e64 v14, null, s5, v14, s1
	s_and_saveexec_b32 s2, vcc_lo
	s_cbranch_execz .LBB498_11
; %bb.10:
	v_add_co_u32 v15, s1, v11, v4
	v_add_co_ci_u32_e64 v16, null, v12, v5, s1
	global_load_dword v16, v[15:16], off
	v_mul_lo_u32 v15, v10, s4
	s_waitcnt vmcnt(0)
	v_mad_u64_u32 v[15:16], null, v16, s9, v[15:16]
	v_add_co_u32 v16, s1, v13, v4
	v_add_co_ci_u32_e64 v17, null, v14, v5, s1
	global_store_dword v[16:17], v15, off
.LBB498_11:
	s_or_b32 exec_lo, exec_lo, s2
	v_add_co_u32 v6, s1, v6, 16
	v_add_co_ci_u32_e64 v7, null, 0, v7, s1
	v_cmp_gt_i64_e64 s1, s[20:21], v[6:7]
	s_and_saveexec_b32 s8, s1
	s_cbranch_execz .LBB498_13
; %bb.12:
	v_add_co_u32 v6, s2, v11, v4
	v_add_co_ci_u32_e64 v7, null, v12, v5, s2
	v_add_co_u32 v15, s2, v13, v4
	v_add_co_ci_u32_e64 v16, null, v14, v5, s2
	global_load_dword v7, v[6:7], off offset:64
	v_mul_lo_u32 v6, v9, s4
	s_waitcnt vmcnt(0)
	v_mad_u64_u32 v[6:7], null, v7, s9, v[6:7]
	global_store_dword v[15:16], v6, off offset:64
.LBB498_13:
	s_or_b32 exec_lo, exec_lo, s8
	v_add_co_u32 v6, s2, v1, 16
	v_add_co_ci_u32_e64 v7, null, 0, v2, s2
	v_cmp_gt_i64_e64 s2, s[22:23], v[6:7]
	s_and_b32 exec_lo, exec_lo, s2
	s_cbranch_execz .LBB498_18
; %bb.14:
	s_lshl_b64 s[12:13], s[14:15], 6
	v_add_co_u32 v6, s2, v11, s12
	v_add_co_ci_u32_e64 v7, null, s13, v12, s2
	s_lshl_b64 s[12:13], s[24:25], 6
	v_add_co_u32 v11, s2, v13, s12
	v_add_co_ci_u32_e64 v12, null, s13, v14, s2
	v_add_co_u32 v6, s2, v6, v4
	v_add_co_ci_u32_e64 v7, null, v7, v5, s2
	;; [unrolled: 2-line block ×3, first 2 shown]
	s_and_saveexec_b32 s2, vcc_lo
	s_cbranch_execz .LBB498_16
; %bb.15:
	global_load_dword v12, v[6:7], off
	v_mul_lo_u32 v11, v8, s4
	s_waitcnt vmcnt(0)
	v_mad_u64_u32 v[11:12], null, v12, s9, v[11:12]
	global_store_dword v[4:5], v11, off
.LBB498_16:
	s_or_b32 exec_lo, exec_lo, s2
	s_and_b32 exec_lo, exec_lo, s1
	s_cbranch_execz .LBB498_18
; %bb.17:
	global_load_dword v7, v[6:7], off offset:64
	v_mul_lo_u32 v6, v3, s4
	s_waitcnt vmcnt(0)
	v_mad_u64_u32 v[6:7], null, v7, s9, v[6:7]
	global_store_dword v[4:5], v6, off offset:64
.LBB498_18:
	s_or_b32 exec_lo, exec_lo, s10
	s_cbranch_execz .LBB498_21
.LBB498_19:
	s_endpgm
.LBB498_20:
.LBB498_21:
	s_and_saveexec_b32 s1, s0
	s_cbranch_execz .LBB498_19
; %bb.22:
	v_mul_lo_u32 v6, v2, s24
	v_mul_lo_u32 v7, v1, s25
	v_mad_u64_u32 v[4:5], null, v1, s24, 0
	v_add3_u32 v5, v5, v7, v6
	v_add_co_u32 v6, s0, s6, v0
	v_add_co_ci_u32_e64 v7, null, s7, 0, s0
	v_lshlrev_b64 v[11:12], 2, v[4:5]
	v_cmp_gt_i64_e32 vcc_lo, s[20:21], v[6:7]
	v_lshlrev_b64 v[4:5], 2, v[6:7]
	v_add_co_u32 v0, s0, s3, v11
	v_add_co_ci_u32_e64 v11, null, s5, v12, s0
	s_and_saveexec_b32 s1, vcc_lo
	s_cbranch_execz .LBB498_24
; %bb.23:
	v_mul_lo_u32 v10, v10, s4
	v_add_co_u32 v12, s0, v0, v4
	v_add_co_ci_u32_e64 v13, null, v11, v5, s0
	global_store_dword v[12:13], v10, off
.LBB498_24:
	s_or_b32 exec_lo, exec_lo, s1
	v_add_co_u32 v6, s0, v6, 16
	v_add_co_ci_u32_e64 v7, null, 0, v7, s0
	v_cmp_gt_i64_e64 s0, s[20:21], v[6:7]
	s_and_saveexec_b32 s2, s0
	s_cbranch_execz .LBB498_26
; %bb.25:
	v_mul_lo_u32 v9, v9, s4
	v_add_co_u32 v6, s1, v0, v4
	v_add_co_ci_u32_e64 v7, null, v11, v5, s1
	global_store_dword v[6:7], v9, off offset:64
.LBB498_26:
	s_or_b32 exec_lo, exec_lo, s2
	v_add_co_u32 v1, s1, v1, 16
	v_add_co_ci_u32_e64 v2, null, 0, v2, s1
	v_cmp_gt_i64_e64 s1, s[22:23], v[1:2]
	s_and_b32 exec_lo, exec_lo, s1
	s_cbranch_execz .LBB498_19
; %bb.27:
	s_lshl_b64 s[2:3], s[24:25], 6
	v_add_co_u32 v0, s1, v0, s2
	v_add_co_ci_u32_e64 v1, null, s3, v11, s1
	v_add_co_u32 v0, s1, v0, v4
	v_add_co_ci_u32_e64 v1, null, v1, v5, s1
	s_and_saveexec_b32 s1, vcc_lo
	s_cbranch_execz .LBB498_29
; %bb.28:
	v_mul_lo_u32 v2, v8, s4
	global_store_dword v[0:1], v2, off
.LBB498_29:
	s_or_b32 exec_lo, exec_lo, s1
	s_and_b32 exec_lo, exec_lo, s0
	s_cbranch_execz .LBB498_19
; %bb.30:
	v_mul_lo_u32 v2, v3, s4
	global_store_dword v[0:1], v2, off offset:64
	s_endpgm
	.section	.rodata,"a",@progbits
	.p2align	6, 0x0
	.amdhsa_kernel _ZN12_GLOBAL__N_135rocblas_gemm_batched_general_kernelIiLi16ELi16ELi32ELi32ELi8ELi32ELi8ELi8ELi32ELc78ELc67EKaKiiEEvlllT_PT11_llS5_llS3_PT12_llPT13_lli
		.amdhsa_group_segment_fixed_size 2048
		.amdhsa_private_segment_fixed_size 0
		.amdhsa_kernarg_size 140
		.amdhsa_user_sgpr_count 6
		.amdhsa_user_sgpr_private_segment_buffer 1
		.amdhsa_user_sgpr_dispatch_ptr 0
		.amdhsa_user_sgpr_queue_ptr 0
		.amdhsa_user_sgpr_kernarg_segment_ptr 1
		.amdhsa_user_sgpr_dispatch_id 0
		.amdhsa_user_sgpr_flat_scratch_init 0
		.amdhsa_user_sgpr_private_segment_size 0
		.amdhsa_wavefront_size32 1
		.amdhsa_uses_dynamic_stack 0
		.amdhsa_system_sgpr_private_segment_wavefront_offset 0
		.amdhsa_system_sgpr_workgroup_id_x 1
		.amdhsa_system_sgpr_workgroup_id_y 1
		.amdhsa_system_sgpr_workgroup_id_z 1
		.amdhsa_system_sgpr_workgroup_info 0
		.amdhsa_system_vgpr_workitem_id 1
		.amdhsa_next_free_vgpr 45
		.amdhsa_next_free_sgpr 28
		.amdhsa_reserve_vcc 1
		.amdhsa_reserve_flat_scratch 0
		.amdhsa_float_round_mode_32 0
		.amdhsa_float_round_mode_16_64 0
		.amdhsa_float_denorm_mode_32 3
		.amdhsa_float_denorm_mode_16_64 3
		.amdhsa_dx10_clamp 1
		.amdhsa_ieee_mode 1
		.amdhsa_fp16_overflow 0
		.amdhsa_workgroup_processor_mode 1
		.amdhsa_memory_ordered 1
		.amdhsa_forward_progress 1
		.amdhsa_shared_vgpr_count 0
		.amdhsa_exception_fp_ieee_invalid_op 0
		.amdhsa_exception_fp_denorm_src 0
		.amdhsa_exception_fp_ieee_div_zero 0
		.amdhsa_exception_fp_ieee_overflow 0
		.amdhsa_exception_fp_ieee_underflow 0
		.amdhsa_exception_fp_ieee_inexact 0
		.amdhsa_exception_int_div_zero 0
	.end_amdhsa_kernel
	.section	.text._ZN12_GLOBAL__N_135rocblas_gemm_batched_general_kernelIiLi16ELi16ELi32ELi32ELi8ELi32ELi8ELi8ELi32ELc78ELc67EKaKiiEEvlllT_PT11_llS5_llS3_PT12_llPT13_lli,"axG",@progbits,_ZN12_GLOBAL__N_135rocblas_gemm_batched_general_kernelIiLi16ELi16ELi32ELi32ELi8ELi32ELi8ELi8ELi32ELc78ELc67EKaKiiEEvlllT_PT11_llS5_llS3_PT12_llPT13_lli,comdat
.Lfunc_end498:
	.size	_ZN12_GLOBAL__N_135rocblas_gemm_batched_general_kernelIiLi16ELi16ELi32ELi32ELi8ELi32ELi8ELi8ELi32ELc78ELc67EKaKiiEEvlllT_PT11_llS5_llS3_PT12_llPT13_lli, .Lfunc_end498-_ZN12_GLOBAL__N_135rocblas_gemm_batched_general_kernelIiLi16ELi16ELi32ELi32ELi8ELi32ELi8ELi8ELi32ELc78ELc67EKaKiiEEvlllT_PT11_llS5_llS3_PT12_llPT13_lli
                                        ; -- End function
	.set _ZN12_GLOBAL__N_135rocblas_gemm_batched_general_kernelIiLi16ELi16ELi32ELi32ELi8ELi32ELi8ELi8ELi32ELc78ELc67EKaKiiEEvlllT_PT11_llS5_llS3_PT12_llPT13_lli.num_vgpr, 45
	.set _ZN12_GLOBAL__N_135rocblas_gemm_batched_general_kernelIiLi16ELi16ELi32ELi32ELi8ELi32ELi8ELi8ELi32ELc78ELc67EKaKiiEEvlllT_PT11_llS5_llS3_PT12_llPT13_lli.num_agpr, 0
	.set _ZN12_GLOBAL__N_135rocblas_gemm_batched_general_kernelIiLi16ELi16ELi32ELi32ELi8ELi32ELi8ELi8ELi32ELc78ELc67EKaKiiEEvlllT_PT11_llS5_llS3_PT12_llPT13_lli.numbered_sgpr, 28
	.set _ZN12_GLOBAL__N_135rocblas_gemm_batched_general_kernelIiLi16ELi16ELi32ELi32ELi8ELi32ELi8ELi8ELi32ELc78ELc67EKaKiiEEvlllT_PT11_llS5_llS3_PT12_llPT13_lli.num_named_barrier, 0
	.set _ZN12_GLOBAL__N_135rocblas_gemm_batched_general_kernelIiLi16ELi16ELi32ELi32ELi8ELi32ELi8ELi8ELi32ELc78ELc67EKaKiiEEvlllT_PT11_llS5_llS3_PT12_llPT13_lli.private_seg_size, 0
	.set _ZN12_GLOBAL__N_135rocblas_gemm_batched_general_kernelIiLi16ELi16ELi32ELi32ELi8ELi32ELi8ELi8ELi32ELc78ELc67EKaKiiEEvlllT_PT11_llS5_llS3_PT12_llPT13_lli.uses_vcc, 1
	.set _ZN12_GLOBAL__N_135rocblas_gemm_batched_general_kernelIiLi16ELi16ELi32ELi32ELi8ELi32ELi8ELi8ELi32ELc78ELc67EKaKiiEEvlllT_PT11_llS5_llS3_PT12_llPT13_lli.uses_flat_scratch, 0
	.set _ZN12_GLOBAL__N_135rocblas_gemm_batched_general_kernelIiLi16ELi16ELi32ELi32ELi8ELi32ELi8ELi8ELi32ELc78ELc67EKaKiiEEvlllT_PT11_llS5_llS3_PT12_llPT13_lli.has_dyn_sized_stack, 0
	.set _ZN12_GLOBAL__N_135rocblas_gemm_batched_general_kernelIiLi16ELi16ELi32ELi32ELi8ELi32ELi8ELi8ELi32ELc78ELc67EKaKiiEEvlllT_PT11_llS5_llS3_PT12_llPT13_lli.has_recursion, 0
	.set _ZN12_GLOBAL__N_135rocblas_gemm_batched_general_kernelIiLi16ELi16ELi32ELi32ELi8ELi32ELi8ELi8ELi32ELc78ELc67EKaKiiEEvlllT_PT11_llS5_llS3_PT12_llPT13_lli.has_indirect_call, 0
	.section	.AMDGPU.csdata,"",@progbits
; Kernel info:
; codeLenInByte = 2108
; TotalNumSgprs: 30
; NumVgprs: 45
; ScratchSize: 0
; MemoryBound: 0
; FloatMode: 240
; IeeeMode: 1
; LDSByteSize: 2048 bytes/workgroup (compile time only)
; SGPRBlocks: 0
; VGPRBlocks: 5
; NumSGPRsForWavesPerEU: 30
; NumVGPRsForWavesPerEU: 45
; Occupancy: 16
; WaveLimiterHint : 0
; COMPUTE_PGM_RSRC2:SCRATCH_EN: 0
; COMPUTE_PGM_RSRC2:USER_SGPR: 6
; COMPUTE_PGM_RSRC2:TRAP_HANDLER: 0
; COMPUTE_PGM_RSRC2:TGID_X_EN: 1
; COMPUTE_PGM_RSRC2:TGID_Y_EN: 1
; COMPUTE_PGM_RSRC2:TGID_Z_EN: 1
; COMPUTE_PGM_RSRC2:TIDIG_COMP_CNT: 1
	.section	.text._ZN12_GLOBAL__N_135rocblas_gemm_batched_general_kernelIiLi16ELi16ELi32ELi32ELi8ELi32ELi8ELi8ELi32ELc84ELc67EKaKiiEEvlllT_PT11_llS5_llS3_PT12_llPT13_lli,"axG",@progbits,_ZN12_GLOBAL__N_135rocblas_gemm_batched_general_kernelIiLi16ELi16ELi32ELi32ELi8ELi32ELi8ELi8ELi32ELc84ELc67EKaKiiEEvlllT_PT11_llS5_llS3_PT12_llPT13_lli,comdat
	.globl	_ZN12_GLOBAL__N_135rocblas_gemm_batched_general_kernelIiLi16ELi16ELi32ELi32ELi8ELi32ELi8ELi8ELi32ELc84ELc67EKaKiiEEvlllT_PT11_llS5_llS3_PT12_llPT13_lli ; -- Begin function _ZN12_GLOBAL__N_135rocblas_gemm_batched_general_kernelIiLi16ELi16ELi32ELi32ELi8ELi32ELi8ELi8ELi32ELc84ELc67EKaKiiEEvlllT_PT11_llS5_llS3_PT12_llPT13_lli
	.p2align	8
	.type	_ZN12_GLOBAL__N_135rocblas_gemm_batched_general_kernelIiLi16ELi16ELi32ELi32ELi8ELi32ELi8ELi8ELi32ELc84ELc67EKaKiiEEvlllT_PT11_llS5_llS3_PT12_llPT13_lli,@function
_ZN12_GLOBAL__N_135rocblas_gemm_batched_general_kernelIiLi16ELi16ELi32ELi32ELi8ELi32ELi8ELi8ELi32ELc84ELc67EKaKiiEEvlllT_PT11_llS5_llS3_PT12_llPT13_lli: ; @_ZN12_GLOBAL__N_135rocblas_gemm_batched_general_kernelIiLi16ELi16ELi32ELi32ELi8ELi32ELi8ELi8ELi32ELc84ELc67EKaKiiEEvlllT_PT11_llS5_llS3_PT12_llPT13_lli
; %bb.0:
	s_clause 0x1
	s_load_dwordx2 s[10:11], s[4:5], 0x10
	s_load_dwordx4 s[20:23], s[4:5], 0x0
	s_mov_b32 s0, s7
	v_mov_b32_e32 v10, 0
	v_mov_b32_e32 v9, 0
	;; [unrolled: 1-line block ×4, first 2 shown]
	s_ashr_i32 s7, s6, 31
	s_ashr_i32 s1, s0, 31
	s_lshl_b64 s[6:7], s[6:7], 5
	s_waitcnt lgkmcnt(0)
	v_cmp_lt_i64_e64 s2, s[10:11], 1
	s_and_b32 vcc_lo, exec_lo, s2
	s_lshl_b64 s[2:3], s[0:1], 5
	s_cbranch_vccnz .LBB499_7
; %bb.1:
	s_clause 0x1
	s_load_dwordx4 s[24:27], s[4:5], 0x40
	s_load_dwordx8 s[12:19], s[4:5], 0x20
	v_lshl_add_u32 v4, v1, 4, v0
	v_mov_b32_e32 v3, 0
	v_lshl_add_u32 v11, v1, 5, 0x400
	v_and_b32_e32 v6, 7, v0
	v_mov_b32_e32 v5, s7
	v_lshrrev_b32_e32 v12, 3, v4
	v_mov_b32_e32 v13, v3
	v_and_b32_e32 v20, 31, v4
	v_lshrrev_b32_e32 v2, 5, v4
	v_lshlrev_b32_e32 v7, 2, v0
	v_add_co_u32 v16, s0, v12, s2
	v_add_co_ci_u32_e64 v17, null, 0, s3, s0
	v_or_b32_e32 v4, s6, v20
	v_mov_b32_e32 v8, v3
	v_mov_b32_e32 v9, v3
	v_cmp_gt_i64_e64 s1, s[22:23], v[16:17]
	s_waitcnt lgkmcnt(0)
	v_mad_u64_u32 v[14:15], null, s26, s8, v[12:13]
	v_lshlrev_b32_e32 v13, 2, v6
	s_mul_i32 s9, s17, s8
	s_mul_hi_u32 s17, s16, s8
	s_mul_i32 s16, s16, s8
	s_add_i32 s17, s17, s9
	v_lshl_or_b32 v13, v12, 5, v13
	v_mov_b32_e32 v10, v15
	v_lshlrev_b32_e32 v15, 2, v20
	s_add_u32 s9, s18, s2
	s_addc_u32 s18, s19, s3
	v_add_nc_u32_e32 v13, 0x400, v13
	v_mad_u64_u32 v[18:19], null, s27, s8, v[10:11]
	v_add_co_u32 v10, s0, s6, v20
	v_add_co_ci_u32_e64 v19, null, s7, 0, s0
	v_lshl_or_b32 v12, v2, 7, v15
	v_cmp_gt_i64_e64 s0, s[20:21], v[4:5]
	v_mov_b32_e32 v15, v18
	v_mul_lo_u32 v16, s14, v19
	v_mad_u64_u32 v[4:5], null, s24, v6, v[14:15]
	v_mad_u64_u32 v[14:15], null, s14, v10, v[2:3]
	v_mul_lo_u32 v10, s15, v10
	s_lshl_b64 s[14:15], s[24:25], 3
	s_add_u32 s12, s12, s16
	s_addc_u32 s13, s13, s17
	v_add_co_u32 v14, vcc_lo, s12, v14
	v_add3_u32 v10, v10, v15, v16
	v_mad_u64_u32 v[16:17], null, s25, v6, v[5:6]
	v_add_co_ci_u32_e64 v15, null, s13, v10, vcc_lo
	v_add_co_u32 v4, vcc_lo, s9, v4
	v_add_co_ci_u32_e64 v5, null, s18, v16, vcc_lo
	v_mov_b32_e32 v10, v3
	s_mov_b64 s[12:13], 0
	s_branch .LBB499_3
.LBB499_2:                              ;   in Loop: Header=BB499_3 Depth=1
	s_or_b32 exec_lo, exec_lo, s9
	s_waitcnt vmcnt(0)
	ds_write_b32 v13, v17
	s_waitcnt lgkmcnt(0)
	s_barrier
	buffer_gl0_inv
	ds_read_b128 v[16:19], v11
	ds_read2_b32 v[32:33], v7 offset1:16
	ds_read_b128 v[20:23], v11 offset:512
	ds_read2_b32 v[34:35], v7 offset0:32 offset1:48
	ds_read2_b32 v[36:37], v7 offset0:64 offset1:80
	;; [unrolled: 1-line block ×3, first 2 shown]
	ds_read_b128 v[24:27], v11 offset:16
	ds_read2_b32 v[40:41], v7 offset0:128 offset1:144
	ds_read_b128 v[28:31], v11 offset:528
	ds_read2_b32 v[42:43], v7 offset0:160 offset1:176
	s_add_u32 s12, s12, 8
	s_addc_u32 s13, s13, 0
	v_add_co_u32 v4, vcc_lo, v4, s14
	v_cmp_lt_i64_e64 s9, s[12:13], s[10:11]
	v_add_co_ci_u32_e64 v5, null, s15, v5, vcc_lo
	s_and_b32 vcc_lo, exec_lo, s9
	s_waitcnt lgkmcnt(8)
	v_mul_lo_u32 v44, v16, v32
	v_mul_lo_u32 v16, v16, v33
	s_waitcnt lgkmcnt(7)
	v_mul_lo_u32 v32, v20, v32
	v_mul_lo_u32 v20, v20, v33
	;; [unrolled: 3-line block ×3, first 2 shown]
	v_mul_lo_u32 v34, v21, v34
	v_mul_lo_u32 v21, v21, v35
	s_waitcnt lgkmcnt(5)
	v_mul_lo_u32 v35, v18, v36
	v_mul_lo_u32 v18, v18, v37
	;; [unrolled: 1-line block ×4, first 2 shown]
	v_add3_u32 v33, v10, v44, v33
	v_add3_u32 v44, v9, v16, v17
	ds_read2_b32 v[9:10], v7 offset0:192 offset1:208
	ds_read2_b32 v[16:17], v7 offset0:224 offset1:240
	s_waitcnt lgkmcnt(6)
	v_mul_lo_u32 v37, v19, v38
	v_mul_lo_u32 v19, v19, v39
	;; [unrolled: 1-line block ×4, first 2 shown]
	v_add3_u32 v3, v3, v20, v21
	s_waitcnt lgkmcnt(4)
	v_mul_lo_u32 v20, v24, v40
	s_waitcnt lgkmcnt(2)
	v_mul_lo_u32 v21, v25, v42
	v_add3_u32 v8, v8, v32, v34
	v_add3_u32 v32, v33, v35, v37
	;; [unrolled: 1-line block ×3, first 2 shown]
	v_mul_lo_u32 v19, v24, v41
	v_add3_u32 v3, v3, v22, v23
	v_mul_lo_u32 v22, v28, v40
	v_mul_lo_u32 v23, v28, v41
	v_add3_u32 v20, v32, v20, v21
	v_mul_lo_u32 v21, v25, v43
	v_mul_lo_u32 v24, v29, v42
	;; [unrolled: 1-line block ×3, first 2 shown]
	v_add3_u32 v8, v8, v36, v38
	s_waitcnt lgkmcnt(1)
	v_mul_lo_u32 v28, v26, v9
	v_mul_lo_u32 v26, v26, v10
	;; [unrolled: 1-line block ×4, first 2 shown]
	s_waitcnt lgkmcnt(0)
	v_mul_lo_u32 v9, v27, v16
	v_mul_lo_u32 v27, v27, v17
	;; [unrolled: 1-line block ×4, first 2 shown]
	v_add3_u32 v18, v18, v19, v21
	v_add3_u32 v8, v8, v22, v24
	;; [unrolled: 1-line block ×7, first 2 shown]
	s_barrier
	buffer_gl0_inv
	s_cbranch_vccz .LBB499_7
.LBB499_3:                              ; =>This Inner Loop Header: Depth=1
	v_add_co_u32 v16, s9, v2, s12
	v_add_co_ci_u32_e64 v17, null, 0, s13, s9
	v_cmp_gt_i64_e32 vcc_lo, s[10:11], v[16:17]
	v_mov_b32_e32 v16, 0
	s_and_b32 s16, s0, vcc_lo
	s_and_saveexec_b32 s9, s16
	s_cbranch_execz .LBB499_5
; %bb.4:                                ;   in Loop: Header=BB499_3 Depth=1
	v_add_co_u32 v16, vcc_lo, v14, s12
	v_add_co_ci_u32_e64 v17, null, s13, v15, vcc_lo
	global_load_sbyte v16, v[16:17], off
.LBB499_5:                              ;   in Loop: Header=BB499_3 Depth=1
	s_or_b32 exec_lo, exec_lo, s9
	v_add_co_u32 v17, s9, v6, s12
	v_add_co_ci_u32_e64 v18, null, 0, s13, s9
	s_waitcnt vmcnt(0)
	ds_write_b32 v12, v16
	v_cmp_gt_i64_e32 vcc_lo, s[10:11], v[17:18]
	v_mov_b32_e32 v17, 0
	s_and_b32 s16, vcc_lo, s1
	s_and_saveexec_b32 s9, s16
	s_cbranch_execz .LBB499_2
; %bb.6:                                ;   in Loop: Header=BB499_3 Depth=1
	global_load_sbyte v17, v[4:5], off
	s_branch .LBB499_2
.LBB499_7:
	s_clause 0x3
	s_load_dwordx4 s[24:27], s[4:5], 0x78
	s_load_dwordx8 s[12:19], s[4:5], 0x58
	s_load_dword s9, s[4:5], 0x50
	s_load_dword s4, s[4:5], 0x18
	v_add_co_u32 v1, s2, s2, v1
	v_add_co_ci_u32_e64 v2, null, s3, 0, s2
	s_waitcnt lgkmcnt(0)
	s_mul_i32 s0, s27, s8
	s_mul_hi_u32 s1, s26, s8
	s_add_i32 s1, s1, s0
	s_mul_i32 s0, s26, s8
	s_lshl_b64 s[10:11], s[0:1], 2
	v_cmp_gt_i64_e64 s0, s[22:23], v[1:2]
	s_add_u32 s3, s18, s10
	s_addc_u32 s5, s19, s11
	s_cmp_eq_u32 s9, 0
	s_cbranch_scc1 .LBB499_20
; %bb.8:
	s_and_saveexec_b32 s10, s0
	s_cbranch_execz .LBB499_18
; %bb.9:
	v_mul_lo_u32 v6, v2, s14
	v_mul_lo_u32 v7, v1, s15
	v_mad_u64_u32 v[4:5], null, v1, s14, 0
	v_mul_lo_u32 v13, v2, s24
	v_mul_lo_u32 v14, v1, s25
	v_mad_u64_u32 v[11:12], null, v1, s24, 0
	s_mul_i32 s1, s17, s8
	s_mul_hi_u32 s2, s16, s8
	v_add3_u32 v5, v5, v7, v6
	s_add_i32 s17, s2, s1
	s_mul_i32 s16, s16, s8
	v_add_co_u32 v6, s1, s6, v0
	v_add3_u32 v12, v12, v14, v13
	v_lshlrev_b64 v[4:5], 2, v[4:5]
	s_lshl_b64 s[16:17], s[16:17], 2
	v_add_co_ci_u32_e64 v7, null, s7, 0, s1
	v_lshlrev_b64 v[13:14], 2, v[11:12]
	s_add_u32 s1, s12, s16
	s_addc_u32 s2, s13, s17
	v_add_co_u32 v11, s1, s1, v4
	v_add_co_ci_u32_e64 v12, null, s2, v5, s1
	v_add_co_u32 v13, s1, s3, v13
	v_cmp_gt_i64_e32 vcc_lo, s[20:21], v[6:7]
	v_lshlrev_b64 v[4:5], 2, v[6:7]
	v_add_co_ci_u32_e64 v14, null, s5, v14, s1
	s_and_saveexec_b32 s2, vcc_lo
	s_cbranch_execz .LBB499_11
; %bb.10:
	v_add_co_u32 v15, s1, v11, v4
	v_add_co_ci_u32_e64 v16, null, v12, v5, s1
	global_load_dword v16, v[15:16], off
	v_mul_lo_u32 v15, v10, s4
	s_waitcnt vmcnt(0)
	v_mad_u64_u32 v[15:16], null, v16, s9, v[15:16]
	v_add_co_u32 v16, s1, v13, v4
	v_add_co_ci_u32_e64 v17, null, v14, v5, s1
	global_store_dword v[16:17], v15, off
.LBB499_11:
	s_or_b32 exec_lo, exec_lo, s2
	v_add_co_u32 v6, s1, v6, 16
	v_add_co_ci_u32_e64 v7, null, 0, v7, s1
	v_cmp_gt_i64_e64 s1, s[20:21], v[6:7]
	s_and_saveexec_b32 s8, s1
	s_cbranch_execz .LBB499_13
; %bb.12:
	v_add_co_u32 v6, s2, v11, v4
	v_add_co_ci_u32_e64 v7, null, v12, v5, s2
	v_add_co_u32 v15, s2, v13, v4
	v_add_co_ci_u32_e64 v16, null, v14, v5, s2
	global_load_dword v7, v[6:7], off offset:64
	v_mul_lo_u32 v6, v9, s4
	s_waitcnt vmcnt(0)
	v_mad_u64_u32 v[6:7], null, v7, s9, v[6:7]
	global_store_dword v[15:16], v6, off offset:64
.LBB499_13:
	s_or_b32 exec_lo, exec_lo, s8
	v_add_co_u32 v6, s2, v1, 16
	v_add_co_ci_u32_e64 v7, null, 0, v2, s2
	v_cmp_gt_i64_e64 s2, s[22:23], v[6:7]
	s_and_b32 exec_lo, exec_lo, s2
	s_cbranch_execz .LBB499_18
; %bb.14:
	s_lshl_b64 s[12:13], s[14:15], 6
	v_add_co_u32 v6, s2, v11, s12
	v_add_co_ci_u32_e64 v7, null, s13, v12, s2
	s_lshl_b64 s[12:13], s[24:25], 6
	v_add_co_u32 v11, s2, v13, s12
	v_add_co_ci_u32_e64 v12, null, s13, v14, s2
	v_add_co_u32 v6, s2, v6, v4
	v_add_co_ci_u32_e64 v7, null, v7, v5, s2
	;; [unrolled: 2-line block ×3, first 2 shown]
	s_and_saveexec_b32 s2, vcc_lo
	s_cbranch_execz .LBB499_16
; %bb.15:
	global_load_dword v12, v[6:7], off
	v_mul_lo_u32 v11, v8, s4
	s_waitcnt vmcnt(0)
	v_mad_u64_u32 v[11:12], null, v12, s9, v[11:12]
	global_store_dword v[4:5], v11, off
.LBB499_16:
	s_or_b32 exec_lo, exec_lo, s2
	s_and_b32 exec_lo, exec_lo, s1
	s_cbranch_execz .LBB499_18
; %bb.17:
	global_load_dword v7, v[6:7], off offset:64
	v_mul_lo_u32 v6, v3, s4
	s_waitcnt vmcnt(0)
	v_mad_u64_u32 v[6:7], null, v7, s9, v[6:7]
	global_store_dword v[4:5], v6, off offset:64
.LBB499_18:
	s_or_b32 exec_lo, exec_lo, s10
	s_cbranch_execz .LBB499_21
.LBB499_19:
	s_endpgm
.LBB499_20:
.LBB499_21:
	s_and_saveexec_b32 s1, s0
	s_cbranch_execz .LBB499_19
; %bb.22:
	v_mul_lo_u32 v6, v2, s24
	v_mul_lo_u32 v7, v1, s25
	v_mad_u64_u32 v[4:5], null, v1, s24, 0
	v_add3_u32 v5, v5, v7, v6
	v_add_co_u32 v6, s0, s6, v0
	v_add_co_ci_u32_e64 v7, null, s7, 0, s0
	v_lshlrev_b64 v[11:12], 2, v[4:5]
	v_cmp_gt_i64_e32 vcc_lo, s[20:21], v[6:7]
	v_lshlrev_b64 v[4:5], 2, v[6:7]
	v_add_co_u32 v0, s0, s3, v11
	v_add_co_ci_u32_e64 v11, null, s5, v12, s0
	s_and_saveexec_b32 s1, vcc_lo
	s_cbranch_execz .LBB499_24
; %bb.23:
	v_mul_lo_u32 v10, v10, s4
	v_add_co_u32 v12, s0, v0, v4
	v_add_co_ci_u32_e64 v13, null, v11, v5, s0
	global_store_dword v[12:13], v10, off
.LBB499_24:
	s_or_b32 exec_lo, exec_lo, s1
	v_add_co_u32 v6, s0, v6, 16
	v_add_co_ci_u32_e64 v7, null, 0, v7, s0
	v_cmp_gt_i64_e64 s0, s[20:21], v[6:7]
	s_and_saveexec_b32 s2, s0
	s_cbranch_execz .LBB499_26
; %bb.25:
	v_mul_lo_u32 v9, v9, s4
	v_add_co_u32 v6, s1, v0, v4
	v_add_co_ci_u32_e64 v7, null, v11, v5, s1
	global_store_dword v[6:7], v9, off offset:64
.LBB499_26:
	s_or_b32 exec_lo, exec_lo, s2
	v_add_co_u32 v1, s1, v1, 16
	v_add_co_ci_u32_e64 v2, null, 0, v2, s1
	v_cmp_gt_i64_e64 s1, s[22:23], v[1:2]
	s_and_b32 exec_lo, exec_lo, s1
	s_cbranch_execz .LBB499_19
; %bb.27:
	s_lshl_b64 s[2:3], s[24:25], 6
	v_add_co_u32 v0, s1, v0, s2
	v_add_co_ci_u32_e64 v1, null, s3, v11, s1
	v_add_co_u32 v0, s1, v0, v4
	v_add_co_ci_u32_e64 v1, null, v1, v5, s1
	s_and_saveexec_b32 s1, vcc_lo
	s_cbranch_execz .LBB499_29
; %bb.28:
	v_mul_lo_u32 v2, v8, s4
	global_store_dword v[0:1], v2, off
.LBB499_29:
	s_or_b32 exec_lo, exec_lo, s1
	s_and_b32 exec_lo, exec_lo, s0
	s_cbranch_execz .LBB499_19
; %bb.30:
	v_mul_lo_u32 v2, v3, s4
	global_store_dword v[0:1], v2, off offset:64
	s_endpgm
	.section	.rodata,"a",@progbits
	.p2align	6, 0x0
	.amdhsa_kernel _ZN12_GLOBAL__N_135rocblas_gemm_batched_general_kernelIiLi16ELi16ELi32ELi32ELi8ELi32ELi8ELi8ELi32ELc84ELc67EKaKiiEEvlllT_PT11_llS5_llS3_PT12_llPT13_lli
		.amdhsa_group_segment_fixed_size 2048
		.amdhsa_private_segment_fixed_size 0
		.amdhsa_kernarg_size 140
		.amdhsa_user_sgpr_count 6
		.amdhsa_user_sgpr_private_segment_buffer 1
		.amdhsa_user_sgpr_dispatch_ptr 0
		.amdhsa_user_sgpr_queue_ptr 0
		.amdhsa_user_sgpr_kernarg_segment_ptr 1
		.amdhsa_user_sgpr_dispatch_id 0
		.amdhsa_user_sgpr_flat_scratch_init 0
		.amdhsa_user_sgpr_private_segment_size 0
		.amdhsa_wavefront_size32 1
		.amdhsa_uses_dynamic_stack 0
		.amdhsa_system_sgpr_private_segment_wavefront_offset 0
		.amdhsa_system_sgpr_workgroup_id_x 1
		.amdhsa_system_sgpr_workgroup_id_y 1
		.amdhsa_system_sgpr_workgroup_id_z 1
		.amdhsa_system_sgpr_workgroup_info 0
		.amdhsa_system_vgpr_workitem_id 1
		.amdhsa_next_free_vgpr 45
		.amdhsa_next_free_sgpr 28
		.amdhsa_reserve_vcc 1
		.amdhsa_reserve_flat_scratch 0
		.amdhsa_float_round_mode_32 0
		.amdhsa_float_round_mode_16_64 0
		.amdhsa_float_denorm_mode_32 3
		.amdhsa_float_denorm_mode_16_64 3
		.amdhsa_dx10_clamp 1
		.amdhsa_ieee_mode 1
		.amdhsa_fp16_overflow 0
		.amdhsa_workgroup_processor_mode 1
		.amdhsa_memory_ordered 1
		.amdhsa_forward_progress 1
		.amdhsa_shared_vgpr_count 0
		.amdhsa_exception_fp_ieee_invalid_op 0
		.amdhsa_exception_fp_denorm_src 0
		.amdhsa_exception_fp_ieee_div_zero 0
		.amdhsa_exception_fp_ieee_overflow 0
		.amdhsa_exception_fp_ieee_underflow 0
		.amdhsa_exception_fp_ieee_inexact 0
		.amdhsa_exception_int_div_zero 0
	.end_amdhsa_kernel
	.section	.text._ZN12_GLOBAL__N_135rocblas_gemm_batched_general_kernelIiLi16ELi16ELi32ELi32ELi8ELi32ELi8ELi8ELi32ELc84ELc67EKaKiiEEvlllT_PT11_llS5_llS3_PT12_llPT13_lli,"axG",@progbits,_ZN12_GLOBAL__N_135rocblas_gemm_batched_general_kernelIiLi16ELi16ELi32ELi32ELi8ELi32ELi8ELi8ELi32ELc84ELc67EKaKiiEEvlllT_PT11_llS5_llS3_PT12_llPT13_lli,comdat
.Lfunc_end499:
	.size	_ZN12_GLOBAL__N_135rocblas_gemm_batched_general_kernelIiLi16ELi16ELi32ELi32ELi8ELi32ELi8ELi8ELi32ELc84ELc67EKaKiiEEvlllT_PT11_llS5_llS3_PT12_llPT13_lli, .Lfunc_end499-_ZN12_GLOBAL__N_135rocblas_gemm_batched_general_kernelIiLi16ELi16ELi32ELi32ELi8ELi32ELi8ELi8ELi32ELc84ELc67EKaKiiEEvlllT_PT11_llS5_llS3_PT12_llPT13_lli
                                        ; -- End function
	.set _ZN12_GLOBAL__N_135rocblas_gemm_batched_general_kernelIiLi16ELi16ELi32ELi32ELi8ELi32ELi8ELi8ELi32ELc84ELc67EKaKiiEEvlllT_PT11_llS5_llS3_PT12_llPT13_lli.num_vgpr, 45
	.set _ZN12_GLOBAL__N_135rocblas_gemm_batched_general_kernelIiLi16ELi16ELi32ELi32ELi8ELi32ELi8ELi8ELi32ELc84ELc67EKaKiiEEvlllT_PT11_llS5_llS3_PT12_llPT13_lli.num_agpr, 0
	.set _ZN12_GLOBAL__N_135rocblas_gemm_batched_general_kernelIiLi16ELi16ELi32ELi32ELi8ELi32ELi8ELi8ELi32ELc84ELc67EKaKiiEEvlllT_PT11_llS5_llS3_PT12_llPT13_lli.numbered_sgpr, 28
	.set _ZN12_GLOBAL__N_135rocblas_gemm_batched_general_kernelIiLi16ELi16ELi32ELi32ELi8ELi32ELi8ELi8ELi32ELc84ELc67EKaKiiEEvlllT_PT11_llS5_llS3_PT12_llPT13_lli.num_named_barrier, 0
	.set _ZN12_GLOBAL__N_135rocblas_gemm_batched_general_kernelIiLi16ELi16ELi32ELi32ELi8ELi32ELi8ELi8ELi32ELc84ELc67EKaKiiEEvlllT_PT11_llS5_llS3_PT12_llPT13_lli.private_seg_size, 0
	.set _ZN12_GLOBAL__N_135rocblas_gemm_batched_general_kernelIiLi16ELi16ELi32ELi32ELi8ELi32ELi8ELi8ELi32ELc84ELc67EKaKiiEEvlllT_PT11_llS5_llS3_PT12_llPT13_lli.uses_vcc, 1
	.set _ZN12_GLOBAL__N_135rocblas_gemm_batched_general_kernelIiLi16ELi16ELi32ELi32ELi8ELi32ELi8ELi8ELi32ELc84ELc67EKaKiiEEvlllT_PT11_llS5_llS3_PT12_llPT13_lli.uses_flat_scratch, 0
	.set _ZN12_GLOBAL__N_135rocblas_gemm_batched_general_kernelIiLi16ELi16ELi32ELi32ELi8ELi32ELi8ELi8ELi32ELc84ELc67EKaKiiEEvlllT_PT11_llS5_llS3_PT12_llPT13_lli.has_dyn_sized_stack, 0
	.set _ZN12_GLOBAL__N_135rocblas_gemm_batched_general_kernelIiLi16ELi16ELi32ELi32ELi8ELi32ELi8ELi8ELi32ELc84ELc67EKaKiiEEvlllT_PT11_llS5_llS3_PT12_llPT13_lli.has_recursion, 0
	.set _ZN12_GLOBAL__N_135rocblas_gemm_batched_general_kernelIiLi16ELi16ELi32ELi32ELi8ELi32ELi8ELi8ELi32ELc84ELc67EKaKiiEEvlllT_PT11_llS5_llS3_PT12_llPT13_lli.has_indirect_call, 0
	.section	.AMDGPU.csdata,"",@progbits
; Kernel info:
; codeLenInByte = 2116
; TotalNumSgprs: 30
; NumVgprs: 45
; ScratchSize: 0
; MemoryBound: 0
; FloatMode: 240
; IeeeMode: 1
; LDSByteSize: 2048 bytes/workgroup (compile time only)
; SGPRBlocks: 0
; VGPRBlocks: 5
; NumSGPRsForWavesPerEU: 30
; NumVGPRsForWavesPerEU: 45
; Occupancy: 16
; WaveLimiterHint : 0
; COMPUTE_PGM_RSRC2:SCRATCH_EN: 0
; COMPUTE_PGM_RSRC2:USER_SGPR: 6
; COMPUTE_PGM_RSRC2:TRAP_HANDLER: 0
; COMPUTE_PGM_RSRC2:TGID_X_EN: 1
; COMPUTE_PGM_RSRC2:TGID_Y_EN: 1
; COMPUTE_PGM_RSRC2:TGID_Z_EN: 1
; COMPUTE_PGM_RSRC2:TIDIG_COMP_CNT: 1
	.section	.text._ZN12_GLOBAL__N_120gemm_ex_scale_kernelILi32ELi32E19rocblas_complex_numIfEPKS2_PS2_EEviiT1_T2_lllT3_llli,"axG",@progbits,_ZN12_GLOBAL__N_120gemm_ex_scale_kernelILi32ELi32E19rocblas_complex_numIfEPKS2_PS2_EEviiT1_T2_lllT3_llli,comdat
	.globl	_ZN12_GLOBAL__N_120gemm_ex_scale_kernelILi32ELi32E19rocblas_complex_numIfEPKS2_PS2_EEviiT1_T2_lllT3_llli ; -- Begin function _ZN12_GLOBAL__N_120gemm_ex_scale_kernelILi32ELi32E19rocblas_complex_numIfEPKS2_PS2_EEviiT1_T2_lllT3_llli
	.p2align	8
	.type	_ZN12_GLOBAL__N_120gemm_ex_scale_kernelILi32ELi32E19rocblas_complex_numIfEPKS2_PS2_EEviiT1_T2_lllT3_llli,@function
_ZN12_GLOBAL__N_120gemm_ex_scale_kernelILi32ELi32E19rocblas_complex_numIfEPKS2_PS2_EEviiT1_T2_lllT3_llli: ; @_ZN12_GLOBAL__N_120gemm_ex_scale_kernelILi32ELi32E19rocblas_complex_numIfEPKS2_PS2_EEviiT1_T2_lllT3_llli
; %bb.0:
	s_load_dwordx4 s[0:3], s[4:5], 0x0
	v_lshl_add_u32 v0, s6, 5, v0
	v_lshl_add_u32 v5, s7, 5, v1
	s_waitcnt lgkmcnt(0)
	v_cmp_gt_u32_e32 vcc_lo, s0, v0
	v_cmp_gt_u32_e64 s0, s1, v5
	s_and_b32 s0, vcc_lo, s0
	s_and_saveexec_b32 s1, s0
	s_cbranch_execz .LBB500_6
; %bb.1:
	s_or_b32 s0, s2, s3
	v_mov_b32_e32 v1, 0
	s_bitset0_b32 s0, 31
	s_cmp_lg_u32 s0, 0
	s_mov_b32 s0, 0
	s_cbranch_scc1 .LBB500_3
; %bb.2:
	v_mov_b32_e32 v3, 0
	v_mov_b32_e32 v2, v0
	s_load_dwordx16 s[12:27], s[4:5], 0x10
	v_mov_b32_e32 v4, 0
	s_andn2_b32 vcc_lo, exec_lo, s0
	s_cbranch_vccz .LBB500_4
	s_branch .LBB500_5
.LBB500_3:
	v_mov_b32_e32 v3, v1
	v_mov_b32_e32 v2, v0
	s_load_dwordx16 s[12:27], s[4:5], 0x10
	v_mov_b32_e32 v4, 0
.LBB500_4:
	s_waitcnt lgkmcnt(0)
	v_mad_u64_u32 v[6:7], null, s16, v5, 0
	s_mul_i32 s1, s19, s8
	s_mul_hi_u32 s4, s18, s8
	s_mul_i32 s0, s18, s8
	s_add_i32 s1, s4, s1
	v_lshlrev_b64 v[0:1], 3, v[0:1]
	s_lshl_b64 s[0:1], s[0:1], 3
	v_mov_b32_e32 v4, v7
	s_add_u32 s4, s12, s0
	s_addc_u32 s5, s13, s1
	s_lshl_b64 s[0:1], s[14:15], 3
	s_add_u32 s0, s4, s0
	v_mad_u64_u32 v[7:8], null, s17, v5, v[4:5]
	s_addc_u32 s1, s5, s1
	v_lshlrev_b64 v[6:7], 3, v[6:7]
	v_add_co_u32 v4, vcc_lo, s0, v6
	v_add_co_ci_u32_e64 v6, null, s1, v7, vcc_lo
	v_add_co_u32 v0, vcc_lo, v4, v0
	v_add_co_ci_u32_e64 v1, null, v6, v1, vcc_lo
	global_load_dwordx2 v[0:1], v[0:1], off
	s_waitcnt vmcnt(0)
	v_mul_f32_e32 v4, s3, v1
	v_mul_f32_e32 v1, s2, v1
	v_fma_f32 v4, v0, s2, -v4
	v_fmac_f32_e32 v1, s3, v0
.LBB500_5:
	s_waitcnt lgkmcnt(0)
	v_mad_u64_u32 v[6:7], null, s24, v5, 0
	s_mul_i32 s1, s27, s8
	s_mul_hi_u32 s2, s26, s8
	s_mul_i32 s0, s26, s8
	s_add_i32 s1, s2, s1
	v_lshlrev_b64 v[2:3], 3, v[2:3]
	s_lshl_b64 s[0:1], s[0:1], 3
	v_mov_b32_e32 v0, v7
	s_add_u32 s2, s20, s0
	s_addc_u32 s3, s21, s1
	s_lshl_b64 s[0:1], s[22:23], 3
	s_add_u32 s0, s2, s0
	v_mad_u64_u32 v[7:8], null, s25, v5, v[0:1]
	s_addc_u32 s1, s3, s1
	v_lshlrev_b64 v[5:6], 3, v[6:7]
	v_add_co_u32 v0, vcc_lo, s0, v5
	v_add_co_ci_u32_e64 v5, null, s1, v6, vcc_lo
	v_add_co_u32 v2, vcc_lo, v0, v2
	v_add_co_ci_u32_e64 v3, null, v5, v3, vcc_lo
	v_mov_b32_e32 v5, v1
	global_store_dwordx2 v[2:3], v[4:5], off
.LBB500_6:
	s_endpgm
	.section	.rodata,"a",@progbits
	.p2align	6, 0x0
	.amdhsa_kernel _ZN12_GLOBAL__N_120gemm_ex_scale_kernelILi32ELi32E19rocblas_complex_numIfEPKS2_PS2_EEviiT1_T2_lllT3_llli
		.amdhsa_group_segment_fixed_size 0
		.amdhsa_private_segment_fixed_size 0
		.amdhsa_kernarg_size 84
		.amdhsa_user_sgpr_count 6
		.amdhsa_user_sgpr_private_segment_buffer 1
		.amdhsa_user_sgpr_dispatch_ptr 0
		.amdhsa_user_sgpr_queue_ptr 0
		.amdhsa_user_sgpr_kernarg_segment_ptr 1
		.amdhsa_user_sgpr_dispatch_id 0
		.amdhsa_user_sgpr_flat_scratch_init 0
		.amdhsa_user_sgpr_private_segment_size 0
		.amdhsa_wavefront_size32 1
		.amdhsa_uses_dynamic_stack 0
		.amdhsa_system_sgpr_private_segment_wavefront_offset 0
		.amdhsa_system_sgpr_workgroup_id_x 1
		.amdhsa_system_sgpr_workgroup_id_y 1
		.amdhsa_system_sgpr_workgroup_id_z 1
		.amdhsa_system_sgpr_workgroup_info 0
		.amdhsa_system_vgpr_workitem_id 1
		.amdhsa_next_free_vgpr 9
		.amdhsa_next_free_sgpr 28
		.amdhsa_reserve_vcc 1
		.amdhsa_reserve_flat_scratch 0
		.amdhsa_float_round_mode_32 0
		.amdhsa_float_round_mode_16_64 0
		.amdhsa_float_denorm_mode_32 3
		.amdhsa_float_denorm_mode_16_64 3
		.amdhsa_dx10_clamp 1
		.amdhsa_ieee_mode 1
		.amdhsa_fp16_overflow 0
		.amdhsa_workgroup_processor_mode 1
		.amdhsa_memory_ordered 1
		.amdhsa_forward_progress 1
		.amdhsa_shared_vgpr_count 0
		.amdhsa_exception_fp_ieee_invalid_op 0
		.amdhsa_exception_fp_denorm_src 0
		.amdhsa_exception_fp_ieee_div_zero 0
		.amdhsa_exception_fp_ieee_overflow 0
		.amdhsa_exception_fp_ieee_underflow 0
		.amdhsa_exception_fp_ieee_inexact 0
		.amdhsa_exception_int_div_zero 0
	.end_amdhsa_kernel
	.section	.text._ZN12_GLOBAL__N_120gemm_ex_scale_kernelILi32ELi32E19rocblas_complex_numIfEPKS2_PS2_EEviiT1_T2_lllT3_llli,"axG",@progbits,_ZN12_GLOBAL__N_120gemm_ex_scale_kernelILi32ELi32E19rocblas_complex_numIfEPKS2_PS2_EEviiT1_T2_lllT3_llli,comdat
.Lfunc_end500:
	.size	_ZN12_GLOBAL__N_120gemm_ex_scale_kernelILi32ELi32E19rocblas_complex_numIfEPKS2_PS2_EEviiT1_T2_lllT3_llli, .Lfunc_end500-_ZN12_GLOBAL__N_120gemm_ex_scale_kernelILi32ELi32E19rocblas_complex_numIfEPKS2_PS2_EEviiT1_T2_lllT3_llli
                                        ; -- End function
	.set _ZN12_GLOBAL__N_120gemm_ex_scale_kernelILi32ELi32E19rocblas_complex_numIfEPKS2_PS2_EEviiT1_T2_lllT3_llli.num_vgpr, 9
	.set _ZN12_GLOBAL__N_120gemm_ex_scale_kernelILi32ELi32E19rocblas_complex_numIfEPKS2_PS2_EEviiT1_T2_lllT3_llli.num_agpr, 0
	.set _ZN12_GLOBAL__N_120gemm_ex_scale_kernelILi32ELi32E19rocblas_complex_numIfEPKS2_PS2_EEviiT1_T2_lllT3_llli.numbered_sgpr, 28
	.set _ZN12_GLOBAL__N_120gemm_ex_scale_kernelILi32ELi32E19rocblas_complex_numIfEPKS2_PS2_EEviiT1_T2_lllT3_llli.num_named_barrier, 0
	.set _ZN12_GLOBAL__N_120gemm_ex_scale_kernelILi32ELi32E19rocblas_complex_numIfEPKS2_PS2_EEviiT1_T2_lllT3_llli.private_seg_size, 0
	.set _ZN12_GLOBAL__N_120gemm_ex_scale_kernelILi32ELi32E19rocblas_complex_numIfEPKS2_PS2_EEviiT1_T2_lllT3_llli.uses_vcc, 1
	.set _ZN12_GLOBAL__N_120gemm_ex_scale_kernelILi32ELi32E19rocblas_complex_numIfEPKS2_PS2_EEviiT1_T2_lllT3_llli.uses_flat_scratch, 0
	.set _ZN12_GLOBAL__N_120gemm_ex_scale_kernelILi32ELi32E19rocblas_complex_numIfEPKS2_PS2_EEviiT1_T2_lllT3_llli.has_dyn_sized_stack, 0
	.set _ZN12_GLOBAL__N_120gemm_ex_scale_kernelILi32ELi32E19rocblas_complex_numIfEPKS2_PS2_EEviiT1_T2_lllT3_llli.has_recursion, 0
	.set _ZN12_GLOBAL__N_120gemm_ex_scale_kernelILi32ELi32E19rocblas_complex_numIfEPKS2_PS2_EEviiT1_T2_lllT3_llli.has_indirect_call, 0
	.section	.AMDGPU.csdata,"",@progbits
; Kernel info:
; codeLenInByte = 400
; TotalNumSgprs: 30
; NumVgprs: 9
; ScratchSize: 0
; MemoryBound: 0
; FloatMode: 240
; IeeeMode: 1
; LDSByteSize: 0 bytes/workgroup (compile time only)
; SGPRBlocks: 0
; VGPRBlocks: 1
; NumSGPRsForWavesPerEU: 30
; NumVGPRsForWavesPerEU: 9
; Occupancy: 16
; WaveLimiterHint : 0
; COMPUTE_PGM_RSRC2:SCRATCH_EN: 0
; COMPUTE_PGM_RSRC2:USER_SGPR: 6
; COMPUTE_PGM_RSRC2:TRAP_HANDLER: 0
; COMPUTE_PGM_RSRC2:TGID_X_EN: 1
; COMPUTE_PGM_RSRC2:TGID_Y_EN: 1
; COMPUTE_PGM_RSRC2:TGID_Z_EN: 1
; COMPUTE_PGM_RSRC2:TIDIG_COMP_CNT: 1
	.section	.text._ZN12_GLOBAL__N_127rocblas_gemm_batched_kernelI19rocblas_complex_numIfELi16ELi16ELi64ELi64ELi4ELi64ELi4ELi4ELi64ELc78ELc78EKS2_S3_S2_EEvlllT_PT11_llS6_llS4_PT12_llPT13_lli,"axG",@progbits,_ZN12_GLOBAL__N_127rocblas_gemm_batched_kernelI19rocblas_complex_numIfELi16ELi16ELi64ELi64ELi4ELi64ELi4ELi4ELi64ELc78ELc78EKS2_S3_S2_EEvlllT_PT11_llS6_llS4_PT12_llPT13_lli,comdat
	.globl	_ZN12_GLOBAL__N_127rocblas_gemm_batched_kernelI19rocblas_complex_numIfELi16ELi16ELi64ELi64ELi4ELi64ELi4ELi4ELi64ELc78ELc78EKS2_S3_S2_EEvlllT_PT11_llS6_llS4_PT12_llPT13_lli ; -- Begin function _ZN12_GLOBAL__N_127rocblas_gemm_batched_kernelI19rocblas_complex_numIfELi16ELi16ELi64ELi64ELi4ELi64ELi4ELi4ELi64ELc78ELc78EKS2_S3_S2_EEvlllT_PT11_llS6_llS4_PT12_llPT13_lli
	.p2align	8
	.type	_ZN12_GLOBAL__N_127rocblas_gemm_batched_kernelI19rocblas_complex_numIfELi16ELi16ELi64ELi64ELi4ELi64ELi4ELi4ELi64ELc78ELc78EKS2_S3_S2_EEvlllT_PT11_llS6_llS4_PT12_llPT13_lli,@function
_ZN12_GLOBAL__N_127rocblas_gemm_batched_kernelI19rocblas_complex_numIfELi16ELi16ELi64ELi64ELi4ELi64ELi4ELi4ELi64ELc78ELc78EKS2_S3_S2_EEvlllT_PT11_llS6_llS4_PT12_llPT13_lli: ; @_ZN12_GLOBAL__N_127rocblas_gemm_batched_kernelI19rocblas_complex_numIfELi16ELi16ELi64ELi64ELi4ELi64ELi4ELi4ELi64ELc78ELc78EKS2_S3_S2_EEvlllT_PT11_llS6_llS4_PT12_llPT13_lli
; %bb.0:
	s_clause 0x1
	s_load_dwordx16 s[12:27], s[4:5], 0x10
	s_load_dwordx2 s[10:11], s[4:5], 0x50
	s_mov_b32 s0, s7
	v_mov_b32_e32 v40, 0
	v_mov_b32_e32 v41, 0
	;; [unrolled: 1-line block ×17, first 2 shown]
	s_waitcnt lgkmcnt(0)
	v_cmp_lt_i64_e64 s2, s[12:13], 1
	v_mov_b32_e32 v25, 0
	v_mov_b32_e32 v22, 0
	;; [unrolled: 1-line block ×15, first 2 shown]
	s_ashr_i32 s7, s6, 31
	s_ashr_i32 s1, s0, 31
	s_lshl_b64 s[28:29], s[6:7], 6
	s_and_b32 vcc_lo, exec_lo, s2
	s_lshl_b64 s[30:31], s[0:1], 6
	s_cbranch_vccnz .LBB501_3
; %bb.1:
	v_lshl_add_u32 v2, v1, 4, v0
	v_and_b32_e32 v3, 3, v0
	s_mul_hi_u32 s1, s20, s8
	v_mov_b32_e32 v10, 0
	v_lshlrev_b32_e32 v42, 3, v0
	v_lshrrev_b32_e32 v4, 2, v2
	v_lshlrev_b32_e32 v9, 3, v3
	v_and_b32_e32 v8, 63, v2
	v_lshrrev_b32_e32 v6, 6, v2
	v_lshl_add_u32 v45, v1, 5, 0x800
	v_mov_b32_e32 v13, 0
	v_lshl_or_b32 v3, v4, 5, v9
	v_add_co_u32 v4, s0, v4, s30
	v_lshlrev_b32_e32 v2, 3, v8
	v_add_co_ci_u32_e64 v5, null, 0, s31, s0
	v_add_nc_u32_e32 v44, 0x800, v3
	v_mul_lo_u32 v11, s25, v4
	v_lshl_or_b32 v43, v6, 9, v2
	v_mad_u64_u32 v[2:3], null, s18, v6, s[28:29]
	v_mul_lo_u32 v12, s24, v5
	v_mad_u64_u32 v[4:5], null, s24, v4, 0
	s_mul_i32 s0, s21, s8
	v_mov_b32_e32 v15, 0
	s_add_i32 s1, s1, s0
	s_mul_i32 s0, s20, s8
	v_mov_b32_e32 v14, 0
	s_lshl_b64 s[0:1], s[0:1], 3
	v_mad_u64_u32 v[6:7], null, s19, v6, v[3:4]
	v_add3_u32 v5, v5, v12, v11
	s_add_u32 s2, s16, s0
	s_addc_u32 s3, s17, s1
	s_mul_i32 s0, s27, s8
	s_mul_hi_u32 s1, s26, s8
	v_lshlrev_b64 v[3:4], 3, v[4:5]
	v_add_co_u32 v5, vcc_lo, v2, v8
	s_add_i32 s1, s1, s0
	s_mul_i32 s0, s26, s8
	v_add_co_ci_u32_e64 v6, null, 0, v6, vcc_lo
	s_lshl_b64 s[0:1], s[0:1], 3
	v_mov_b32_e32 v11, 0
	v_add_co_u32 v7, vcc_lo, v3, s0
	v_add_co_ci_u32_e64 v4, null, s1, v4, vcc_lo
	v_lshlrev_b64 v[2:3], 3, v[5:6]
	v_add_co_u32 v5, vcc_lo, v7, v9
	v_add_co_ci_u32_e64 v6, null, 0, v4, vcc_lo
	v_mov_b32_e32 v12, 0
	v_add_co_u32 v2, vcc_lo, s2, v2
	v_add_co_ci_u32_e64 v3, null, s3, v3, vcc_lo
	v_add_co_u32 v4, vcc_lo, s22, v5
	v_add_co_ci_u32_e64 v5, null, s23, v6, vcc_lo
	v_mov_b32_e32 v17, 0
	v_mov_b32_e32 v16, 0
	;; [unrolled: 1-line block ×26, first 2 shown]
	s_lshl_b64 s[0:1], s[18:19], 5
	s_mov_b64 s[2:3], 0
.LBB501_2:                              ; =>This Inner Loop Header: Depth=1
	global_load_dwordx2 v[6:7], v[2:3], off
	global_load_dwordx2 v[8:9], v[4:5], off
	s_add_u32 s2, s2, 4
	s_addc_u32 s3, s3, 0
	v_add_co_u32 v2, vcc_lo, v2, s0
	v_cmp_lt_i64_e64 s6, s[2:3], s[12:13]
	v_add_co_ci_u32_e64 v3, null, s1, v3, vcc_lo
	v_add_co_u32 v4, vcc_lo, v4, 32
	v_add_co_ci_u32_e64 v5, null, 0, v5, vcc_lo
	s_and_b32 vcc_lo, exec_lo, s6
	s_waitcnt vmcnt(1)
	ds_write_b64 v43, v[6:7]
	s_waitcnt vmcnt(0)
	ds_write_b64 v44, v[8:9]
	s_waitcnt lgkmcnt(0)
	s_barrier
	buffer_gl0_inv
	ds_read_b128 v[6:9], v45
	ds_read2_b64 v[46:49], v42 offset1:16
	ds_read_b128 v[50:53], v45 offset:512
	ds_read_b128 v[54:57], v45 offset:16
	;; [unrolled: 1-line block ×7, first 2 shown]
	ds_read2_b64 v[78:81], v42 offset0:32 offset1:48
	ds_read2_b64 v[82:85], v42 offset0:64 offset1:80
	;; [unrolled: 1-line block ×7, first 2 shown]
	s_waitcnt lgkmcnt(0)
	s_barrier
	buffer_gl0_inv
	v_mul_f32_e32 v106, v7, v47
	v_mul_f32_e32 v107, v6, v47
	;; [unrolled: 1-line block ×64, first 2 shown]
	v_fma_f32 v106, v6, v46, -v106
	v_fmac_f32_e32 v107, v7, v46
	v_fma_f32 v108, v6, v48, -v108
	v_fmac_f32_e32 v109, v7, v48
	;; [unrolled: 2-line block ×16, first 2 shown]
	v_mul_f32_e32 v162, v55, v91
	v_mul_f32_e32 v163, v54, v91
	;; [unrolled: 1-line block ×28, first 2 shown]
	v_fma_f32 v124, v8, v82, -v134
	v_fmac_f32_e32 v135, v9, v82
	v_fma_f32 v126, v8, v84, -v136
	v_fmac_f32_e32 v137, v9, v84
	;; [unrolled: 2-line block ×4, first 2 shown]
	v_mul_f32_e32 v9, v75, v95
	v_mul_f32_e32 v95, v74, v95
	;; [unrolled: 1-line block ×4, first 2 shown]
	v_fma_f32 v132, v52, v82, -v142
	v_fmac_f32_e32 v143, v53, v82
	v_fma_f32 v133, v52, v84, -v144
	v_fmac_f32_e32 v145, v53, v84
	;; [unrolled: 2-line block ×4, first 2 shown]
	v_mul_f32_e32 v136, v56, v99
	v_mul_f32_e32 v140, v56, v101
	v_fma_f32 v142, v64, v82, -v150
	v_fmac_f32_e32 v151, v65, v82
	v_fma_f32 v144, v64, v84, -v152
	v_fmac_f32_e32 v153, v65, v84
	;; [unrolled: 2-line block ×4, first 2 shown]
	v_mul_f32_e32 v148, v56, v103
	v_mul_f32_e32 v152, v56, v105
	v_fma_f32 v154, v72, v82, -v158
	v_fmac_f32_e32 v83, v73, v82
	v_fma_f32 v82, v72, v84, -v159
	v_fmac_f32_e32 v85, v73, v84
	;; [unrolled: 2-line block ×4, first 2 shown]
	v_add_f32_e32 v40, v40, v106
	v_add_f32_e32 v41, v41, v107
	;; [unrolled: 1-line block ×32, first 2 shown]
	v_mul_f32_e32 v53, v57, v99
	v_mul_f32_e32 v138, v57, v101
	;; [unrolled: 1-line block ×16, first 2 shown]
	v_fma_f32 v162, v54, v90, -v162
	v_fmac_f32_e32 v163, v55, v90
	v_fma_f32 v164, v54, v92, -v164
	v_fmac_f32_e32 v165, v55, v92
	;; [unrolled: 2-line block ×8, first 2 shown]
	v_mul_f32_e32 v92, v69, v103
	v_mul_f32_e32 v175, v68, v103
	;; [unrolled: 1-line block ×4, first 2 shown]
	v_fma_f32 v176, v54, v94, -v176
	v_fmac_f32_e32 v177, v55, v94
	v_fma_f32 v54, v54, v96, -v178
	v_fmac_f32_e32 v179, v55, v96
	v_fma_f32 v48, v58, v94, -v48
	v_fmac_f32_e32 v119, v59, v94
	v_fma_f32 v55, v58, v96, -v180
	v_fmac_f32_e32 v181, v59, v96
	v_fma_f32 v58, v66, v94, -v71
	v_fmac_f32_e32 v78, v67, v94
	v_fma_f32 v59, v66, v96, -v80
	v_fmac_f32_e32 v122, v67, v96
	v_fma_f32 v9, v74, v94, -v9
	v_fmac_f32_e32 v95, v75, v94
	v_fma_f32 v66, v74, v96, -v130
	v_fmac_f32_e32 v97, v75, v96
	v_mul_f32_e32 v67, v77, v99
	v_mul_f32_e32 v71, v76, v99
	;; [unrolled: 1-line block ×4, first 2 shown]
	v_fmac_f32_e32 v136, v57, v98
	v_fmac_f32_e32 v140, v57, v100
	;; [unrolled: 1-line block ×4, first 2 shown]
	v_mul_f32_e32 v57, v77, v103
	v_mul_f32_e32 v94, v76, v103
	;; [unrolled: 1-line block ×4, first 2 shown]
	v_add_f32_e32 v29, v40, v124
	v_add_f32_e32 v35, v41, v135
	;; [unrolled: 1-line block ×32, first 2 shown]
	v_fma_f32 v53, v56, v98, -v53
	v_fma_f32 v80, v56, v100, -v138
	v_fma_f32 v65, v56, v102, -v65
	v_fma_f32 v56, v56, v104, -v150
	v_fma_f32 v84, v60, v98, -v84
	v_fmac_f32_e32 v156, v61, v98
	v_fma_f32 v101, v60, v100, -v158
	v_fmac_f32_e32 v159, v61, v100
	v_fma_f32 v73, v60, v102, -v73
	;; [unrolled: 2-line block ×11, first 2 shown]
	v_fmac_f32_e32 v99, v77, v104
	v_add_f32_e32 v29, v29, v162
	v_add_f32_e32 v34, v35, v163
	;; [unrolled: 1-line block ×64, first 2 shown]
	s_cbranch_vccnz .LBB501_2
.LBB501_3:
	s_clause 0x1
	s_load_dwordx4 s[16:19], s[4:5], 0x78
	s_load_dwordx8 s[0:7], s[4:5], 0x58
	s_waitcnt lgkmcnt(0)
	s_mul_i32 s9, s19, s8
	s_mul_hi_u32 s13, s18, s8
	s_mul_i32 s12, s18, s8
	s_add_i32 s13, s13, s9
	s_lshl_b64 s[12:13], s[12:13], 3
	s_add_u32 s9, s6, s12
	s_addc_u32 s12, s7, s13
	v_add_co_u32 v4, s7, s30, v1
	v_add_co_ci_u32_e64 v5, null, s31, 0, s7
	v_add_co_u32 v0, s7, s28, v0
	s_or_b32 s6, s10, s11
	v_add_co_ci_u32_e64 v1, null, s29, 0, s7
	s_bitset0_b32 s6, 31
	s_mov_b32 s13, 0
	s_cmp_lg_u32 s6, 0
	s_cbranch_scc1 .LBB501_5
; %bb.4:
	v_mul_lo_u32 v6, v5, s16
	v_mul_lo_u32 v8, v4, s17
	v_mad_u64_u32 v[2:3], null, v4, s16, 0
	v_mul_f32_e32 v42, s15, v41
	v_mul_f32_e32 v7, s14, v41
	;; [unrolled: 1-line block ×6, first 2 shown]
	v_add3_u32 v3, v3, v8, v6
	v_lshlrev_b64 v[8:9], 3, v[0:1]
	v_mul_f32_e32 v48, s15, v35
	v_mul_f32_e32 v47, s14, v35
	v_fma_f32 v6, v40, s14, -v42
	v_lshlrev_b64 v[2:3], 3, v[2:3]
	v_fmac_f32_e32 v7, s15, v40
	v_fma_f32 v42, v38, s14, -v44
	v_fmac_f32_e32 v43, s15, v38
	s_lshl_b64 s[6:7], s[16:17], 7
	v_fma_f32 v44, v36, s14, -v46
	v_add_co_u32 v49, vcc_lo, s9, v2
	v_add_co_ci_u32_e64 v50, null, s12, v3, vcc_lo
	v_fmac_f32_e32 v45, s15, v36
	v_add_co_u32 v2, vcc_lo, v49, v8
	v_add_co_ci_u32_e64 v3, null, v50, v9, vcc_lo
	v_fma_f32 v46, v34, s14, -v48
	v_fmac_f32_e32 v47, s15, v34
	v_add_co_u32 v48, vcc_lo, v49, s6
	global_store_dwordx2 v[2:3], v[6:7], off
	global_store_dwordx2 v[2:3], v[42:43], off offset:128
	global_store_dwordx2 v[2:3], v[44:45], off offset:256
	;; [unrolled: 1-line block ×3, first 2 shown]
	v_mul_f32_e32 v2, s15, v33
	v_mul_f32_e32 v3, s14, v33
	v_add_co_ci_u32_e64 v49, null, s7, v50, vcc_lo
	v_mul_f32_e32 v6, s15, v31
	v_mul_f32_e32 v7, s14, v31
	;; [unrolled: 1-line block ×4, first 2 shown]
	v_add_co_u32 v44, vcc_lo, v48, v8
	v_fma_f32 v2, v32, s14, -v2
	v_fmac_f32_e32 v3, s15, v32
	v_add_co_ci_u32_e64 v45, null, v49, v9, vcc_lo
	v_fma_f32 v6, v30, s14, -v6
	v_fmac_f32_e32 v7, s15, v30
	v_fma_f32 v42, v28, s14, -v42
	v_fmac_f32_e32 v43, s15, v28
	v_add_co_u32 v52, vcc_lo, v48, s6
	v_mul_f32_e32 v46, s15, v27
	v_mul_f32_e32 v47, s14, v27
	global_store_dwordx2 v[44:45], v[2:3], off
	global_store_dwordx2 v[44:45], v[6:7], off offset:128
	global_store_dwordx2 v[44:45], v[42:43], off offset:256
	v_mul_f32_e32 v2, s15, v25
	v_mul_f32_e32 v3, s14, v25
	v_add_co_ci_u32_e64 v53, null, s7, v49, vcc_lo
	v_mul_f32_e32 v42, s15, v23
	v_mul_f32_e32 v43, s14, v23
	v_mul_f32_e32 v48, s15, v21
	v_mul_f32_e32 v49, s14, v21
	v_add_co_u32 v6, vcc_lo, v52, v8
	v_mul_f32_e32 v50, s15, v19
	v_mul_f32_e32 v51, s14, v19
	v_fma_f32 v46, v26, s14, -v46
	v_fmac_f32_e32 v47, s15, v26
	v_fma_f32 v2, v24, s14, -v2
	v_fmac_f32_e32 v3, s15, v24
	v_add_co_ci_u32_e64 v7, null, v53, v9, vcc_lo
	v_fma_f32 v42, v22, s14, -v42
	v_fmac_f32_e32 v43, s15, v22
	v_fma_f32 v48, v20, s14, -v48
	v_fmac_f32_e32 v49, s15, v20
	v_fma_f32 v50, v18, s14, -v50
	v_fmac_f32_e32 v51, s15, v18
	global_store_dwordx2 v[44:45], v[46:47], off offset:384
	global_store_dwordx2 v[6:7], v[2:3], off
	global_store_dwordx2 v[6:7], v[42:43], off offset:128
	global_store_dwordx2 v[6:7], v[48:49], off offset:256
	;; [unrolled: 1-line block ×3, first 2 shown]
	v_mul_f32_e32 v2, s15, v17
	v_add_co_u32 v3, vcc_lo, v52, s6
	v_add_co_ci_u32_e64 v6, null, s7, v53, vcc_lo
	v_fma_f32 v42, v16, s14, -v2
	v_mul_f32_e32 v2, s15, v15
	v_add_co_u32 v7, vcc_lo, v3, v8
	v_mul_f32_e32 v43, s14, v17
	v_add_co_ci_u32_e64 v8, null, v6, v9, vcc_lo
	v_fma_f32 v44, v14, s14, -v2
	v_mul_f32_e32 v2, s15, v13
	v_mul_f32_e32 v3, s15, v10
	v_mul_f32_e32 v6, s14, v10
	v_mul_f32_e32 v45, s14, v15
	v_mul_f32_e32 v47, s14, v13
	v_fma_f32 v46, v12, s14, -v2
	v_add_co_u32 v2, vcc_lo, 0x180, v7
	v_fmac_f32_e32 v43, s15, v16
	v_fma_f32 v9, v11, s14, -v3
	v_fmac_f32_e32 v6, s15, v11
	v_add_co_ci_u32_e64 v3, null, 0, v8, vcc_lo
	v_fmac_f32_e32 v45, s15, v14
	v_fmac_f32_e32 v47, s15, v12
	global_store_dwordx2 v[7:8], v[42:43], off
	global_store_dwordx2 v[7:8], v[44:45], off offset:128
	global_store_dwordx2 v[7:8], v[46:47], off offset:256
	global_store_dword v[7:8], v9, off offset:384
	s_andn2_b32 vcc_lo, exec_lo, s13
	s_cbranch_vccz .LBB501_6
	s_branch .LBB501_7
.LBB501_5:
                                        ; implicit-def: $vgpr6
                                        ; implicit-def: $vgpr2_vgpr3
.LBB501_6:
	v_mul_lo_u32 v6, v5, s2
	v_mul_lo_u32 v7, v4, s3
	v_mad_u64_u32 v[2:3], null, v4, s2, 0
	s_mul_i32 s5, s5, s8
	s_mul_hi_u32 s6, s4, s8
	s_mul_i32 s4, s4, s8
	s_add_i32 s5, s6, s5
	v_lshlrev_b64 v[0:1], 3, v[0:1]
	s_lshl_b64 s[4:5], s[4:5], 3
	v_add3_u32 v3, v3, v7, v6
	s_add_u32 s0, s0, s4
	s_addc_u32 s1, s1, s5
	v_mul_lo_u32 v42, v5, s16
	v_mul_lo_u32 v43, v4, s17
	v_lshlrev_b64 v[2:3], 3, v[2:3]
	v_mad_u64_u32 v[4:5], null, v4, s16, 0
	v_add_co_u32 v8, vcc_lo, s0, v2
	v_add_co_ci_u32_e64 v9, null, s1, v3, vcc_lo
	v_add3_u32 v5, v5, v43, v42
	v_add_co_u32 v2, vcc_lo, v8, v0
	v_add_co_ci_u32_e64 v3, null, v9, v1, vcc_lo
	v_mul_f32_e32 v42, s15, v41
	v_mul_f32_e32 v41, s14, v41
	v_lshlrev_b64 v[4:5], 3, v[4:5]
	global_load_dwordx2 v[6:7], v[2:3], off
	s_lshl_b64 s[0:1], s[2:3], 7
	v_fma_f32 v42, v40, s14, -v42
	v_fmac_f32_e32 v41, s15, v40
	s_lshl_b64 s[2:3], s[16:17], 7
	v_add_co_u32 v43, vcc_lo, s9, v4
	v_add_co_ci_u32_e64 v44, null, s12, v5, vcc_lo
	v_add_co_u32 v4, vcc_lo, v43, v0
	v_add_co_ci_u32_e64 v5, null, v44, v1, vcc_lo
	v_add_co_u32 v8, vcc_lo, v8, s0
	v_add_co_ci_u32_e64 v9, null, s1, v9, vcc_lo
	s_waitcnt vmcnt(0)
	v_mul_f32_e32 v40, s11, v7
	v_mul_f32_e32 v7, s10, v7
	v_fma_f32 v40, v6, s10, -v40
	v_fmac_f32_e32 v7, s11, v6
	v_add_f32_e32 v6, v42, v40
	v_add_f32_e32 v7, v41, v7
	v_mul_f32_e32 v40, s15, v39
	v_mul_f32_e32 v39, s14, v39
	global_store_dwordx2 v[4:5], v[6:7], off
	global_load_dwordx2 v[6:7], v[2:3], off offset:128
	v_fma_f32 v40, v38, s14, -v40
	v_fmac_f32_e32 v39, s15, v38
	s_waitcnt vmcnt(0)
	v_mul_f32_e32 v41, s11, v7
	v_mul_f32_e32 v7, s10, v7
	v_fma_f32 v38, v6, s10, -v41
	v_fmac_f32_e32 v7, s11, v6
	v_add_f32_e32 v6, v40, v38
	v_add_f32_e32 v7, v39, v7
	v_mul_f32_e32 v38, s15, v37
	v_mul_f32_e32 v37, s14, v37
	global_store_dwordx2 v[4:5], v[6:7], off offset:128
	global_load_dwordx2 v[6:7], v[2:3], off offset:256
	v_fma_f32 v38, v36, s14, -v38
	v_fmac_f32_e32 v37, s15, v36
	s_waitcnt vmcnt(0)
	v_mul_f32_e32 v39, s11, v7
	v_mul_f32_e32 v7, s10, v7
	v_fma_f32 v36, v6, s10, -v39
	v_fmac_f32_e32 v7, s11, v6
	v_add_f32_e32 v6, v38, v36
	v_add_f32_e32 v7, v37, v7
	global_store_dwordx2 v[4:5], v[6:7], off offset:256
	global_load_dwordx2 v[2:3], v[2:3], off offset:384
	v_mul_f32_e32 v6, s15, v35
	v_mul_f32_e32 v7, s14, v35
	v_fma_f32 v6, v34, s14, -v6
	v_fmac_f32_e32 v7, s15, v34
	s_waitcnt vmcnt(0)
	v_mul_f32_e32 v35, s11, v3
	v_mul_f32_e32 v3, s10, v3
	v_fma_f32 v34, v2, s10, -v35
	v_fmac_f32_e32 v3, s11, v2
	v_add_f32_e32 v2, v6, v34
	v_add_co_u32 v6, vcc_lo, v8, v0
	v_add_f32_e32 v3, v7, v3
	v_add_co_ci_u32_e64 v7, null, v9, v1, vcc_lo
	v_add_co_u32 v34, vcc_lo, v43, s2
	global_store_dwordx2 v[4:5], v[2:3], off offset:384
	global_load_dwordx2 v[2:3], v[6:7], off
	v_mul_f32_e32 v4, s15, v33
	v_mul_f32_e32 v5, s14, v33
	v_add_co_ci_u32_e64 v35, null, s3, v44, vcc_lo
	v_fma_f32 v4, v32, s14, -v4
	v_fmac_f32_e32 v5, s15, v32
	s_waitcnt vmcnt(0)
	v_mul_f32_e32 v32, s11, v3
	v_mul_f32_e32 v33, s10, v3
	v_fma_f32 v32, v2, s10, -v32
	v_fmac_f32_e32 v33, s11, v2
	v_add_co_u32 v2, vcc_lo, v34, v0
	v_add_co_ci_u32_e64 v3, null, v35, v1, vcc_lo
	v_add_f32_e32 v4, v4, v32
	v_add_f32_e32 v5, v5, v33
	v_mul_f32_e32 v32, s15, v31
	v_mul_f32_e32 v31, s14, v31
	v_add_co_u32 v8, vcc_lo, v8, s0
	global_store_dwordx2 v[2:3], v[4:5], off
	global_load_dwordx2 v[4:5], v[6:7], off offset:128
	v_fma_f32 v32, v30, s14, -v32
	v_fmac_f32_e32 v31, s15, v30
	v_add_co_ci_u32_e64 v9, null, s1, v9, vcc_lo
	s_waitcnt vmcnt(0)
	v_mul_f32_e32 v33, s11, v5
	v_mul_f32_e32 v5, s10, v5
	v_fma_f32 v30, v4, s10, -v33
	v_fmac_f32_e32 v5, s11, v4
	v_add_f32_e32 v4, v32, v30
	v_add_f32_e32 v5, v31, v5
	v_mul_f32_e32 v30, s15, v29
	v_mul_f32_e32 v29, s14, v29
	global_store_dwordx2 v[2:3], v[4:5], off offset:128
	global_load_dwordx2 v[4:5], v[6:7], off offset:256
	v_fma_f32 v30, v28, s14, -v30
	v_fmac_f32_e32 v29, s15, v28
	s_waitcnt vmcnt(0)
	v_mul_f32_e32 v31, s11, v5
	v_mul_f32_e32 v5, s10, v5
	v_fma_f32 v28, v4, s10, -v31
	v_fmac_f32_e32 v5, s11, v4
	v_add_f32_e32 v4, v30, v28
	v_add_f32_e32 v5, v29, v5
	global_store_dwordx2 v[2:3], v[4:5], off offset:256
	global_load_dwordx2 v[4:5], v[6:7], off offset:384
	v_mul_f32_e32 v6, s15, v27
	v_mul_f32_e32 v7, s14, v27
	v_fma_f32 v6, v26, s14, -v6
	v_fmac_f32_e32 v7, s15, v26
	s_waitcnt vmcnt(0)
	v_mul_f32_e32 v27, s11, v5
	v_mul_f32_e32 v5, s10, v5
	v_fma_f32 v26, v4, s10, -v27
	v_fmac_f32_e32 v5, s11, v4
	v_add_f32_e32 v4, v6, v26
	v_add_co_u32 v6, vcc_lo, v8, v0
	v_add_f32_e32 v5, v7, v5
	v_add_co_ci_u32_e64 v7, null, v9, v1, vcc_lo
	v_add_co_u32 v26, vcc_lo, v34, s2
	global_store_dwordx2 v[2:3], v[4:5], off offset:384
	global_load_dwordx2 v[2:3], v[6:7], off
	v_mul_f32_e32 v4, s15, v25
	v_mul_f32_e32 v5, s14, v25
	v_add_co_ci_u32_e64 v27, null, s3, v35, vcc_lo
	v_fma_f32 v4, v24, s14, -v4
	v_fmac_f32_e32 v5, s15, v24
	s_waitcnt vmcnt(0)
	v_mul_f32_e32 v24, s11, v3
	v_mul_f32_e32 v25, s10, v3
	v_fma_f32 v24, v2, s10, -v24
	v_fmac_f32_e32 v25, s11, v2
	v_add_co_u32 v2, vcc_lo, v26, v0
	v_add_co_ci_u32_e64 v3, null, v27, v1, vcc_lo
	v_add_f32_e32 v4, v4, v24
	v_add_f32_e32 v5, v5, v25
	v_mul_f32_e32 v24, s15, v23
	v_mul_f32_e32 v23, s14, v23
	v_add_co_u32 v8, vcc_lo, v8, s0
	global_store_dwordx2 v[2:3], v[4:5], off
	global_load_dwordx2 v[4:5], v[6:7], off offset:128
	v_fma_f32 v24, v22, s14, -v24
	v_fmac_f32_e32 v23, s15, v22
	v_add_co_ci_u32_e64 v9, null, s1, v9, vcc_lo
	s_waitcnt vmcnt(0)
	v_mul_f32_e32 v25, s11, v5
	v_mul_f32_e32 v5, s10, v5
	v_fma_f32 v22, v4, s10, -v25
	v_fmac_f32_e32 v5, s11, v4
	v_add_f32_e32 v4, v24, v22
	v_add_f32_e32 v5, v23, v5
	v_mul_f32_e32 v22, s15, v21
	v_mul_f32_e32 v21, s14, v21
	global_store_dwordx2 v[2:3], v[4:5], off offset:128
	global_load_dwordx2 v[4:5], v[6:7], off offset:256
	v_fma_f32 v22, v20, s14, -v22
	v_fmac_f32_e32 v21, s15, v20
	s_waitcnt vmcnt(0)
	v_mul_f32_e32 v23, s11, v5
	v_mul_f32_e32 v5, s10, v5
	v_fma_f32 v20, v4, s10, -v23
	v_fmac_f32_e32 v5, s11, v4
	v_add_f32_e32 v4, v22, v20
	v_add_f32_e32 v5, v21, v5
	global_store_dwordx2 v[2:3], v[4:5], off offset:256
	global_load_dwordx2 v[4:5], v[6:7], off offset:384
	v_mul_f32_e32 v6, s15, v19
	v_mul_f32_e32 v7, s14, v19
	v_fma_f32 v6, v18, s14, -v6
	v_fmac_f32_e32 v7, s15, v18
	s_waitcnt vmcnt(0)
	v_mul_f32_e32 v19, s11, v5
	v_mul_f32_e32 v5, s10, v5
	v_fma_f32 v18, v4, s10, -v19
	v_fmac_f32_e32 v5, s11, v4
	v_add_f32_e32 v4, v6, v18
	v_add_co_u32 v6, vcc_lo, v8, v0
	v_add_f32_e32 v5, v7, v5
	v_add_co_ci_u32_e64 v7, null, v9, v1, vcc_lo
	v_add_co_u32 v9, vcc_lo, v26, s2
	global_store_dwordx2 v[2:3], v[4:5], off offset:384
	global_load_dwordx2 v[2:3], v[6:7], off
	v_mul_f32_e32 v4, s15, v17
	v_mul_f32_e32 v5, s14, v17
	v_fma_f32 v4, v16, s14, -v4
	v_fmac_f32_e32 v5, s15, v16
	v_add_co_ci_u32_e64 v16, null, s3, v27, vcc_lo
	v_add_co_u32 v0, vcc_lo, v9, v0
	v_add_co_ci_u32_e64 v1, null, v16, v1, vcc_lo
	s_waitcnt vmcnt(0)
	v_mul_f32_e32 v8, s11, v3
	v_mul_f32_e32 v3, s10, v3
	v_fma_f32 v8, v2, s10, -v8
	v_fmac_f32_e32 v3, s11, v2
	v_add_f32_e32 v2, v4, v8
	v_add_f32_e32 v3, v5, v3
	v_mul_f32_e32 v4, s15, v15
	v_mul_f32_e32 v5, s14, v15
	global_store_dwordx2 v[0:1], v[2:3], off
	global_load_dwordx2 v[2:3], v[6:7], off offset:128
	v_fma_f32 v4, v14, s14, -v4
	v_fmac_f32_e32 v5, s15, v14
	s_waitcnt vmcnt(0)
	v_mul_f32_e32 v8, s11, v3
	v_mul_f32_e32 v3, s10, v3
	v_fma_f32 v8, v2, s10, -v8
	v_fmac_f32_e32 v3, s11, v2
	v_add_f32_e32 v2, v4, v8
	v_add_f32_e32 v3, v5, v3
	v_mul_f32_e32 v4, s15, v13
	v_mul_f32_e32 v5, s14, v13
	global_store_dwordx2 v[0:1], v[2:3], off offset:128
	global_load_dwordx2 v[2:3], v[6:7], off offset:256
	v_fma_f32 v4, v12, s14, -v4
	v_fmac_f32_e32 v5, s15, v12
	s_waitcnt vmcnt(0)
	v_mul_f32_e32 v8, s11, v3
	v_mul_f32_e32 v3, s10, v3
	v_fma_f32 v8, v2, s10, -v8
	v_fmac_f32_e32 v3, s11, v2
	v_add_f32_e32 v2, v4, v8
	v_add_f32_e32 v3, v5, v3
	v_mul_f32_e32 v4, s15, v10
	v_mul_f32_e32 v5, s14, v10
	global_store_dwordx2 v[0:1], v[2:3], off offset:256
	global_load_dwordx2 v[2:3], v[6:7], off offset:384
	v_fma_f32 v4, v11, s14, -v4
	v_fmac_f32_e32 v5, s15, v11
	s_waitcnt vmcnt(0)
	v_mul_f32_e32 v6, s11, v3
	v_mul_f32_e32 v3, s10, v3
	v_fma_f32 v6, v2, s10, -v6
	v_fmac_f32_e32 v3, s11, v2
	v_add_co_u32 v2, vcc_lo, 0x180, v0
	v_add_f32_e32 v4, v4, v6
	v_add_f32_e32 v6, v5, v3
	v_add_co_ci_u32_e64 v3, null, 0, v1, vcc_lo
	global_store_dword v[0:1], v4, off offset:384
.LBB501_7:
	global_store_dword v[2:3], v6, off offset:4
	s_endpgm
	.section	.rodata,"a",@progbits
	.p2align	6, 0x0
	.amdhsa_kernel _ZN12_GLOBAL__N_127rocblas_gemm_batched_kernelI19rocblas_complex_numIfELi16ELi16ELi64ELi64ELi4ELi64ELi4ELi4ELi64ELc78ELc78EKS2_S3_S2_EEvlllT_PT11_llS6_llS4_PT12_llPT13_lli
		.amdhsa_group_segment_fixed_size 4096
		.amdhsa_private_segment_fixed_size 0
		.amdhsa_kernarg_size 140
		.amdhsa_user_sgpr_count 6
		.amdhsa_user_sgpr_private_segment_buffer 1
		.amdhsa_user_sgpr_dispatch_ptr 0
		.amdhsa_user_sgpr_queue_ptr 0
		.amdhsa_user_sgpr_kernarg_segment_ptr 1
		.amdhsa_user_sgpr_dispatch_id 0
		.amdhsa_user_sgpr_flat_scratch_init 0
		.amdhsa_user_sgpr_private_segment_size 0
		.amdhsa_wavefront_size32 1
		.amdhsa_uses_dynamic_stack 0
		.amdhsa_system_sgpr_private_segment_wavefront_offset 0
		.amdhsa_system_sgpr_workgroup_id_x 1
		.amdhsa_system_sgpr_workgroup_id_y 1
		.amdhsa_system_sgpr_workgroup_id_z 1
		.amdhsa_system_sgpr_workgroup_info 0
		.amdhsa_system_vgpr_workitem_id 1
		.amdhsa_next_free_vgpr 188
		.amdhsa_next_free_sgpr 32
		.amdhsa_reserve_vcc 1
		.amdhsa_reserve_flat_scratch 0
		.amdhsa_float_round_mode_32 0
		.amdhsa_float_round_mode_16_64 0
		.amdhsa_float_denorm_mode_32 3
		.amdhsa_float_denorm_mode_16_64 3
		.amdhsa_dx10_clamp 1
		.amdhsa_ieee_mode 1
		.amdhsa_fp16_overflow 0
		.amdhsa_workgroup_processor_mode 1
		.amdhsa_memory_ordered 1
		.amdhsa_forward_progress 1
		.amdhsa_shared_vgpr_count 0
		.amdhsa_exception_fp_ieee_invalid_op 0
		.amdhsa_exception_fp_denorm_src 0
		.amdhsa_exception_fp_ieee_div_zero 0
		.amdhsa_exception_fp_ieee_overflow 0
		.amdhsa_exception_fp_ieee_underflow 0
		.amdhsa_exception_fp_ieee_inexact 0
		.amdhsa_exception_int_div_zero 0
	.end_amdhsa_kernel
	.section	.text._ZN12_GLOBAL__N_127rocblas_gemm_batched_kernelI19rocblas_complex_numIfELi16ELi16ELi64ELi64ELi4ELi64ELi4ELi4ELi64ELc78ELc78EKS2_S3_S2_EEvlllT_PT11_llS6_llS4_PT12_llPT13_lli,"axG",@progbits,_ZN12_GLOBAL__N_127rocblas_gemm_batched_kernelI19rocblas_complex_numIfELi16ELi16ELi64ELi64ELi4ELi64ELi4ELi4ELi64ELc78ELc78EKS2_S3_S2_EEvlllT_PT11_llS6_llS4_PT12_llPT13_lli,comdat
.Lfunc_end501:
	.size	_ZN12_GLOBAL__N_127rocblas_gemm_batched_kernelI19rocblas_complex_numIfELi16ELi16ELi64ELi64ELi4ELi64ELi4ELi4ELi64ELc78ELc78EKS2_S3_S2_EEvlllT_PT11_llS6_llS4_PT12_llPT13_lli, .Lfunc_end501-_ZN12_GLOBAL__N_127rocblas_gemm_batched_kernelI19rocblas_complex_numIfELi16ELi16ELi64ELi64ELi4ELi64ELi4ELi4ELi64ELc78ELc78EKS2_S3_S2_EEvlllT_PT11_llS6_llS4_PT12_llPT13_lli
                                        ; -- End function
	.set _ZN12_GLOBAL__N_127rocblas_gemm_batched_kernelI19rocblas_complex_numIfELi16ELi16ELi64ELi64ELi4ELi64ELi4ELi4ELi64ELc78ELc78EKS2_S3_S2_EEvlllT_PT11_llS6_llS4_PT12_llPT13_lli.num_vgpr, 188
	.set _ZN12_GLOBAL__N_127rocblas_gemm_batched_kernelI19rocblas_complex_numIfELi16ELi16ELi64ELi64ELi4ELi64ELi4ELi4ELi64ELc78ELc78EKS2_S3_S2_EEvlllT_PT11_llS6_llS4_PT12_llPT13_lli.num_agpr, 0
	.set _ZN12_GLOBAL__N_127rocblas_gemm_batched_kernelI19rocblas_complex_numIfELi16ELi16ELi64ELi64ELi4ELi64ELi4ELi4ELi64ELc78ELc78EKS2_S3_S2_EEvlllT_PT11_llS6_llS4_PT12_llPT13_lli.numbered_sgpr, 32
	.set _ZN12_GLOBAL__N_127rocblas_gemm_batched_kernelI19rocblas_complex_numIfELi16ELi16ELi64ELi64ELi4ELi64ELi4ELi4ELi64ELc78ELc78EKS2_S3_S2_EEvlllT_PT11_llS6_llS4_PT12_llPT13_lli.num_named_barrier, 0
	.set _ZN12_GLOBAL__N_127rocblas_gemm_batched_kernelI19rocblas_complex_numIfELi16ELi16ELi64ELi64ELi4ELi64ELi4ELi4ELi64ELc78ELc78EKS2_S3_S2_EEvlllT_PT11_llS6_llS4_PT12_llPT13_lli.private_seg_size, 0
	.set _ZN12_GLOBAL__N_127rocblas_gemm_batched_kernelI19rocblas_complex_numIfELi16ELi16ELi64ELi64ELi4ELi64ELi4ELi4ELi64ELc78ELc78EKS2_S3_S2_EEvlllT_PT11_llS6_llS4_PT12_llPT13_lli.uses_vcc, 1
	.set _ZN12_GLOBAL__N_127rocblas_gemm_batched_kernelI19rocblas_complex_numIfELi16ELi16ELi64ELi64ELi4ELi64ELi4ELi4ELi64ELc78ELc78EKS2_S3_S2_EEvlllT_PT11_llS6_llS4_PT12_llPT13_lli.uses_flat_scratch, 0
	.set _ZN12_GLOBAL__N_127rocblas_gemm_batched_kernelI19rocblas_complex_numIfELi16ELi16ELi64ELi64ELi4ELi64ELi4ELi4ELi64ELc78ELc78EKS2_S3_S2_EEvlllT_PT11_llS6_llS4_PT12_llPT13_lli.has_dyn_sized_stack, 0
	.set _ZN12_GLOBAL__N_127rocblas_gemm_batched_kernelI19rocblas_complex_numIfELi16ELi16ELi64ELi64ELi4ELi64ELi4ELi4ELi64ELc78ELc78EKS2_S3_S2_EEvlllT_PT11_llS6_llS4_PT12_llPT13_lli.has_recursion, 0
	.set _ZN12_GLOBAL__N_127rocblas_gemm_batched_kernelI19rocblas_complex_numIfELi16ELi16ELi64ELi64ELi4ELi64ELi4ELi4ELi64ELc78ELc78EKS2_S3_S2_EEvlllT_PT11_llS6_llS4_PT12_llPT13_lli.has_indirect_call, 0
	.section	.AMDGPU.csdata,"",@progbits
; Kernel info:
; codeLenInByte = 4916
; TotalNumSgprs: 34
; NumVgprs: 188
; ScratchSize: 0
; MemoryBound: 0
; FloatMode: 240
; IeeeMode: 1
; LDSByteSize: 4096 bytes/workgroup (compile time only)
; SGPRBlocks: 0
; VGPRBlocks: 23
; NumSGPRsForWavesPerEU: 34
; NumVGPRsForWavesPerEU: 188
; Occupancy: 5
; WaveLimiterHint : 1
; COMPUTE_PGM_RSRC2:SCRATCH_EN: 0
; COMPUTE_PGM_RSRC2:USER_SGPR: 6
; COMPUTE_PGM_RSRC2:TRAP_HANDLER: 0
; COMPUTE_PGM_RSRC2:TGID_X_EN: 1
; COMPUTE_PGM_RSRC2:TGID_Y_EN: 1
; COMPUTE_PGM_RSRC2:TGID_Z_EN: 1
; COMPUTE_PGM_RSRC2:TIDIG_COMP_CNT: 1
	.section	.text._ZN12_GLOBAL__N_127rocblas_gemm_batched_kernelI19rocblas_complex_numIfELi16ELi16ELi64ELi64ELi4ELi64ELi4ELi4ELi64ELc84ELc78EKS2_S3_S2_EEvlllT_PT11_llS6_llS4_PT12_llPT13_lli,"axG",@progbits,_ZN12_GLOBAL__N_127rocblas_gemm_batched_kernelI19rocblas_complex_numIfELi16ELi16ELi64ELi64ELi4ELi64ELi4ELi4ELi64ELc84ELc78EKS2_S3_S2_EEvlllT_PT11_llS6_llS4_PT12_llPT13_lli,comdat
	.globl	_ZN12_GLOBAL__N_127rocblas_gemm_batched_kernelI19rocblas_complex_numIfELi16ELi16ELi64ELi64ELi4ELi64ELi4ELi4ELi64ELc84ELc78EKS2_S3_S2_EEvlllT_PT11_llS6_llS4_PT12_llPT13_lli ; -- Begin function _ZN12_GLOBAL__N_127rocblas_gemm_batched_kernelI19rocblas_complex_numIfELi16ELi16ELi64ELi64ELi4ELi64ELi4ELi4ELi64ELc84ELc78EKS2_S3_S2_EEvlllT_PT11_llS6_llS4_PT12_llPT13_lli
	.p2align	8
	.type	_ZN12_GLOBAL__N_127rocblas_gemm_batched_kernelI19rocblas_complex_numIfELi16ELi16ELi64ELi64ELi4ELi64ELi4ELi4ELi64ELc84ELc78EKS2_S3_S2_EEvlllT_PT11_llS6_llS4_PT12_llPT13_lli,@function
_ZN12_GLOBAL__N_127rocblas_gemm_batched_kernelI19rocblas_complex_numIfELi16ELi16ELi64ELi64ELi4ELi64ELi4ELi4ELi64ELc84ELc78EKS2_S3_S2_EEvlllT_PT11_llS6_llS4_PT12_llPT13_lli: ; @_ZN12_GLOBAL__N_127rocblas_gemm_batched_kernelI19rocblas_complex_numIfELi16ELi16ELi64ELi64ELi4ELi64ELi4ELi4ELi64ELc84ELc78EKS2_S3_S2_EEvlllT_PT11_llS6_llS4_PT12_llPT13_lli
; %bb.0:
	s_clause 0x1
	s_load_dwordx16 s[12:27], s[4:5], 0x10
	s_load_dwordx2 s[10:11], s[4:5], 0x50
	s_mov_b32 s0, s7
	v_mov_b32_e32 v40, 0
	v_mov_b32_e32 v41, 0
	;; [unrolled: 1-line block ×17, first 2 shown]
	s_waitcnt lgkmcnt(0)
	v_cmp_lt_i64_e64 s2, s[12:13], 1
	v_mov_b32_e32 v25, 0
	v_mov_b32_e32 v22, 0
	v_mov_b32_e32 v23, 0
	v_mov_b32_e32 v20, 0
	v_mov_b32_e32 v21, 0
	v_mov_b32_e32 v18, 0
	v_mov_b32_e32 v19, 0
	v_mov_b32_e32 v16, 0
	v_mov_b32_e32 v17, 0
	v_mov_b32_e32 v14, 0
	v_mov_b32_e32 v15, 0
	v_mov_b32_e32 v12, 0
	v_mov_b32_e32 v13, 0
	v_mov_b32_e32 v11, 0
	v_mov_b32_e32 v10, 0
	s_ashr_i32 s7, s6, 31
	s_ashr_i32 s1, s0, 31
	s_lshl_b64 s[28:29], s[6:7], 6
	s_and_b32 vcc_lo, exec_lo, s2
	s_lshl_b64 s[30:31], s[0:1], 6
	s_cbranch_vccnz .LBB502_3
; %bb.1:
	v_lshl_add_u32 v2, v1, 4, v0
	v_and_b32_e32 v3, 3, v0
	s_mul_hi_u32 s1, s20, s8
	v_mov_b32_e32 v10, 0
	v_lshlrev_b32_e32 v44, 3, v0
	v_and_b32_e32 v4, 63, v2
	v_lshlrev_b32_e32 v6, 3, v3
	v_lshrrev_b32_e32 v5, 2, v2
	v_lshrrev_b32_e32 v8, 6, v2
	v_lshl_add_u32 v45, v1, 5, 0x800
	v_add_co_u32 v3, s0, s28, v4
	v_add_co_ci_u32_e64 v7, null, s29, 0, s0
	v_lshl_or_b32 v9, v5, 5, v6
	v_mul_lo_u32 v11, s19, v3
	v_mad_u64_u32 v[2:3], null, s18, v3, 0
	v_mul_lo_u32 v7, s18, v7
	v_add_co_u32 v5, s0, v5, s30
	v_lshlrev_b32_e32 v4, 3, v4
	v_add_co_ci_u32_e64 v12, null, 0, s31, s0
	v_add_nc_u32_e32 v43, 0x800, v9
	s_mul_i32 s0, s21, s8
	v_lshl_or_b32 v42, v8, 9, v4
	v_add3_u32 v3, v3, v7, v11
	v_mul_lo_u32 v7, s25, v5
	v_mul_lo_u32 v9, s24, v12
	v_mad_u64_u32 v[4:5], null, s24, v5, 0
	v_lshlrev_b64 v[2:3], 3, v[2:3]
	s_add_i32 s1, s1, s0
	s_mul_i32 s0, s20, s8
	v_mov_b32_e32 v11, 0
	s_lshl_b64 s[0:1], s[0:1], 3
	v_mov_b32_e32 v13, 0
	v_add3_u32 v5, v5, v9, v7
	v_add_co_u32 v7, vcc_lo, v2, s0
	v_add_co_ci_u32_e64 v9, null, s1, v3, vcc_lo
	s_mul_i32 s0, s27, s8
	s_mul_hi_u32 s1, s26, s8
	v_lshlrev_b64 v[2:3], 3, v[4:5]
	s_add_i32 s1, s1, s0
	s_mul_i32 s0, s26, s8
	v_lshlrev_b32_e32 v4, 3, v8
	s_lshl_b64 s[0:1], s[0:1], 3
	v_mov_b32_e32 v12, 0
	v_add_co_u32 v2, vcc_lo, v2, s0
	v_add_co_ci_u32_e64 v3, null, s1, v3, vcc_lo
	v_add_co_u32 v4, vcc_lo, v7, v4
	v_add_co_ci_u32_e64 v5, null, 0, v9, vcc_lo
	v_add_co_u32 v6, vcc_lo, v2, v6
	v_add_co_ci_u32_e64 v7, null, 0, v3, vcc_lo
	v_add_co_u32 v2, vcc_lo, s16, v4
	v_add_co_ci_u32_e64 v3, null, s17, v5, vcc_lo
	v_add_co_u32 v4, vcc_lo, s22, v6
	v_add_co_ci_u32_e64 v5, null, s23, v7, vcc_lo
	v_mov_b32_e32 v15, 0
	v_mov_b32_e32 v14, 0
	;; [unrolled: 1-line block ×28, first 2 shown]
	s_mov_b64 s[0:1], 0
.LBB502_2:                              ; =>This Inner Loop Header: Depth=1
	global_load_dwordx2 v[6:7], v[2:3], off
	global_load_dwordx2 v[8:9], v[4:5], off
	s_add_u32 s0, s0, 4
	s_addc_u32 s1, s1, 0
	v_add_co_u32 v2, vcc_lo, v2, 32
	v_cmp_lt_i64_e64 s2, s[0:1], s[12:13]
	v_add_co_ci_u32_e64 v3, null, 0, v3, vcc_lo
	v_add_co_u32 v4, vcc_lo, v4, 32
	v_add_co_ci_u32_e64 v5, null, 0, v5, vcc_lo
	s_and_b32 vcc_lo, exec_lo, s2
	s_waitcnt vmcnt(1)
	ds_write_b64 v42, v[6:7]
	s_waitcnt vmcnt(0)
	ds_write_b64 v43, v[8:9]
	s_waitcnt lgkmcnt(0)
	s_barrier
	buffer_gl0_inv
	ds_read_b128 v[6:9], v45
	ds_read2_b64 v[46:49], v44 offset1:16
	ds_read_b128 v[50:53], v45 offset:512
	ds_read_b128 v[54:57], v45 offset:16
	;; [unrolled: 1-line block ×7, first 2 shown]
	ds_read2_b64 v[78:81], v44 offset0:32 offset1:48
	ds_read2_b64 v[82:85], v44 offset0:64 offset1:80
	;; [unrolled: 1-line block ×7, first 2 shown]
	s_waitcnt lgkmcnt(0)
	s_barrier
	buffer_gl0_inv
	v_mul_f32_e32 v106, v7, v47
	v_mul_f32_e32 v107, v6, v47
	;; [unrolled: 1-line block ×64, first 2 shown]
	v_fma_f32 v106, v6, v46, -v106
	v_fmac_f32_e32 v107, v7, v46
	v_fma_f32 v108, v6, v48, -v108
	v_fmac_f32_e32 v109, v7, v48
	;; [unrolled: 2-line block ×16, first 2 shown]
	v_mul_f32_e32 v162, v55, v91
	v_mul_f32_e32 v163, v54, v91
	;; [unrolled: 1-line block ×28, first 2 shown]
	v_fma_f32 v124, v8, v82, -v134
	v_fmac_f32_e32 v135, v9, v82
	v_fma_f32 v126, v8, v84, -v136
	v_fmac_f32_e32 v137, v9, v84
	v_fma_f32 v128, v8, v86, -v138
	v_fmac_f32_e32 v139, v9, v86
	v_fma_f32 v8, v8, v88, -v140
	v_fmac_f32_e32 v141, v9, v88
	v_mul_f32_e32 v9, v75, v95
	v_mul_f32_e32 v95, v74, v95
	;; [unrolled: 1-line block ×4, first 2 shown]
	v_fma_f32 v132, v52, v82, -v142
	v_fmac_f32_e32 v143, v53, v82
	v_fma_f32 v133, v52, v84, -v144
	v_fmac_f32_e32 v145, v53, v84
	v_fma_f32 v134, v52, v86, -v146
	v_fmac_f32_e32 v147, v53, v86
	v_fma_f32 v52, v52, v88, -v148
	v_fmac_f32_e32 v149, v53, v88
	v_mul_f32_e32 v136, v56, v99
	v_mul_f32_e32 v140, v56, v101
	v_fma_f32 v142, v64, v82, -v150
	v_fmac_f32_e32 v151, v65, v82
	v_fma_f32 v144, v64, v84, -v152
	v_fmac_f32_e32 v153, v65, v84
	;; [unrolled: 2-line block ×4, first 2 shown]
	v_mul_f32_e32 v148, v56, v103
	v_mul_f32_e32 v152, v56, v105
	v_fma_f32 v154, v72, v82, -v158
	v_fmac_f32_e32 v83, v73, v82
	v_fma_f32 v82, v72, v84, -v159
	v_fmac_f32_e32 v85, v73, v84
	;; [unrolled: 2-line block ×4, first 2 shown]
	v_add_f32_e32 v40, v40, v106
	v_add_f32_e32 v41, v41, v107
	;; [unrolled: 1-line block ×32, first 2 shown]
	v_mul_f32_e32 v53, v57, v99
	v_mul_f32_e32 v138, v57, v101
	;; [unrolled: 1-line block ×16, first 2 shown]
	v_fma_f32 v162, v54, v90, -v162
	v_fmac_f32_e32 v163, v55, v90
	v_fma_f32 v164, v54, v92, -v164
	v_fmac_f32_e32 v165, v55, v92
	;; [unrolled: 2-line block ×8, first 2 shown]
	v_mul_f32_e32 v92, v69, v103
	v_mul_f32_e32 v175, v68, v103
	;; [unrolled: 1-line block ×4, first 2 shown]
	v_fma_f32 v176, v54, v94, -v176
	v_fmac_f32_e32 v177, v55, v94
	v_fma_f32 v54, v54, v96, -v178
	v_fmac_f32_e32 v179, v55, v96
	v_fma_f32 v48, v58, v94, -v48
	v_fmac_f32_e32 v119, v59, v94
	v_fma_f32 v55, v58, v96, -v180
	v_fmac_f32_e32 v181, v59, v96
	v_fma_f32 v58, v66, v94, -v71
	v_fmac_f32_e32 v78, v67, v94
	v_fma_f32 v59, v66, v96, -v80
	v_fmac_f32_e32 v122, v67, v96
	v_fma_f32 v9, v74, v94, -v9
	v_fmac_f32_e32 v95, v75, v94
	v_fma_f32 v66, v74, v96, -v130
	v_fmac_f32_e32 v97, v75, v96
	v_mul_f32_e32 v67, v77, v99
	v_mul_f32_e32 v71, v76, v99
	;; [unrolled: 1-line block ×4, first 2 shown]
	v_fmac_f32_e32 v136, v57, v98
	v_fmac_f32_e32 v140, v57, v100
	;; [unrolled: 1-line block ×4, first 2 shown]
	v_mul_f32_e32 v57, v77, v103
	v_mul_f32_e32 v94, v76, v103
	;; [unrolled: 1-line block ×4, first 2 shown]
	v_add_f32_e32 v29, v40, v124
	v_add_f32_e32 v35, v41, v135
	;; [unrolled: 1-line block ×32, first 2 shown]
	v_fma_f32 v53, v56, v98, -v53
	v_fma_f32 v80, v56, v100, -v138
	;; [unrolled: 1-line block ×5, first 2 shown]
	v_fmac_f32_e32 v156, v61, v98
	v_fma_f32 v101, v60, v100, -v158
	v_fmac_f32_e32 v159, v61, v100
	v_fma_f32 v73, v60, v102, -v73
	;; [unrolled: 2-line block ×11, first 2 shown]
	v_fmac_f32_e32 v99, v77, v104
	v_add_f32_e32 v29, v29, v162
	v_add_f32_e32 v34, v35, v163
	;; [unrolled: 1-line block ×64, first 2 shown]
	s_cbranch_vccnz .LBB502_2
.LBB502_3:
	s_clause 0x1
	s_load_dwordx4 s[16:19], s[4:5], 0x78
	s_load_dwordx8 s[0:7], s[4:5], 0x58
	s_waitcnt lgkmcnt(0)
	s_mul_i32 s9, s19, s8
	s_mul_hi_u32 s13, s18, s8
	s_mul_i32 s12, s18, s8
	s_add_i32 s13, s13, s9
	s_lshl_b64 s[12:13], s[12:13], 3
	s_add_u32 s9, s6, s12
	s_addc_u32 s12, s7, s13
	v_add_co_u32 v4, s7, s30, v1
	v_add_co_ci_u32_e64 v5, null, s31, 0, s7
	v_add_co_u32 v0, s7, s28, v0
	s_or_b32 s6, s10, s11
	v_add_co_ci_u32_e64 v1, null, s29, 0, s7
	s_bitset0_b32 s6, 31
	s_mov_b32 s13, 0
	s_cmp_lg_u32 s6, 0
	s_cbranch_scc1 .LBB502_5
; %bb.4:
	v_mul_lo_u32 v6, v5, s16
	v_mul_lo_u32 v8, v4, s17
	v_mad_u64_u32 v[2:3], null, v4, s16, 0
	v_mul_f32_e32 v42, s15, v41
	v_mul_f32_e32 v7, s14, v41
	;; [unrolled: 1-line block ×6, first 2 shown]
	v_add3_u32 v3, v3, v8, v6
	v_lshlrev_b64 v[8:9], 3, v[0:1]
	v_mul_f32_e32 v48, s15, v35
	v_mul_f32_e32 v47, s14, v35
	v_fma_f32 v6, v40, s14, -v42
	v_lshlrev_b64 v[2:3], 3, v[2:3]
	v_fmac_f32_e32 v7, s15, v40
	v_fma_f32 v42, v38, s14, -v44
	v_fmac_f32_e32 v43, s15, v38
	s_lshl_b64 s[6:7], s[16:17], 7
	v_fma_f32 v44, v36, s14, -v46
	v_add_co_u32 v49, vcc_lo, s9, v2
	v_add_co_ci_u32_e64 v50, null, s12, v3, vcc_lo
	v_fmac_f32_e32 v45, s15, v36
	v_add_co_u32 v2, vcc_lo, v49, v8
	v_add_co_ci_u32_e64 v3, null, v50, v9, vcc_lo
	v_fma_f32 v46, v34, s14, -v48
	v_fmac_f32_e32 v47, s15, v34
	v_add_co_u32 v48, vcc_lo, v49, s6
	global_store_dwordx2 v[2:3], v[6:7], off
	global_store_dwordx2 v[2:3], v[42:43], off offset:128
	global_store_dwordx2 v[2:3], v[44:45], off offset:256
	;; [unrolled: 1-line block ×3, first 2 shown]
	v_mul_f32_e32 v2, s15, v33
	v_mul_f32_e32 v3, s14, v33
	v_add_co_ci_u32_e64 v49, null, s7, v50, vcc_lo
	v_mul_f32_e32 v6, s15, v31
	v_mul_f32_e32 v7, s14, v31
	;; [unrolled: 1-line block ×4, first 2 shown]
	v_add_co_u32 v44, vcc_lo, v48, v8
	v_fma_f32 v2, v32, s14, -v2
	v_fmac_f32_e32 v3, s15, v32
	v_add_co_ci_u32_e64 v45, null, v49, v9, vcc_lo
	v_fma_f32 v6, v30, s14, -v6
	v_fmac_f32_e32 v7, s15, v30
	v_fma_f32 v42, v28, s14, -v42
	v_fmac_f32_e32 v43, s15, v28
	v_add_co_u32 v52, vcc_lo, v48, s6
	v_mul_f32_e32 v46, s15, v27
	v_mul_f32_e32 v47, s14, v27
	global_store_dwordx2 v[44:45], v[2:3], off
	global_store_dwordx2 v[44:45], v[6:7], off offset:128
	global_store_dwordx2 v[44:45], v[42:43], off offset:256
	v_mul_f32_e32 v2, s15, v25
	v_mul_f32_e32 v3, s14, v25
	v_add_co_ci_u32_e64 v53, null, s7, v49, vcc_lo
	v_mul_f32_e32 v42, s15, v23
	v_mul_f32_e32 v43, s14, v23
	;; [unrolled: 1-line block ×4, first 2 shown]
	v_add_co_u32 v6, vcc_lo, v52, v8
	v_mul_f32_e32 v50, s15, v19
	v_mul_f32_e32 v51, s14, v19
	v_fma_f32 v46, v26, s14, -v46
	v_fmac_f32_e32 v47, s15, v26
	v_fma_f32 v2, v24, s14, -v2
	v_fmac_f32_e32 v3, s15, v24
	v_add_co_ci_u32_e64 v7, null, v53, v9, vcc_lo
	v_fma_f32 v42, v22, s14, -v42
	v_fmac_f32_e32 v43, s15, v22
	v_fma_f32 v48, v20, s14, -v48
	v_fmac_f32_e32 v49, s15, v20
	;; [unrolled: 2-line block ×3, first 2 shown]
	global_store_dwordx2 v[44:45], v[46:47], off offset:384
	global_store_dwordx2 v[6:7], v[2:3], off
	global_store_dwordx2 v[6:7], v[42:43], off offset:128
	global_store_dwordx2 v[6:7], v[48:49], off offset:256
	global_store_dwordx2 v[6:7], v[50:51], off offset:384
	v_mul_f32_e32 v2, s15, v17
	v_add_co_u32 v3, vcc_lo, v52, s6
	v_add_co_ci_u32_e64 v6, null, s7, v53, vcc_lo
	v_fma_f32 v42, v16, s14, -v2
	v_mul_f32_e32 v2, s15, v15
	v_add_co_u32 v7, vcc_lo, v3, v8
	v_mul_f32_e32 v43, s14, v17
	v_add_co_ci_u32_e64 v8, null, v6, v9, vcc_lo
	v_fma_f32 v44, v14, s14, -v2
	v_mul_f32_e32 v2, s15, v13
	v_mul_f32_e32 v3, s15, v10
	;; [unrolled: 1-line block ×5, first 2 shown]
	v_fma_f32 v46, v12, s14, -v2
	v_add_co_u32 v2, vcc_lo, 0x180, v7
	v_fmac_f32_e32 v43, s15, v16
	v_fma_f32 v9, v11, s14, -v3
	v_fmac_f32_e32 v6, s15, v11
	v_add_co_ci_u32_e64 v3, null, 0, v8, vcc_lo
	v_fmac_f32_e32 v45, s15, v14
	v_fmac_f32_e32 v47, s15, v12
	global_store_dwordx2 v[7:8], v[42:43], off
	global_store_dwordx2 v[7:8], v[44:45], off offset:128
	global_store_dwordx2 v[7:8], v[46:47], off offset:256
	global_store_dword v[7:8], v9, off offset:384
	s_andn2_b32 vcc_lo, exec_lo, s13
	s_cbranch_vccz .LBB502_6
	s_branch .LBB502_7
.LBB502_5:
                                        ; implicit-def: $vgpr6
                                        ; implicit-def: $vgpr2_vgpr3
.LBB502_6:
	v_mul_lo_u32 v6, v5, s2
	v_mul_lo_u32 v7, v4, s3
	v_mad_u64_u32 v[2:3], null, v4, s2, 0
	s_mul_i32 s5, s5, s8
	s_mul_hi_u32 s6, s4, s8
	s_mul_i32 s4, s4, s8
	s_add_i32 s5, s6, s5
	v_lshlrev_b64 v[0:1], 3, v[0:1]
	s_lshl_b64 s[4:5], s[4:5], 3
	v_add3_u32 v3, v3, v7, v6
	s_add_u32 s0, s0, s4
	s_addc_u32 s1, s1, s5
	v_mul_lo_u32 v42, v5, s16
	v_mul_lo_u32 v43, v4, s17
	v_lshlrev_b64 v[2:3], 3, v[2:3]
	v_mad_u64_u32 v[4:5], null, v4, s16, 0
	v_add_co_u32 v8, vcc_lo, s0, v2
	v_add_co_ci_u32_e64 v9, null, s1, v3, vcc_lo
	v_add3_u32 v5, v5, v43, v42
	v_add_co_u32 v2, vcc_lo, v8, v0
	v_add_co_ci_u32_e64 v3, null, v9, v1, vcc_lo
	v_mul_f32_e32 v42, s15, v41
	v_mul_f32_e32 v41, s14, v41
	v_lshlrev_b64 v[4:5], 3, v[4:5]
	global_load_dwordx2 v[6:7], v[2:3], off
	s_lshl_b64 s[0:1], s[2:3], 7
	v_fma_f32 v42, v40, s14, -v42
	v_fmac_f32_e32 v41, s15, v40
	s_lshl_b64 s[2:3], s[16:17], 7
	v_add_co_u32 v43, vcc_lo, s9, v4
	v_add_co_ci_u32_e64 v44, null, s12, v5, vcc_lo
	v_add_co_u32 v4, vcc_lo, v43, v0
	v_add_co_ci_u32_e64 v5, null, v44, v1, vcc_lo
	;; [unrolled: 2-line block ×3, first 2 shown]
	s_waitcnt vmcnt(0)
	v_mul_f32_e32 v40, s11, v7
	v_mul_f32_e32 v7, s10, v7
	v_fma_f32 v40, v6, s10, -v40
	v_fmac_f32_e32 v7, s11, v6
	v_add_f32_e32 v6, v42, v40
	v_add_f32_e32 v7, v41, v7
	v_mul_f32_e32 v40, s15, v39
	v_mul_f32_e32 v39, s14, v39
	global_store_dwordx2 v[4:5], v[6:7], off
	global_load_dwordx2 v[6:7], v[2:3], off offset:128
	v_fma_f32 v40, v38, s14, -v40
	v_fmac_f32_e32 v39, s15, v38
	s_waitcnt vmcnt(0)
	v_mul_f32_e32 v41, s11, v7
	v_mul_f32_e32 v7, s10, v7
	v_fma_f32 v38, v6, s10, -v41
	v_fmac_f32_e32 v7, s11, v6
	v_add_f32_e32 v6, v40, v38
	v_add_f32_e32 v7, v39, v7
	v_mul_f32_e32 v38, s15, v37
	v_mul_f32_e32 v37, s14, v37
	global_store_dwordx2 v[4:5], v[6:7], off offset:128
	global_load_dwordx2 v[6:7], v[2:3], off offset:256
	v_fma_f32 v38, v36, s14, -v38
	v_fmac_f32_e32 v37, s15, v36
	s_waitcnt vmcnt(0)
	v_mul_f32_e32 v39, s11, v7
	v_mul_f32_e32 v7, s10, v7
	v_fma_f32 v36, v6, s10, -v39
	v_fmac_f32_e32 v7, s11, v6
	v_add_f32_e32 v6, v38, v36
	v_add_f32_e32 v7, v37, v7
	global_store_dwordx2 v[4:5], v[6:7], off offset:256
	global_load_dwordx2 v[2:3], v[2:3], off offset:384
	v_mul_f32_e32 v6, s15, v35
	v_mul_f32_e32 v7, s14, v35
	v_fma_f32 v6, v34, s14, -v6
	v_fmac_f32_e32 v7, s15, v34
	s_waitcnt vmcnt(0)
	v_mul_f32_e32 v35, s11, v3
	v_mul_f32_e32 v3, s10, v3
	v_fma_f32 v34, v2, s10, -v35
	v_fmac_f32_e32 v3, s11, v2
	v_add_f32_e32 v2, v6, v34
	v_add_co_u32 v6, vcc_lo, v8, v0
	v_add_f32_e32 v3, v7, v3
	v_add_co_ci_u32_e64 v7, null, v9, v1, vcc_lo
	v_add_co_u32 v34, vcc_lo, v43, s2
	global_store_dwordx2 v[4:5], v[2:3], off offset:384
	global_load_dwordx2 v[2:3], v[6:7], off
	v_mul_f32_e32 v4, s15, v33
	v_mul_f32_e32 v5, s14, v33
	v_add_co_ci_u32_e64 v35, null, s3, v44, vcc_lo
	v_fma_f32 v4, v32, s14, -v4
	v_fmac_f32_e32 v5, s15, v32
	s_waitcnt vmcnt(0)
	v_mul_f32_e32 v32, s11, v3
	v_mul_f32_e32 v33, s10, v3
	v_fma_f32 v32, v2, s10, -v32
	v_fmac_f32_e32 v33, s11, v2
	v_add_co_u32 v2, vcc_lo, v34, v0
	v_add_co_ci_u32_e64 v3, null, v35, v1, vcc_lo
	v_add_f32_e32 v4, v4, v32
	v_add_f32_e32 v5, v5, v33
	v_mul_f32_e32 v32, s15, v31
	v_mul_f32_e32 v31, s14, v31
	v_add_co_u32 v8, vcc_lo, v8, s0
	global_store_dwordx2 v[2:3], v[4:5], off
	global_load_dwordx2 v[4:5], v[6:7], off offset:128
	v_fma_f32 v32, v30, s14, -v32
	v_fmac_f32_e32 v31, s15, v30
	v_add_co_ci_u32_e64 v9, null, s1, v9, vcc_lo
	s_waitcnt vmcnt(0)
	v_mul_f32_e32 v33, s11, v5
	v_mul_f32_e32 v5, s10, v5
	v_fma_f32 v30, v4, s10, -v33
	v_fmac_f32_e32 v5, s11, v4
	v_add_f32_e32 v4, v32, v30
	v_add_f32_e32 v5, v31, v5
	v_mul_f32_e32 v30, s15, v29
	v_mul_f32_e32 v29, s14, v29
	global_store_dwordx2 v[2:3], v[4:5], off offset:128
	global_load_dwordx2 v[4:5], v[6:7], off offset:256
	v_fma_f32 v30, v28, s14, -v30
	v_fmac_f32_e32 v29, s15, v28
	s_waitcnt vmcnt(0)
	v_mul_f32_e32 v31, s11, v5
	v_mul_f32_e32 v5, s10, v5
	v_fma_f32 v28, v4, s10, -v31
	v_fmac_f32_e32 v5, s11, v4
	v_add_f32_e32 v4, v30, v28
	v_add_f32_e32 v5, v29, v5
	global_store_dwordx2 v[2:3], v[4:5], off offset:256
	global_load_dwordx2 v[4:5], v[6:7], off offset:384
	v_mul_f32_e32 v6, s15, v27
	v_mul_f32_e32 v7, s14, v27
	v_fma_f32 v6, v26, s14, -v6
	v_fmac_f32_e32 v7, s15, v26
	s_waitcnt vmcnt(0)
	v_mul_f32_e32 v27, s11, v5
	v_mul_f32_e32 v5, s10, v5
	v_fma_f32 v26, v4, s10, -v27
	v_fmac_f32_e32 v5, s11, v4
	v_add_f32_e32 v4, v6, v26
	v_add_co_u32 v6, vcc_lo, v8, v0
	v_add_f32_e32 v5, v7, v5
	v_add_co_ci_u32_e64 v7, null, v9, v1, vcc_lo
	v_add_co_u32 v26, vcc_lo, v34, s2
	global_store_dwordx2 v[2:3], v[4:5], off offset:384
	global_load_dwordx2 v[2:3], v[6:7], off
	v_mul_f32_e32 v4, s15, v25
	v_mul_f32_e32 v5, s14, v25
	v_add_co_ci_u32_e64 v27, null, s3, v35, vcc_lo
	v_fma_f32 v4, v24, s14, -v4
	v_fmac_f32_e32 v5, s15, v24
	s_waitcnt vmcnt(0)
	v_mul_f32_e32 v24, s11, v3
	v_mul_f32_e32 v25, s10, v3
	v_fma_f32 v24, v2, s10, -v24
	v_fmac_f32_e32 v25, s11, v2
	v_add_co_u32 v2, vcc_lo, v26, v0
	v_add_co_ci_u32_e64 v3, null, v27, v1, vcc_lo
	v_add_f32_e32 v4, v4, v24
	v_add_f32_e32 v5, v5, v25
	v_mul_f32_e32 v24, s15, v23
	v_mul_f32_e32 v23, s14, v23
	v_add_co_u32 v8, vcc_lo, v8, s0
	global_store_dwordx2 v[2:3], v[4:5], off
	global_load_dwordx2 v[4:5], v[6:7], off offset:128
	v_fma_f32 v24, v22, s14, -v24
	v_fmac_f32_e32 v23, s15, v22
	v_add_co_ci_u32_e64 v9, null, s1, v9, vcc_lo
	s_waitcnt vmcnt(0)
	v_mul_f32_e32 v25, s11, v5
	v_mul_f32_e32 v5, s10, v5
	v_fma_f32 v22, v4, s10, -v25
	v_fmac_f32_e32 v5, s11, v4
	v_add_f32_e32 v4, v24, v22
	v_add_f32_e32 v5, v23, v5
	v_mul_f32_e32 v22, s15, v21
	v_mul_f32_e32 v21, s14, v21
	global_store_dwordx2 v[2:3], v[4:5], off offset:128
	global_load_dwordx2 v[4:5], v[6:7], off offset:256
	v_fma_f32 v22, v20, s14, -v22
	v_fmac_f32_e32 v21, s15, v20
	s_waitcnt vmcnt(0)
	v_mul_f32_e32 v23, s11, v5
	v_mul_f32_e32 v5, s10, v5
	v_fma_f32 v20, v4, s10, -v23
	v_fmac_f32_e32 v5, s11, v4
	v_add_f32_e32 v4, v22, v20
	v_add_f32_e32 v5, v21, v5
	global_store_dwordx2 v[2:3], v[4:5], off offset:256
	global_load_dwordx2 v[4:5], v[6:7], off offset:384
	v_mul_f32_e32 v6, s15, v19
	v_mul_f32_e32 v7, s14, v19
	v_fma_f32 v6, v18, s14, -v6
	v_fmac_f32_e32 v7, s15, v18
	s_waitcnt vmcnt(0)
	v_mul_f32_e32 v19, s11, v5
	v_mul_f32_e32 v5, s10, v5
	v_fma_f32 v18, v4, s10, -v19
	v_fmac_f32_e32 v5, s11, v4
	v_add_f32_e32 v4, v6, v18
	v_add_co_u32 v6, vcc_lo, v8, v0
	v_add_f32_e32 v5, v7, v5
	v_add_co_ci_u32_e64 v7, null, v9, v1, vcc_lo
	v_add_co_u32 v9, vcc_lo, v26, s2
	global_store_dwordx2 v[2:3], v[4:5], off offset:384
	global_load_dwordx2 v[2:3], v[6:7], off
	v_mul_f32_e32 v4, s15, v17
	v_mul_f32_e32 v5, s14, v17
	v_fma_f32 v4, v16, s14, -v4
	v_fmac_f32_e32 v5, s15, v16
	v_add_co_ci_u32_e64 v16, null, s3, v27, vcc_lo
	v_add_co_u32 v0, vcc_lo, v9, v0
	v_add_co_ci_u32_e64 v1, null, v16, v1, vcc_lo
	s_waitcnt vmcnt(0)
	v_mul_f32_e32 v8, s11, v3
	v_mul_f32_e32 v3, s10, v3
	v_fma_f32 v8, v2, s10, -v8
	v_fmac_f32_e32 v3, s11, v2
	v_add_f32_e32 v2, v4, v8
	v_add_f32_e32 v3, v5, v3
	v_mul_f32_e32 v4, s15, v15
	v_mul_f32_e32 v5, s14, v15
	global_store_dwordx2 v[0:1], v[2:3], off
	global_load_dwordx2 v[2:3], v[6:7], off offset:128
	v_fma_f32 v4, v14, s14, -v4
	v_fmac_f32_e32 v5, s15, v14
	s_waitcnt vmcnt(0)
	v_mul_f32_e32 v8, s11, v3
	v_mul_f32_e32 v3, s10, v3
	v_fma_f32 v8, v2, s10, -v8
	v_fmac_f32_e32 v3, s11, v2
	v_add_f32_e32 v2, v4, v8
	v_add_f32_e32 v3, v5, v3
	v_mul_f32_e32 v4, s15, v13
	v_mul_f32_e32 v5, s14, v13
	global_store_dwordx2 v[0:1], v[2:3], off offset:128
	global_load_dwordx2 v[2:3], v[6:7], off offset:256
	v_fma_f32 v4, v12, s14, -v4
	v_fmac_f32_e32 v5, s15, v12
	s_waitcnt vmcnt(0)
	v_mul_f32_e32 v8, s11, v3
	v_mul_f32_e32 v3, s10, v3
	v_fma_f32 v8, v2, s10, -v8
	v_fmac_f32_e32 v3, s11, v2
	v_add_f32_e32 v2, v4, v8
	v_add_f32_e32 v3, v5, v3
	v_mul_f32_e32 v4, s15, v10
	v_mul_f32_e32 v5, s14, v10
	global_store_dwordx2 v[0:1], v[2:3], off offset:256
	global_load_dwordx2 v[2:3], v[6:7], off offset:384
	v_fma_f32 v4, v11, s14, -v4
	v_fmac_f32_e32 v5, s15, v11
	s_waitcnt vmcnt(0)
	v_mul_f32_e32 v6, s11, v3
	v_mul_f32_e32 v3, s10, v3
	v_fma_f32 v6, v2, s10, -v6
	v_fmac_f32_e32 v3, s11, v2
	v_add_co_u32 v2, vcc_lo, 0x180, v0
	v_add_f32_e32 v4, v4, v6
	v_add_f32_e32 v6, v5, v3
	v_add_co_ci_u32_e64 v3, null, 0, v1, vcc_lo
	global_store_dword v[0:1], v4, off offset:384
.LBB502_7:
	global_store_dword v[2:3], v6, off offset:4
	s_endpgm
	.section	.rodata,"a",@progbits
	.p2align	6, 0x0
	.amdhsa_kernel _ZN12_GLOBAL__N_127rocblas_gemm_batched_kernelI19rocblas_complex_numIfELi16ELi16ELi64ELi64ELi4ELi64ELi4ELi4ELi64ELc84ELc78EKS2_S3_S2_EEvlllT_PT11_llS6_llS4_PT12_llPT13_lli
		.amdhsa_group_segment_fixed_size 4096
		.amdhsa_private_segment_fixed_size 0
		.amdhsa_kernarg_size 140
		.amdhsa_user_sgpr_count 6
		.amdhsa_user_sgpr_private_segment_buffer 1
		.amdhsa_user_sgpr_dispatch_ptr 0
		.amdhsa_user_sgpr_queue_ptr 0
		.amdhsa_user_sgpr_kernarg_segment_ptr 1
		.amdhsa_user_sgpr_dispatch_id 0
		.amdhsa_user_sgpr_flat_scratch_init 0
		.amdhsa_user_sgpr_private_segment_size 0
		.amdhsa_wavefront_size32 1
		.amdhsa_uses_dynamic_stack 0
		.amdhsa_system_sgpr_private_segment_wavefront_offset 0
		.amdhsa_system_sgpr_workgroup_id_x 1
		.amdhsa_system_sgpr_workgroup_id_y 1
		.amdhsa_system_sgpr_workgroup_id_z 1
		.amdhsa_system_sgpr_workgroup_info 0
		.amdhsa_system_vgpr_workitem_id 1
		.amdhsa_next_free_vgpr 188
		.amdhsa_next_free_sgpr 32
		.amdhsa_reserve_vcc 1
		.amdhsa_reserve_flat_scratch 0
		.amdhsa_float_round_mode_32 0
		.amdhsa_float_round_mode_16_64 0
		.amdhsa_float_denorm_mode_32 3
		.amdhsa_float_denorm_mode_16_64 3
		.amdhsa_dx10_clamp 1
		.amdhsa_ieee_mode 1
		.amdhsa_fp16_overflow 0
		.amdhsa_workgroup_processor_mode 1
		.amdhsa_memory_ordered 1
		.amdhsa_forward_progress 1
		.amdhsa_shared_vgpr_count 0
		.amdhsa_exception_fp_ieee_invalid_op 0
		.amdhsa_exception_fp_denorm_src 0
		.amdhsa_exception_fp_ieee_div_zero 0
		.amdhsa_exception_fp_ieee_overflow 0
		.amdhsa_exception_fp_ieee_underflow 0
		.amdhsa_exception_fp_ieee_inexact 0
		.amdhsa_exception_int_div_zero 0
	.end_amdhsa_kernel
	.section	.text._ZN12_GLOBAL__N_127rocblas_gemm_batched_kernelI19rocblas_complex_numIfELi16ELi16ELi64ELi64ELi4ELi64ELi4ELi4ELi64ELc84ELc78EKS2_S3_S2_EEvlllT_PT11_llS6_llS4_PT12_llPT13_lli,"axG",@progbits,_ZN12_GLOBAL__N_127rocblas_gemm_batched_kernelI19rocblas_complex_numIfELi16ELi16ELi64ELi64ELi4ELi64ELi4ELi4ELi64ELc84ELc78EKS2_S3_S2_EEvlllT_PT11_llS6_llS4_PT12_llPT13_lli,comdat
.Lfunc_end502:
	.size	_ZN12_GLOBAL__N_127rocblas_gemm_batched_kernelI19rocblas_complex_numIfELi16ELi16ELi64ELi64ELi4ELi64ELi4ELi4ELi64ELc84ELc78EKS2_S3_S2_EEvlllT_PT11_llS6_llS4_PT12_llPT13_lli, .Lfunc_end502-_ZN12_GLOBAL__N_127rocblas_gemm_batched_kernelI19rocblas_complex_numIfELi16ELi16ELi64ELi64ELi4ELi64ELi4ELi4ELi64ELc84ELc78EKS2_S3_S2_EEvlllT_PT11_llS6_llS4_PT12_llPT13_lli
                                        ; -- End function
	.set _ZN12_GLOBAL__N_127rocblas_gemm_batched_kernelI19rocblas_complex_numIfELi16ELi16ELi64ELi64ELi4ELi64ELi4ELi4ELi64ELc84ELc78EKS2_S3_S2_EEvlllT_PT11_llS6_llS4_PT12_llPT13_lli.num_vgpr, 188
	.set _ZN12_GLOBAL__N_127rocblas_gemm_batched_kernelI19rocblas_complex_numIfELi16ELi16ELi64ELi64ELi4ELi64ELi4ELi4ELi64ELc84ELc78EKS2_S3_S2_EEvlllT_PT11_llS6_llS4_PT12_llPT13_lli.num_agpr, 0
	.set _ZN12_GLOBAL__N_127rocblas_gemm_batched_kernelI19rocblas_complex_numIfELi16ELi16ELi64ELi64ELi4ELi64ELi4ELi4ELi64ELc84ELc78EKS2_S3_S2_EEvlllT_PT11_llS6_llS4_PT12_llPT13_lli.numbered_sgpr, 32
	.set _ZN12_GLOBAL__N_127rocblas_gemm_batched_kernelI19rocblas_complex_numIfELi16ELi16ELi64ELi64ELi4ELi64ELi4ELi4ELi64ELc84ELc78EKS2_S3_S2_EEvlllT_PT11_llS6_llS4_PT12_llPT13_lli.num_named_barrier, 0
	.set _ZN12_GLOBAL__N_127rocblas_gemm_batched_kernelI19rocblas_complex_numIfELi16ELi16ELi64ELi64ELi4ELi64ELi4ELi4ELi64ELc84ELc78EKS2_S3_S2_EEvlllT_PT11_llS6_llS4_PT12_llPT13_lli.private_seg_size, 0
	.set _ZN12_GLOBAL__N_127rocblas_gemm_batched_kernelI19rocblas_complex_numIfELi16ELi16ELi64ELi64ELi4ELi64ELi4ELi4ELi64ELc84ELc78EKS2_S3_S2_EEvlllT_PT11_llS6_llS4_PT12_llPT13_lli.uses_vcc, 1
	.set _ZN12_GLOBAL__N_127rocblas_gemm_batched_kernelI19rocblas_complex_numIfELi16ELi16ELi64ELi64ELi4ELi64ELi4ELi4ELi64ELc84ELc78EKS2_S3_S2_EEvlllT_PT11_llS6_llS4_PT12_llPT13_lli.uses_flat_scratch, 0
	.set _ZN12_GLOBAL__N_127rocblas_gemm_batched_kernelI19rocblas_complex_numIfELi16ELi16ELi64ELi64ELi4ELi64ELi4ELi4ELi64ELc84ELc78EKS2_S3_S2_EEvlllT_PT11_llS6_llS4_PT12_llPT13_lli.has_dyn_sized_stack, 0
	.set _ZN12_GLOBAL__N_127rocblas_gemm_batched_kernelI19rocblas_complex_numIfELi16ELi16ELi64ELi64ELi4ELi64ELi4ELi4ELi64ELc84ELc78EKS2_S3_S2_EEvlllT_PT11_llS6_llS4_PT12_llPT13_lli.has_recursion, 0
	.set _ZN12_GLOBAL__N_127rocblas_gemm_batched_kernelI19rocblas_complex_numIfELi16ELi16ELi64ELi64ELi4ELi64ELi4ELi4ELi64ELc84ELc78EKS2_S3_S2_EEvlllT_PT11_llS6_llS4_PT12_llPT13_lli.has_indirect_call, 0
	.section	.AMDGPU.csdata,"",@progbits
; Kernel info:
; codeLenInByte = 4956
; TotalNumSgprs: 34
; NumVgprs: 188
; ScratchSize: 0
; MemoryBound: 0
; FloatMode: 240
; IeeeMode: 1
; LDSByteSize: 4096 bytes/workgroup (compile time only)
; SGPRBlocks: 0
; VGPRBlocks: 23
; NumSGPRsForWavesPerEU: 34
; NumVGPRsForWavesPerEU: 188
; Occupancy: 5
; WaveLimiterHint : 1
; COMPUTE_PGM_RSRC2:SCRATCH_EN: 0
; COMPUTE_PGM_RSRC2:USER_SGPR: 6
; COMPUTE_PGM_RSRC2:TRAP_HANDLER: 0
; COMPUTE_PGM_RSRC2:TGID_X_EN: 1
; COMPUTE_PGM_RSRC2:TGID_Y_EN: 1
; COMPUTE_PGM_RSRC2:TGID_Z_EN: 1
; COMPUTE_PGM_RSRC2:TIDIG_COMP_CNT: 1
	.section	.text._ZN12_GLOBAL__N_127rocblas_gemm_batched_kernelI19rocblas_complex_numIfELi16ELi16ELi64ELi64ELi4ELi64ELi4ELi4ELi64ELc78ELc84EKS2_S3_S2_EEvlllT_PT11_llS6_llS4_PT12_llPT13_lli,"axG",@progbits,_ZN12_GLOBAL__N_127rocblas_gemm_batched_kernelI19rocblas_complex_numIfELi16ELi16ELi64ELi64ELi4ELi64ELi4ELi4ELi64ELc78ELc84EKS2_S3_S2_EEvlllT_PT11_llS6_llS4_PT12_llPT13_lli,comdat
	.globl	_ZN12_GLOBAL__N_127rocblas_gemm_batched_kernelI19rocblas_complex_numIfELi16ELi16ELi64ELi64ELi4ELi64ELi4ELi4ELi64ELc78ELc84EKS2_S3_S2_EEvlllT_PT11_llS6_llS4_PT12_llPT13_lli ; -- Begin function _ZN12_GLOBAL__N_127rocblas_gemm_batched_kernelI19rocblas_complex_numIfELi16ELi16ELi64ELi64ELi4ELi64ELi4ELi4ELi64ELc78ELc84EKS2_S3_S2_EEvlllT_PT11_llS6_llS4_PT12_llPT13_lli
	.p2align	8
	.type	_ZN12_GLOBAL__N_127rocblas_gemm_batched_kernelI19rocblas_complex_numIfELi16ELi16ELi64ELi64ELi4ELi64ELi4ELi4ELi64ELc78ELc84EKS2_S3_S2_EEvlllT_PT11_llS6_llS4_PT12_llPT13_lli,@function
_ZN12_GLOBAL__N_127rocblas_gemm_batched_kernelI19rocblas_complex_numIfELi16ELi16ELi64ELi64ELi4ELi64ELi4ELi4ELi64ELc78ELc84EKS2_S3_S2_EEvlllT_PT11_llS6_llS4_PT12_llPT13_lli: ; @_ZN12_GLOBAL__N_127rocblas_gemm_batched_kernelI19rocblas_complex_numIfELi16ELi16ELi64ELi64ELi4ELi64ELi4ELi4ELi64ELc78ELc84EKS2_S3_S2_EEvlllT_PT11_llS6_llS4_PT12_llPT13_lli
; %bb.0:
	s_clause 0x1
	s_load_dwordx16 s[12:27], s[4:5], 0x10
	s_load_dwordx2 s[10:11], s[4:5], 0x50
	s_mov_b32 s0, s7
	v_mov_b32_e32 v40, 0
	v_mov_b32_e32 v41, 0
	;; [unrolled: 1-line block ×17, first 2 shown]
	s_waitcnt lgkmcnt(0)
	v_cmp_lt_i64_e64 s2, s[12:13], 1
	v_mov_b32_e32 v25, 0
	v_mov_b32_e32 v22, 0
	;; [unrolled: 1-line block ×15, first 2 shown]
	s_ashr_i32 s7, s6, 31
	s_ashr_i32 s1, s0, 31
	s_lshl_b64 s[28:29], s[6:7], 6
	s_and_b32 vcc_lo, exec_lo, s2
	s_lshl_b64 s[30:31], s[0:1], 6
	s_cbranch_vccnz .LBB503_3
; %bb.1:
	v_lshl_add_u32 v8, v1, 4, v0
	v_and_b32_e32 v11, 3, v0
	s_mul_i32 s1, s21, s8
	s_mul_hi_u32 s2, s20, s8
	s_mul_hi_u32 s3, s26, s8
	v_lshrrev_b32_e32 v9, 2, v8
	v_lshrrev_b32_e32 v12, 6, v8
	s_add_i32 s1, s2, s1
	v_lshlrev_b32_e32 v13, 3, v11
	s_mul_i32 s2, s27, s8
	v_add_co_u32 v2, s0, v9, s30
	v_add_co_ci_u32_e64 v3, null, 0, s31, s0
	v_mad_u64_u32 v[4:5], null, s18, v12, s[28:29]
	s_mul_i32 s0, s20, s8
	v_mad_u64_u32 v[6:7], null, s24, v11, v[2:3]
	s_lshl_b64 s[0:1], s[0:1], 3
	v_lshl_or_b32 v9, v9, 5, v13
	s_add_u32 s0, s16, s0
	v_mov_b32_e32 v2, v5
	v_and_b32_e32 v5, 63, v8
	s_addc_u32 s1, s17, s1
	v_mov_b32_e32 v3, v7
	v_mov_b32_e32 v10, 0
	v_lshlrev_b32_e32 v42, 3, v0
	v_lshl_add_u32 v43, v1, 5, 0x800
	v_add_nc_u32_e32 v45, 0x800, v9
	v_mad_u64_u32 v[7:8], null, s19, v12, v[2:3]
	v_mad_u64_u32 v[2:3], null, s25, v11, v[3:4]
	v_add_co_u32 v3, vcc_lo, v4, v5
	v_lshlrev_b32_e32 v8, 3, v5
	v_mov_b32_e32 v11, 0
	v_add_co_ci_u32_e64 v4, null, 0, v7, vcc_lo
	v_mov_b32_e32 v7, v2
	v_lshl_or_b32 v44, v12, 9, v8
	v_mov_b32_e32 v13, 0
	v_lshlrev_b64 v[2:3], 3, v[3:4]
	v_mov_b32_e32 v12, 0
	v_lshlrev_b64 v[4:5], 3, v[6:7]
	v_mov_b32_e32 v15, 0
	v_mov_b32_e32 v14, 0
	;; [unrolled: 1-line block ×3, first 2 shown]
	v_add_co_u32 v2, vcc_lo, s0, v2
	v_add_co_ci_u32_e64 v3, null, s1, v3, vcc_lo
	s_add_i32 s1, s3, s2
	s_mul_i32 s0, s26, s8
	v_mov_b32_e32 v16, 0
	s_lshl_b64 s[2:3], s[0:1], 3
	s_lshl_b64 s[0:1], s[18:19], 5
	s_add_u32 s2, s22, s2
	s_addc_u32 s3, s23, s3
	v_add_co_u32 v4, vcc_lo, s2, v4
	v_add_co_ci_u32_e64 v5, null, s3, v5, vcc_lo
	v_mov_b32_e32 v19, 0
	v_mov_b32_e32 v18, 0
	v_mov_b32_e32 v21, 0
	v_mov_b32_e32 v20, 0
	v_mov_b32_e32 v23, 0
	v_mov_b32_e32 v22, 0
	v_mov_b32_e32 v25, 0
	v_mov_b32_e32 v24, 0
	v_mov_b32_e32 v27, 0
	v_mov_b32_e32 v26, 0
	v_mov_b32_e32 v29, 0
	v_mov_b32_e32 v28, 0
	v_mov_b32_e32 v31, 0
	v_mov_b32_e32 v30, 0
	v_mov_b32_e32 v33, 0
	v_mov_b32_e32 v32, 0
	v_mov_b32_e32 v35, 0
	v_mov_b32_e32 v34, 0
	v_mov_b32_e32 v37, 0
	v_mov_b32_e32 v36, 0
	v_mov_b32_e32 v39, 0
	v_mov_b32_e32 v38, 0
	v_mov_b32_e32 v41, 0
	v_mov_b32_e32 v40, 0
	s_lshl_b64 s[2:3], s[24:25], 5
	s_mov_b64 s[6:7], 0
.LBB503_2:                              ; =>This Inner Loop Header: Depth=1
	global_load_dwordx2 v[6:7], v[2:3], off
	global_load_dwordx2 v[8:9], v[4:5], off
	s_add_u32 s6, s6, 4
	s_addc_u32 s7, s7, 0
	v_add_co_u32 v2, vcc_lo, v2, s0
	v_cmp_lt_i64_e64 s9, s[6:7], s[12:13]
	v_add_co_ci_u32_e64 v3, null, s1, v3, vcc_lo
	v_add_co_u32 v4, vcc_lo, v4, s2
	v_add_co_ci_u32_e64 v5, null, s3, v5, vcc_lo
	s_and_b32 vcc_lo, exec_lo, s9
	s_waitcnt vmcnt(1)
	ds_write_b64 v44, v[6:7]
	s_waitcnt vmcnt(0)
	ds_write_b64 v45, v[8:9]
	s_waitcnt lgkmcnt(0)
	s_barrier
	buffer_gl0_inv
	ds_read_b128 v[6:9], v43
	ds_read2_b64 v[46:49], v42 offset1:16
	ds_read_b128 v[50:53], v43 offset:512
	ds_read_b128 v[54:57], v43 offset:16
	ds_read_b128 v[58:61], v43 offset:528
	ds_read_b128 v[62:65], v43 offset:1024
	ds_read_b128 v[66:69], v43 offset:1040
	ds_read_b128 v[70:73], v43 offset:1536
	ds_read_b128 v[74:77], v43 offset:1552
	ds_read2_b64 v[78:81], v42 offset0:32 offset1:48
	ds_read2_b64 v[82:85], v42 offset0:64 offset1:80
	;; [unrolled: 1-line block ×7, first 2 shown]
	s_waitcnt lgkmcnt(0)
	s_barrier
	buffer_gl0_inv
	v_mul_f32_e32 v106, v7, v47
	v_mul_f32_e32 v107, v6, v47
	;; [unrolled: 1-line block ×64, first 2 shown]
	v_fma_f32 v106, v6, v46, -v106
	v_fmac_f32_e32 v107, v7, v46
	v_fma_f32 v108, v6, v48, -v108
	v_fmac_f32_e32 v109, v7, v48
	;; [unrolled: 2-line block ×16, first 2 shown]
	v_mul_f32_e32 v162, v55, v91
	v_mul_f32_e32 v163, v54, v91
	;; [unrolled: 1-line block ×28, first 2 shown]
	v_fma_f32 v124, v8, v82, -v134
	v_fmac_f32_e32 v135, v9, v82
	v_fma_f32 v126, v8, v84, -v136
	v_fmac_f32_e32 v137, v9, v84
	;; [unrolled: 2-line block ×4, first 2 shown]
	v_mul_f32_e32 v9, v75, v95
	v_mul_f32_e32 v95, v74, v95
	;; [unrolled: 1-line block ×4, first 2 shown]
	v_fma_f32 v132, v52, v82, -v142
	v_fmac_f32_e32 v143, v53, v82
	v_fma_f32 v133, v52, v84, -v144
	v_fmac_f32_e32 v145, v53, v84
	v_fma_f32 v134, v52, v86, -v146
	v_fmac_f32_e32 v147, v53, v86
	v_fma_f32 v52, v52, v88, -v148
	v_fmac_f32_e32 v149, v53, v88
	v_mul_f32_e32 v136, v56, v99
	v_mul_f32_e32 v140, v56, v101
	v_fma_f32 v142, v64, v82, -v150
	v_fmac_f32_e32 v151, v65, v82
	v_fma_f32 v144, v64, v84, -v152
	v_fmac_f32_e32 v153, v65, v84
	;; [unrolled: 2-line block ×4, first 2 shown]
	v_mul_f32_e32 v148, v56, v103
	v_mul_f32_e32 v152, v56, v105
	v_fma_f32 v154, v72, v82, -v158
	v_fmac_f32_e32 v83, v73, v82
	v_fma_f32 v82, v72, v84, -v159
	v_fmac_f32_e32 v85, v73, v84
	;; [unrolled: 2-line block ×4, first 2 shown]
	v_add_f32_e32 v40, v40, v106
	v_add_f32_e32 v41, v41, v107
	;; [unrolled: 1-line block ×32, first 2 shown]
	v_mul_f32_e32 v53, v57, v99
	v_mul_f32_e32 v138, v57, v101
	v_mul_f32_e32 v65, v57, v103
	v_mul_f32_e32 v150, v57, v105
	v_mul_f32_e32 v84, v61, v99
	v_mul_f32_e32 v156, v60, v99
	v_mul_f32_e32 v158, v61, v101
	v_mul_f32_e32 v159, v60, v101
	v_mul_f32_e32 v73, v61, v103
	v_mul_f32_e32 v86, v60, v103
	v_mul_f32_e32 v88, v61, v105
	v_mul_f32_e32 v161, v60, v105
	v_mul_f32_e32 v182, v69, v99
	v_mul_f32_e32 v183, v68, v99
	v_mul_f32_e32 v184, v69, v101
	v_mul_f32_e32 v185, v68, v101
	v_fma_f32 v162, v54, v90, -v162
	v_fmac_f32_e32 v163, v55, v90
	v_fma_f32 v164, v54, v92, -v164
	v_fmac_f32_e32 v165, v55, v92
	;; [unrolled: 2-line block ×8, first 2 shown]
	v_mul_f32_e32 v92, v69, v103
	v_mul_f32_e32 v175, v68, v103
	;; [unrolled: 1-line block ×4, first 2 shown]
	v_fma_f32 v176, v54, v94, -v176
	v_fmac_f32_e32 v177, v55, v94
	v_fma_f32 v54, v54, v96, -v178
	v_fmac_f32_e32 v179, v55, v96
	;; [unrolled: 2-line block ×8, first 2 shown]
	v_mul_f32_e32 v67, v77, v99
	v_mul_f32_e32 v71, v76, v99
	v_mul_f32_e32 v74, v77, v101
	v_mul_f32_e32 v75, v76, v101
	v_fmac_f32_e32 v136, v57, v98
	v_fmac_f32_e32 v140, v57, v100
	;; [unrolled: 1-line block ×4, first 2 shown]
	v_mul_f32_e32 v57, v77, v103
	v_mul_f32_e32 v94, v76, v103
	;; [unrolled: 1-line block ×4, first 2 shown]
	v_add_f32_e32 v29, v40, v124
	v_add_f32_e32 v35, v41, v135
	v_add_f32_e32 v38, v38, v126
	v_add_f32_e32 v39, v39, v137
	v_add_f32_e32 v36, v36, v128
	v_add_f32_e32 v37, v37, v139
	v_add_f32_e32 v6, v6, v8
	v_add_f32_e32 v8, v34, v141
	v_add_f32_e32 v32, v32, v132
	v_add_f32_e32 v33, v33, v143
	v_add_f32_e32 v30, v30, v133
	v_add_f32_e32 v31, v31, v145
	v_add_f32_e32 v7, v7, v134
	v_add_f32_e32 v28, v28, v147
	v_add_f32_e32 v26, v26, v52
	v_add_f32_e32 v27, v27, v149
	v_add_f32_e32 v24, v24, v142
	v_add_f32_e32 v25, v25, v151
	v_add_f32_e32 v22, v22, v144
	v_add_f32_e32 v23, v23, v153
	v_add_f32_e32 v20, v20, v146
	v_add_f32_e32 v21, v21, v155
	v_add_f32_e32 v18, v18, v64
	v_add_f32_e32 v19, v19, v157
	v_add_f32_e32 v16, v16, v154
	v_add_f32_e32 v17, v17, v83
	v_add_f32_e32 v14, v14, v82
	v_add_f32_e32 v15, v15, v85
	v_add_f32_e32 v12, v12, v160
	v_add_f32_e32 v13, v13, v87
	v_add_f32_e32 v11, v11, v72
	v_add_f32_e32 v10, v10, v89
	v_fma_f32 v53, v56, v98, -v53
	v_fma_f32 v80, v56, v100, -v138
	v_fma_f32 v65, v56, v102, -v65
	v_fma_f32 v56, v56, v104, -v150
	v_fma_f32 v84, v60, v98, -v84
	v_fmac_f32_e32 v156, v61, v98
	v_fma_f32 v101, v60, v100, -v158
	v_fmac_f32_e32 v159, v61, v100
	v_fma_f32 v73, v60, v102, -v73
	;; [unrolled: 2-line block ×11, first 2 shown]
	v_fmac_f32_e32 v99, v77, v104
	v_add_f32_e32 v29, v29, v162
	v_add_f32_e32 v34, v35, v163
	;; [unrolled: 1-line block ×64, first 2 shown]
	s_cbranch_vccnz .LBB503_2
.LBB503_3:
	s_clause 0x1
	s_load_dwordx4 s[16:19], s[4:5], 0x78
	s_load_dwordx8 s[0:7], s[4:5], 0x58
	s_waitcnt lgkmcnt(0)
	s_mul_i32 s9, s19, s8
	s_mul_hi_u32 s13, s18, s8
	s_mul_i32 s12, s18, s8
	s_add_i32 s13, s13, s9
	s_lshl_b64 s[12:13], s[12:13], 3
	s_add_u32 s9, s6, s12
	s_addc_u32 s12, s7, s13
	v_add_co_u32 v4, s7, s30, v1
	v_add_co_ci_u32_e64 v5, null, s31, 0, s7
	v_add_co_u32 v0, s7, s28, v0
	s_or_b32 s6, s10, s11
	v_add_co_ci_u32_e64 v1, null, s29, 0, s7
	s_bitset0_b32 s6, 31
	s_mov_b32 s13, 0
	s_cmp_lg_u32 s6, 0
	s_cbranch_scc1 .LBB503_5
; %bb.4:
	v_mul_lo_u32 v6, v5, s16
	v_mul_lo_u32 v8, v4, s17
	v_mad_u64_u32 v[2:3], null, v4, s16, 0
	v_mul_f32_e32 v42, s15, v41
	v_mul_f32_e32 v7, s14, v41
	;; [unrolled: 1-line block ×6, first 2 shown]
	v_add3_u32 v3, v3, v8, v6
	v_lshlrev_b64 v[8:9], 3, v[0:1]
	v_mul_f32_e32 v48, s15, v35
	v_mul_f32_e32 v47, s14, v35
	v_fma_f32 v6, v40, s14, -v42
	v_lshlrev_b64 v[2:3], 3, v[2:3]
	v_fmac_f32_e32 v7, s15, v40
	v_fma_f32 v42, v38, s14, -v44
	v_fmac_f32_e32 v43, s15, v38
	s_lshl_b64 s[6:7], s[16:17], 7
	v_fma_f32 v44, v36, s14, -v46
	v_add_co_u32 v49, vcc_lo, s9, v2
	v_add_co_ci_u32_e64 v50, null, s12, v3, vcc_lo
	v_fmac_f32_e32 v45, s15, v36
	v_add_co_u32 v2, vcc_lo, v49, v8
	v_add_co_ci_u32_e64 v3, null, v50, v9, vcc_lo
	v_fma_f32 v46, v34, s14, -v48
	v_fmac_f32_e32 v47, s15, v34
	v_add_co_u32 v48, vcc_lo, v49, s6
	global_store_dwordx2 v[2:3], v[6:7], off
	global_store_dwordx2 v[2:3], v[42:43], off offset:128
	global_store_dwordx2 v[2:3], v[44:45], off offset:256
	;; [unrolled: 1-line block ×3, first 2 shown]
	v_mul_f32_e32 v2, s15, v33
	v_mul_f32_e32 v3, s14, v33
	v_add_co_ci_u32_e64 v49, null, s7, v50, vcc_lo
	v_mul_f32_e32 v6, s15, v31
	v_mul_f32_e32 v7, s14, v31
	;; [unrolled: 1-line block ×4, first 2 shown]
	v_add_co_u32 v44, vcc_lo, v48, v8
	v_fma_f32 v2, v32, s14, -v2
	v_fmac_f32_e32 v3, s15, v32
	v_add_co_ci_u32_e64 v45, null, v49, v9, vcc_lo
	v_fma_f32 v6, v30, s14, -v6
	v_fmac_f32_e32 v7, s15, v30
	v_fma_f32 v42, v28, s14, -v42
	v_fmac_f32_e32 v43, s15, v28
	v_add_co_u32 v52, vcc_lo, v48, s6
	v_mul_f32_e32 v46, s15, v27
	v_mul_f32_e32 v47, s14, v27
	global_store_dwordx2 v[44:45], v[2:3], off
	global_store_dwordx2 v[44:45], v[6:7], off offset:128
	global_store_dwordx2 v[44:45], v[42:43], off offset:256
	v_mul_f32_e32 v2, s15, v25
	v_mul_f32_e32 v3, s14, v25
	v_add_co_ci_u32_e64 v53, null, s7, v49, vcc_lo
	v_mul_f32_e32 v42, s15, v23
	v_mul_f32_e32 v43, s14, v23
	;; [unrolled: 1-line block ×4, first 2 shown]
	v_add_co_u32 v6, vcc_lo, v52, v8
	v_mul_f32_e32 v50, s15, v19
	v_mul_f32_e32 v51, s14, v19
	v_fma_f32 v46, v26, s14, -v46
	v_fmac_f32_e32 v47, s15, v26
	v_fma_f32 v2, v24, s14, -v2
	v_fmac_f32_e32 v3, s15, v24
	v_add_co_ci_u32_e64 v7, null, v53, v9, vcc_lo
	v_fma_f32 v42, v22, s14, -v42
	v_fmac_f32_e32 v43, s15, v22
	v_fma_f32 v48, v20, s14, -v48
	v_fmac_f32_e32 v49, s15, v20
	;; [unrolled: 2-line block ×3, first 2 shown]
	global_store_dwordx2 v[44:45], v[46:47], off offset:384
	global_store_dwordx2 v[6:7], v[2:3], off
	global_store_dwordx2 v[6:7], v[42:43], off offset:128
	global_store_dwordx2 v[6:7], v[48:49], off offset:256
	;; [unrolled: 1-line block ×3, first 2 shown]
	v_mul_f32_e32 v2, s15, v17
	v_add_co_u32 v3, vcc_lo, v52, s6
	v_add_co_ci_u32_e64 v6, null, s7, v53, vcc_lo
	v_fma_f32 v42, v16, s14, -v2
	v_mul_f32_e32 v2, s15, v15
	v_add_co_u32 v7, vcc_lo, v3, v8
	v_mul_f32_e32 v43, s14, v17
	v_add_co_ci_u32_e64 v8, null, v6, v9, vcc_lo
	v_fma_f32 v44, v14, s14, -v2
	v_mul_f32_e32 v2, s15, v13
	v_mul_f32_e32 v3, s15, v10
	;; [unrolled: 1-line block ×5, first 2 shown]
	v_fma_f32 v46, v12, s14, -v2
	v_add_co_u32 v2, vcc_lo, 0x180, v7
	v_fmac_f32_e32 v43, s15, v16
	v_fma_f32 v9, v11, s14, -v3
	v_fmac_f32_e32 v6, s15, v11
	v_add_co_ci_u32_e64 v3, null, 0, v8, vcc_lo
	v_fmac_f32_e32 v45, s15, v14
	v_fmac_f32_e32 v47, s15, v12
	global_store_dwordx2 v[7:8], v[42:43], off
	global_store_dwordx2 v[7:8], v[44:45], off offset:128
	global_store_dwordx2 v[7:8], v[46:47], off offset:256
	global_store_dword v[7:8], v9, off offset:384
	s_andn2_b32 vcc_lo, exec_lo, s13
	s_cbranch_vccz .LBB503_6
	s_branch .LBB503_7
.LBB503_5:
                                        ; implicit-def: $vgpr6
                                        ; implicit-def: $vgpr2_vgpr3
.LBB503_6:
	v_mul_lo_u32 v6, v5, s2
	v_mul_lo_u32 v7, v4, s3
	v_mad_u64_u32 v[2:3], null, v4, s2, 0
	s_mul_i32 s5, s5, s8
	s_mul_hi_u32 s6, s4, s8
	s_mul_i32 s4, s4, s8
	s_add_i32 s5, s6, s5
	v_lshlrev_b64 v[0:1], 3, v[0:1]
	s_lshl_b64 s[4:5], s[4:5], 3
	v_add3_u32 v3, v3, v7, v6
	s_add_u32 s0, s0, s4
	s_addc_u32 s1, s1, s5
	v_mul_lo_u32 v42, v5, s16
	v_mul_lo_u32 v43, v4, s17
	v_lshlrev_b64 v[2:3], 3, v[2:3]
	v_mad_u64_u32 v[4:5], null, v4, s16, 0
	v_add_co_u32 v8, vcc_lo, s0, v2
	v_add_co_ci_u32_e64 v9, null, s1, v3, vcc_lo
	v_add3_u32 v5, v5, v43, v42
	v_add_co_u32 v2, vcc_lo, v8, v0
	v_add_co_ci_u32_e64 v3, null, v9, v1, vcc_lo
	v_mul_f32_e32 v42, s15, v41
	v_mul_f32_e32 v41, s14, v41
	v_lshlrev_b64 v[4:5], 3, v[4:5]
	global_load_dwordx2 v[6:7], v[2:3], off
	s_lshl_b64 s[0:1], s[2:3], 7
	v_fma_f32 v42, v40, s14, -v42
	v_fmac_f32_e32 v41, s15, v40
	s_lshl_b64 s[2:3], s[16:17], 7
	v_add_co_u32 v43, vcc_lo, s9, v4
	v_add_co_ci_u32_e64 v44, null, s12, v5, vcc_lo
	v_add_co_u32 v4, vcc_lo, v43, v0
	v_add_co_ci_u32_e64 v5, null, v44, v1, vcc_lo
	v_add_co_u32 v8, vcc_lo, v8, s0
	v_add_co_ci_u32_e64 v9, null, s1, v9, vcc_lo
	s_waitcnt vmcnt(0)
	v_mul_f32_e32 v40, s11, v7
	v_mul_f32_e32 v7, s10, v7
	v_fma_f32 v40, v6, s10, -v40
	v_fmac_f32_e32 v7, s11, v6
	v_add_f32_e32 v6, v42, v40
	v_add_f32_e32 v7, v41, v7
	v_mul_f32_e32 v40, s15, v39
	v_mul_f32_e32 v39, s14, v39
	global_store_dwordx2 v[4:5], v[6:7], off
	global_load_dwordx2 v[6:7], v[2:3], off offset:128
	v_fma_f32 v40, v38, s14, -v40
	v_fmac_f32_e32 v39, s15, v38
	s_waitcnt vmcnt(0)
	v_mul_f32_e32 v41, s11, v7
	v_mul_f32_e32 v7, s10, v7
	v_fma_f32 v38, v6, s10, -v41
	v_fmac_f32_e32 v7, s11, v6
	v_add_f32_e32 v6, v40, v38
	v_add_f32_e32 v7, v39, v7
	v_mul_f32_e32 v38, s15, v37
	v_mul_f32_e32 v37, s14, v37
	global_store_dwordx2 v[4:5], v[6:7], off offset:128
	global_load_dwordx2 v[6:7], v[2:3], off offset:256
	v_fma_f32 v38, v36, s14, -v38
	v_fmac_f32_e32 v37, s15, v36
	s_waitcnt vmcnt(0)
	v_mul_f32_e32 v39, s11, v7
	v_mul_f32_e32 v7, s10, v7
	v_fma_f32 v36, v6, s10, -v39
	v_fmac_f32_e32 v7, s11, v6
	v_add_f32_e32 v6, v38, v36
	v_add_f32_e32 v7, v37, v7
	global_store_dwordx2 v[4:5], v[6:7], off offset:256
	global_load_dwordx2 v[2:3], v[2:3], off offset:384
	v_mul_f32_e32 v6, s15, v35
	v_mul_f32_e32 v7, s14, v35
	v_fma_f32 v6, v34, s14, -v6
	v_fmac_f32_e32 v7, s15, v34
	s_waitcnt vmcnt(0)
	v_mul_f32_e32 v35, s11, v3
	v_mul_f32_e32 v3, s10, v3
	v_fma_f32 v34, v2, s10, -v35
	v_fmac_f32_e32 v3, s11, v2
	v_add_f32_e32 v2, v6, v34
	v_add_co_u32 v6, vcc_lo, v8, v0
	v_add_f32_e32 v3, v7, v3
	v_add_co_ci_u32_e64 v7, null, v9, v1, vcc_lo
	v_add_co_u32 v34, vcc_lo, v43, s2
	global_store_dwordx2 v[4:5], v[2:3], off offset:384
	global_load_dwordx2 v[2:3], v[6:7], off
	v_mul_f32_e32 v4, s15, v33
	v_mul_f32_e32 v5, s14, v33
	v_add_co_ci_u32_e64 v35, null, s3, v44, vcc_lo
	v_fma_f32 v4, v32, s14, -v4
	v_fmac_f32_e32 v5, s15, v32
	s_waitcnt vmcnt(0)
	v_mul_f32_e32 v32, s11, v3
	v_mul_f32_e32 v33, s10, v3
	v_fma_f32 v32, v2, s10, -v32
	v_fmac_f32_e32 v33, s11, v2
	v_add_co_u32 v2, vcc_lo, v34, v0
	v_add_co_ci_u32_e64 v3, null, v35, v1, vcc_lo
	v_add_f32_e32 v4, v4, v32
	v_add_f32_e32 v5, v5, v33
	v_mul_f32_e32 v32, s15, v31
	v_mul_f32_e32 v31, s14, v31
	v_add_co_u32 v8, vcc_lo, v8, s0
	global_store_dwordx2 v[2:3], v[4:5], off
	global_load_dwordx2 v[4:5], v[6:7], off offset:128
	v_fma_f32 v32, v30, s14, -v32
	v_fmac_f32_e32 v31, s15, v30
	v_add_co_ci_u32_e64 v9, null, s1, v9, vcc_lo
	s_waitcnt vmcnt(0)
	v_mul_f32_e32 v33, s11, v5
	v_mul_f32_e32 v5, s10, v5
	v_fma_f32 v30, v4, s10, -v33
	v_fmac_f32_e32 v5, s11, v4
	v_add_f32_e32 v4, v32, v30
	v_add_f32_e32 v5, v31, v5
	v_mul_f32_e32 v30, s15, v29
	v_mul_f32_e32 v29, s14, v29
	global_store_dwordx2 v[2:3], v[4:5], off offset:128
	global_load_dwordx2 v[4:5], v[6:7], off offset:256
	v_fma_f32 v30, v28, s14, -v30
	v_fmac_f32_e32 v29, s15, v28
	s_waitcnt vmcnt(0)
	v_mul_f32_e32 v31, s11, v5
	v_mul_f32_e32 v5, s10, v5
	v_fma_f32 v28, v4, s10, -v31
	v_fmac_f32_e32 v5, s11, v4
	v_add_f32_e32 v4, v30, v28
	v_add_f32_e32 v5, v29, v5
	global_store_dwordx2 v[2:3], v[4:5], off offset:256
	global_load_dwordx2 v[4:5], v[6:7], off offset:384
	v_mul_f32_e32 v6, s15, v27
	v_mul_f32_e32 v7, s14, v27
	v_fma_f32 v6, v26, s14, -v6
	v_fmac_f32_e32 v7, s15, v26
	s_waitcnt vmcnt(0)
	v_mul_f32_e32 v27, s11, v5
	v_mul_f32_e32 v5, s10, v5
	v_fma_f32 v26, v4, s10, -v27
	v_fmac_f32_e32 v5, s11, v4
	v_add_f32_e32 v4, v6, v26
	v_add_co_u32 v6, vcc_lo, v8, v0
	v_add_f32_e32 v5, v7, v5
	v_add_co_ci_u32_e64 v7, null, v9, v1, vcc_lo
	v_add_co_u32 v26, vcc_lo, v34, s2
	global_store_dwordx2 v[2:3], v[4:5], off offset:384
	global_load_dwordx2 v[2:3], v[6:7], off
	v_mul_f32_e32 v4, s15, v25
	v_mul_f32_e32 v5, s14, v25
	v_add_co_ci_u32_e64 v27, null, s3, v35, vcc_lo
	v_fma_f32 v4, v24, s14, -v4
	v_fmac_f32_e32 v5, s15, v24
	s_waitcnt vmcnt(0)
	v_mul_f32_e32 v24, s11, v3
	v_mul_f32_e32 v25, s10, v3
	v_fma_f32 v24, v2, s10, -v24
	v_fmac_f32_e32 v25, s11, v2
	v_add_co_u32 v2, vcc_lo, v26, v0
	v_add_co_ci_u32_e64 v3, null, v27, v1, vcc_lo
	v_add_f32_e32 v4, v4, v24
	v_add_f32_e32 v5, v5, v25
	v_mul_f32_e32 v24, s15, v23
	v_mul_f32_e32 v23, s14, v23
	v_add_co_u32 v8, vcc_lo, v8, s0
	global_store_dwordx2 v[2:3], v[4:5], off
	global_load_dwordx2 v[4:5], v[6:7], off offset:128
	v_fma_f32 v24, v22, s14, -v24
	v_fmac_f32_e32 v23, s15, v22
	v_add_co_ci_u32_e64 v9, null, s1, v9, vcc_lo
	s_waitcnt vmcnt(0)
	v_mul_f32_e32 v25, s11, v5
	v_mul_f32_e32 v5, s10, v5
	v_fma_f32 v22, v4, s10, -v25
	v_fmac_f32_e32 v5, s11, v4
	v_add_f32_e32 v4, v24, v22
	v_add_f32_e32 v5, v23, v5
	v_mul_f32_e32 v22, s15, v21
	v_mul_f32_e32 v21, s14, v21
	global_store_dwordx2 v[2:3], v[4:5], off offset:128
	global_load_dwordx2 v[4:5], v[6:7], off offset:256
	v_fma_f32 v22, v20, s14, -v22
	v_fmac_f32_e32 v21, s15, v20
	s_waitcnt vmcnt(0)
	v_mul_f32_e32 v23, s11, v5
	v_mul_f32_e32 v5, s10, v5
	v_fma_f32 v20, v4, s10, -v23
	v_fmac_f32_e32 v5, s11, v4
	v_add_f32_e32 v4, v22, v20
	v_add_f32_e32 v5, v21, v5
	global_store_dwordx2 v[2:3], v[4:5], off offset:256
	global_load_dwordx2 v[4:5], v[6:7], off offset:384
	v_mul_f32_e32 v6, s15, v19
	v_mul_f32_e32 v7, s14, v19
	v_fma_f32 v6, v18, s14, -v6
	v_fmac_f32_e32 v7, s15, v18
	s_waitcnt vmcnt(0)
	v_mul_f32_e32 v19, s11, v5
	v_mul_f32_e32 v5, s10, v5
	v_fma_f32 v18, v4, s10, -v19
	v_fmac_f32_e32 v5, s11, v4
	v_add_f32_e32 v4, v6, v18
	v_add_co_u32 v6, vcc_lo, v8, v0
	v_add_f32_e32 v5, v7, v5
	v_add_co_ci_u32_e64 v7, null, v9, v1, vcc_lo
	v_add_co_u32 v9, vcc_lo, v26, s2
	global_store_dwordx2 v[2:3], v[4:5], off offset:384
	global_load_dwordx2 v[2:3], v[6:7], off
	v_mul_f32_e32 v4, s15, v17
	v_mul_f32_e32 v5, s14, v17
	v_fma_f32 v4, v16, s14, -v4
	v_fmac_f32_e32 v5, s15, v16
	v_add_co_ci_u32_e64 v16, null, s3, v27, vcc_lo
	v_add_co_u32 v0, vcc_lo, v9, v0
	v_add_co_ci_u32_e64 v1, null, v16, v1, vcc_lo
	s_waitcnt vmcnt(0)
	v_mul_f32_e32 v8, s11, v3
	v_mul_f32_e32 v3, s10, v3
	v_fma_f32 v8, v2, s10, -v8
	v_fmac_f32_e32 v3, s11, v2
	v_add_f32_e32 v2, v4, v8
	v_add_f32_e32 v3, v5, v3
	v_mul_f32_e32 v4, s15, v15
	v_mul_f32_e32 v5, s14, v15
	global_store_dwordx2 v[0:1], v[2:3], off
	global_load_dwordx2 v[2:3], v[6:7], off offset:128
	v_fma_f32 v4, v14, s14, -v4
	v_fmac_f32_e32 v5, s15, v14
	s_waitcnt vmcnt(0)
	v_mul_f32_e32 v8, s11, v3
	v_mul_f32_e32 v3, s10, v3
	v_fma_f32 v8, v2, s10, -v8
	v_fmac_f32_e32 v3, s11, v2
	v_add_f32_e32 v2, v4, v8
	v_add_f32_e32 v3, v5, v3
	v_mul_f32_e32 v4, s15, v13
	v_mul_f32_e32 v5, s14, v13
	global_store_dwordx2 v[0:1], v[2:3], off offset:128
	global_load_dwordx2 v[2:3], v[6:7], off offset:256
	v_fma_f32 v4, v12, s14, -v4
	v_fmac_f32_e32 v5, s15, v12
	s_waitcnt vmcnt(0)
	v_mul_f32_e32 v8, s11, v3
	v_mul_f32_e32 v3, s10, v3
	v_fma_f32 v8, v2, s10, -v8
	v_fmac_f32_e32 v3, s11, v2
	v_add_f32_e32 v2, v4, v8
	v_add_f32_e32 v3, v5, v3
	v_mul_f32_e32 v4, s15, v10
	v_mul_f32_e32 v5, s14, v10
	global_store_dwordx2 v[0:1], v[2:3], off offset:256
	global_load_dwordx2 v[2:3], v[6:7], off offset:384
	v_fma_f32 v4, v11, s14, -v4
	v_fmac_f32_e32 v5, s15, v11
	s_waitcnt vmcnt(0)
	v_mul_f32_e32 v6, s11, v3
	v_mul_f32_e32 v3, s10, v3
	v_fma_f32 v6, v2, s10, -v6
	v_fmac_f32_e32 v3, s11, v2
	v_add_co_u32 v2, vcc_lo, 0x180, v0
	v_add_f32_e32 v4, v4, v6
	v_add_f32_e32 v6, v5, v3
	v_add_co_ci_u32_e64 v3, null, 0, v1, vcc_lo
	global_store_dword v[0:1], v4, off offset:384
.LBB503_7:
	global_store_dword v[2:3], v6, off offset:4
	s_endpgm
	.section	.rodata,"a",@progbits
	.p2align	6, 0x0
	.amdhsa_kernel _ZN12_GLOBAL__N_127rocblas_gemm_batched_kernelI19rocblas_complex_numIfELi16ELi16ELi64ELi64ELi4ELi64ELi4ELi4ELi64ELc78ELc84EKS2_S3_S2_EEvlllT_PT11_llS6_llS4_PT12_llPT13_lli
		.amdhsa_group_segment_fixed_size 4096
		.amdhsa_private_segment_fixed_size 0
		.amdhsa_kernarg_size 140
		.amdhsa_user_sgpr_count 6
		.amdhsa_user_sgpr_private_segment_buffer 1
		.amdhsa_user_sgpr_dispatch_ptr 0
		.amdhsa_user_sgpr_queue_ptr 0
		.amdhsa_user_sgpr_kernarg_segment_ptr 1
		.amdhsa_user_sgpr_dispatch_id 0
		.amdhsa_user_sgpr_flat_scratch_init 0
		.amdhsa_user_sgpr_private_segment_size 0
		.amdhsa_wavefront_size32 1
		.amdhsa_uses_dynamic_stack 0
		.amdhsa_system_sgpr_private_segment_wavefront_offset 0
		.amdhsa_system_sgpr_workgroup_id_x 1
		.amdhsa_system_sgpr_workgroup_id_y 1
		.amdhsa_system_sgpr_workgroup_id_z 1
		.amdhsa_system_sgpr_workgroup_info 0
		.amdhsa_system_vgpr_workitem_id 1
		.amdhsa_next_free_vgpr 188
		.amdhsa_next_free_sgpr 32
		.amdhsa_reserve_vcc 1
		.amdhsa_reserve_flat_scratch 0
		.amdhsa_float_round_mode_32 0
		.amdhsa_float_round_mode_16_64 0
		.amdhsa_float_denorm_mode_32 3
		.amdhsa_float_denorm_mode_16_64 3
		.amdhsa_dx10_clamp 1
		.amdhsa_ieee_mode 1
		.amdhsa_fp16_overflow 0
		.amdhsa_workgroup_processor_mode 1
		.amdhsa_memory_ordered 1
		.amdhsa_forward_progress 1
		.amdhsa_shared_vgpr_count 0
		.amdhsa_exception_fp_ieee_invalid_op 0
		.amdhsa_exception_fp_denorm_src 0
		.amdhsa_exception_fp_ieee_div_zero 0
		.amdhsa_exception_fp_ieee_overflow 0
		.amdhsa_exception_fp_ieee_underflow 0
		.amdhsa_exception_fp_ieee_inexact 0
		.amdhsa_exception_int_div_zero 0
	.end_amdhsa_kernel
	.section	.text._ZN12_GLOBAL__N_127rocblas_gemm_batched_kernelI19rocblas_complex_numIfELi16ELi16ELi64ELi64ELi4ELi64ELi4ELi4ELi64ELc78ELc84EKS2_S3_S2_EEvlllT_PT11_llS6_llS4_PT12_llPT13_lli,"axG",@progbits,_ZN12_GLOBAL__N_127rocblas_gemm_batched_kernelI19rocblas_complex_numIfELi16ELi16ELi64ELi64ELi4ELi64ELi4ELi4ELi64ELc78ELc84EKS2_S3_S2_EEvlllT_PT11_llS6_llS4_PT12_llPT13_lli,comdat
.Lfunc_end503:
	.size	_ZN12_GLOBAL__N_127rocblas_gemm_batched_kernelI19rocblas_complex_numIfELi16ELi16ELi64ELi64ELi4ELi64ELi4ELi4ELi64ELc78ELc84EKS2_S3_S2_EEvlllT_PT11_llS6_llS4_PT12_llPT13_lli, .Lfunc_end503-_ZN12_GLOBAL__N_127rocblas_gemm_batched_kernelI19rocblas_complex_numIfELi16ELi16ELi64ELi64ELi4ELi64ELi4ELi4ELi64ELc78ELc84EKS2_S3_S2_EEvlllT_PT11_llS6_llS4_PT12_llPT13_lli
                                        ; -- End function
	.set _ZN12_GLOBAL__N_127rocblas_gemm_batched_kernelI19rocblas_complex_numIfELi16ELi16ELi64ELi64ELi4ELi64ELi4ELi4ELi64ELc78ELc84EKS2_S3_S2_EEvlllT_PT11_llS6_llS4_PT12_llPT13_lli.num_vgpr, 188
	.set _ZN12_GLOBAL__N_127rocblas_gemm_batched_kernelI19rocblas_complex_numIfELi16ELi16ELi64ELi64ELi4ELi64ELi4ELi4ELi64ELc78ELc84EKS2_S3_S2_EEvlllT_PT11_llS6_llS4_PT12_llPT13_lli.num_agpr, 0
	.set _ZN12_GLOBAL__N_127rocblas_gemm_batched_kernelI19rocblas_complex_numIfELi16ELi16ELi64ELi64ELi4ELi64ELi4ELi4ELi64ELc78ELc84EKS2_S3_S2_EEvlllT_PT11_llS6_llS4_PT12_llPT13_lli.numbered_sgpr, 32
	.set _ZN12_GLOBAL__N_127rocblas_gemm_batched_kernelI19rocblas_complex_numIfELi16ELi16ELi64ELi64ELi4ELi64ELi4ELi4ELi64ELc78ELc84EKS2_S3_S2_EEvlllT_PT11_llS6_llS4_PT12_llPT13_lli.num_named_barrier, 0
	.set _ZN12_GLOBAL__N_127rocblas_gemm_batched_kernelI19rocblas_complex_numIfELi16ELi16ELi64ELi64ELi4ELi64ELi4ELi4ELi64ELc78ELc84EKS2_S3_S2_EEvlllT_PT11_llS6_llS4_PT12_llPT13_lli.private_seg_size, 0
	.set _ZN12_GLOBAL__N_127rocblas_gemm_batched_kernelI19rocblas_complex_numIfELi16ELi16ELi64ELi64ELi4ELi64ELi4ELi4ELi64ELc78ELc84EKS2_S3_S2_EEvlllT_PT11_llS6_llS4_PT12_llPT13_lli.uses_vcc, 1
	.set _ZN12_GLOBAL__N_127rocblas_gemm_batched_kernelI19rocblas_complex_numIfELi16ELi16ELi64ELi64ELi4ELi64ELi4ELi4ELi64ELc78ELc84EKS2_S3_S2_EEvlllT_PT11_llS6_llS4_PT12_llPT13_lli.uses_flat_scratch, 0
	.set _ZN12_GLOBAL__N_127rocblas_gemm_batched_kernelI19rocblas_complex_numIfELi16ELi16ELi64ELi64ELi4ELi64ELi4ELi4ELi64ELc78ELc84EKS2_S3_S2_EEvlllT_PT11_llS6_llS4_PT12_llPT13_lli.has_dyn_sized_stack, 0
	.set _ZN12_GLOBAL__N_127rocblas_gemm_batched_kernelI19rocblas_complex_numIfELi16ELi16ELi64ELi64ELi4ELi64ELi4ELi4ELi64ELc78ELc84EKS2_S3_S2_EEvlllT_PT11_llS6_llS4_PT12_llPT13_lli.has_recursion, 0
	.set _ZN12_GLOBAL__N_127rocblas_gemm_batched_kernelI19rocblas_complex_numIfELi16ELi16ELi64ELi64ELi4ELi64ELi4ELi4ELi64ELc78ELc84EKS2_S3_S2_EEvlllT_PT11_llS6_llS4_PT12_llPT13_lli.has_indirect_call, 0
	.section	.AMDGPU.csdata,"",@progbits
; Kernel info:
; codeLenInByte = 4892
; TotalNumSgprs: 34
; NumVgprs: 188
; ScratchSize: 0
; MemoryBound: 0
; FloatMode: 240
; IeeeMode: 1
; LDSByteSize: 4096 bytes/workgroup (compile time only)
; SGPRBlocks: 0
; VGPRBlocks: 23
; NumSGPRsForWavesPerEU: 34
; NumVGPRsForWavesPerEU: 188
; Occupancy: 5
; WaveLimiterHint : 1
; COMPUTE_PGM_RSRC2:SCRATCH_EN: 0
; COMPUTE_PGM_RSRC2:USER_SGPR: 6
; COMPUTE_PGM_RSRC2:TRAP_HANDLER: 0
; COMPUTE_PGM_RSRC2:TGID_X_EN: 1
; COMPUTE_PGM_RSRC2:TGID_Y_EN: 1
; COMPUTE_PGM_RSRC2:TGID_Z_EN: 1
; COMPUTE_PGM_RSRC2:TIDIG_COMP_CNT: 1
	.section	.text._ZN12_GLOBAL__N_127rocblas_gemm_batched_kernelI19rocblas_complex_numIfELi16ELi16ELi64ELi64ELi4ELi64ELi4ELi4ELi64ELc84ELc84EKS2_S3_S2_EEvlllT_PT11_llS6_llS4_PT12_llPT13_lli,"axG",@progbits,_ZN12_GLOBAL__N_127rocblas_gemm_batched_kernelI19rocblas_complex_numIfELi16ELi16ELi64ELi64ELi4ELi64ELi4ELi4ELi64ELc84ELc84EKS2_S3_S2_EEvlllT_PT11_llS6_llS4_PT12_llPT13_lli,comdat
	.globl	_ZN12_GLOBAL__N_127rocblas_gemm_batched_kernelI19rocblas_complex_numIfELi16ELi16ELi64ELi64ELi4ELi64ELi4ELi4ELi64ELc84ELc84EKS2_S3_S2_EEvlllT_PT11_llS6_llS4_PT12_llPT13_lli ; -- Begin function _ZN12_GLOBAL__N_127rocblas_gemm_batched_kernelI19rocblas_complex_numIfELi16ELi16ELi64ELi64ELi4ELi64ELi4ELi4ELi64ELc84ELc84EKS2_S3_S2_EEvlllT_PT11_llS6_llS4_PT12_llPT13_lli
	.p2align	8
	.type	_ZN12_GLOBAL__N_127rocblas_gemm_batched_kernelI19rocblas_complex_numIfELi16ELi16ELi64ELi64ELi4ELi64ELi4ELi4ELi64ELc84ELc84EKS2_S3_S2_EEvlllT_PT11_llS6_llS4_PT12_llPT13_lli,@function
_ZN12_GLOBAL__N_127rocblas_gemm_batched_kernelI19rocblas_complex_numIfELi16ELi16ELi64ELi64ELi4ELi64ELi4ELi4ELi64ELc84ELc84EKS2_S3_S2_EEvlllT_PT11_llS6_llS4_PT12_llPT13_lli: ; @_ZN12_GLOBAL__N_127rocblas_gemm_batched_kernelI19rocblas_complex_numIfELi16ELi16ELi64ELi64ELi4ELi64ELi4ELi4ELi64ELc84ELc84EKS2_S3_S2_EEvlllT_PT11_llS6_llS4_PT12_llPT13_lli
; %bb.0:
	s_clause 0x1
	s_load_dwordx16 s[12:27], s[4:5], 0x10
	s_load_dwordx2 s[10:11], s[4:5], 0x50
	s_mov_b32 s0, s7
	v_mov_b32_e32 v40, 0
	v_mov_b32_e32 v41, 0
	;; [unrolled: 1-line block ×17, first 2 shown]
	s_waitcnt lgkmcnt(0)
	v_cmp_lt_i64_e64 s2, s[12:13], 1
	v_mov_b32_e32 v25, 0
	v_mov_b32_e32 v22, 0
	;; [unrolled: 1-line block ×15, first 2 shown]
	s_ashr_i32 s7, s6, 31
	s_ashr_i32 s1, s0, 31
	s_lshl_b64 s[28:29], s[6:7], 6
	s_and_b32 vcc_lo, exec_lo, s2
	s_lshl_b64 s[30:31], s[0:1], 6
	s_cbranch_vccnz .LBB504_3
; %bb.1:
	v_lshl_add_u32 v6, v1, 4, v0
	v_and_b32_e32 v7, 3, v0
	s_mul_i32 s1, s21, s8
	s_mul_hi_u32 s2, s20, s8
	s_mul_hi_u32 s3, s26, s8
	v_lshrrev_b32_e32 v8, 2, v6
	v_and_b32_e32 v9, 63, v6
	v_lshlrev_b32_e32 v13, 3, v7
	v_lshrrev_b32_e32 v14, 6, v6
	s_add_i32 s1, s2, s1
	v_add_co_u32 v2, s0, v8, s30
	v_add_co_ci_u32_e64 v3, null, 0, s31, s0
	v_add_co_u32 v4, s0, s28, v9
	v_add_co_ci_u32_e64 v5, null, s29, 0, s0
	v_mad_u64_u32 v[2:3], null, s24, v7, v[2:3]
	v_mul_lo_u32 v11, s19, v4
	v_mul_lo_u32 v12, s18, v5
	v_mad_u64_u32 v[4:5], null, s18, v4, 0
	s_mul_i32 s0, s20, s8
	s_mul_i32 s2, s27, s8
	s_lshl_b64 s[0:1], s[0:1], 3
	v_lshlrev_b32_e32 v9, 3, v9
	v_mov_b32_e32 v10, 0
	v_lshlrev_b32_e32 v42, 3, v0
	v_add3_u32 v5, v5, v12, v11
	v_mad_u64_u32 v[6:7], null, s25, v7, v[3:4]
	v_lshl_or_b32 v3, v8, 5, v13
	v_lshl_add_u32 v43, v1, 5, 0x800
	v_lshlrev_b64 v[4:5], 3, v[4:5]
	v_lshl_or_b32 v44, v14, 9, v9
	v_mov_b32_e32 v11, 0
	v_add_nc_u32_e32 v45, 0x800, v3
	v_mov_b32_e32 v3, v6
	v_lshlrev_b32_e32 v6, 3, v14
	v_add_co_u32 v4, vcc_lo, v4, s0
	v_add_co_ci_u32_e64 v5, null, s1, v5, vcc_lo
	s_add_i32 s1, s3, s2
	v_add_co_u32 v6, vcc_lo, v4, v6
	s_mul_i32 s0, s26, s8
	v_add_co_ci_u32_e64 v7, null, 0, v5, vcc_lo
	v_lshlrev_b64 v[4:5], 3, v[2:3]
	s_lshl_b64 s[0:1], s[0:1], 3
	v_add_co_u32 v2, vcc_lo, s16, v6
	s_add_u32 s0, s22, s0
	v_add_co_ci_u32_e64 v3, null, s17, v7, vcc_lo
	s_addc_u32 s1, s23, s1
	v_add_co_u32 v4, vcc_lo, s0, v4
	v_add_co_ci_u32_e64 v5, null, s1, v5, vcc_lo
	v_mov_b32_e32 v13, 0
	v_mov_b32_e32 v12, 0
	;; [unrolled: 1-line block ×30, first 2 shown]
	s_lshl_b64 s[0:1], s[24:25], 5
	s_mov_b64 s[2:3], 0
.LBB504_2:                              ; =>This Inner Loop Header: Depth=1
	global_load_dwordx2 v[6:7], v[2:3], off
	global_load_dwordx2 v[8:9], v[4:5], off
	s_add_u32 s2, s2, 4
	s_addc_u32 s3, s3, 0
	v_add_co_u32 v2, vcc_lo, v2, 32
	v_cmp_lt_i64_e64 s6, s[2:3], s[12:13]
	v_add_co_ci_u32_e64 v3, null, 0, v3, vcc_lo
	v_add_co_u32 v4, vcc_lo, v4, s0
	v_add_co_ci_u32_e64 v5, null, s1, v5, vcc_lo
	s_and_b32 vcc_lo, exec_lo, s6
	s_waitcnt vmcnt(1)
	ds_write_b64 v44, v[6:7]
	s_waitcnt vmcnt(0)
	ds_write_b64 v45, v[8:9]
	s_waitcnt lgkmcnt(0)
	s_barrier
	buffer_gl0_inv
	ds_read_b128 v[6:9], v43
	ds_read2_b64 v[46:49], v42 offset1:16
	ds_read_b128 v[50:53], v43 offset:512
	ds_read_b128 v[54:57], v43 offset:16
	;; [unrolled: 1-line block ×7, first 2 shown]
	ds_read2_b64 v[78:81], v42 offset0:32 offset1:48
	ds_read2_b64 v[82:85], v42 offset0:64 offset1:80
	;; [unrolled: 1-line block ×7, first 2 shown]
	s_waitcnt lgkmcnt(0)
	s_barrier
	buffer_gl0_inv
	v_mul_f32_e32 v106, v7, v47
	v_mul_f32_e32 v107, v6, v47
	;; [unrolled: 1-line block ×64, first 2 shown]
	v_fma_f32 v106, v6, v46, -v106
	v_fmac_f32_e32 v107, v7, v46
	v_fma_f32 v108, v6, v48, -v108
	v_fmac_f32_e32 v109, v7, v48
	;; [unrolled: 2-line block ×16, first 2 shown]
	v_mul_f32_e32 v162, v55, v91
	v_mul_f32_e32 v163, v54, v91
	v_mul_f32_e32 v164, v55, v93
	v_mul_f32_e32 v165, v54, v93
	v_mul_f32_e32 v166, v59, v91
	v_mul_f32_e32 v167, v58, v91
	v_mul_f32_e32 v168, v59, v93
	v_mul_f32_e32 v169, v58, v93
	v_mul_f32_e32 v170, v67, v91
	v_mul_f32_e32 v171, v66, v91
	v_mul_f32_e32 v172, v67, v93
	v_mul_f32_e32 v173, v66, v93
	v_mul_f32_e32 v174, v75, v91
	v_mul_f32_e32 v91, v74, v91
	v_mul_f32_e32 v175, v75, v93
	v_mul_f32_e32 v93, v74, v93
	v_mul_f32_e32 v176, v55, v95
	v_mul_f32_e32 v177, v54, v95
	v_mul_f32_e32 v178, v55, v97
	v_mul_f32_e32 v179, v54, v97
	v_mul_f32_e32 v48, v59, v95
	v_mul_f32_e32 v119, v58, v95
	v_mul_f32_e32 v180, v59, v97
	v_mul_f32_e32 v181, v58, v97
	v_mul_f32_e32 v71, v67, v95
	v_mul_f32_e32 v78, v66, v95
	v_mul_f32_e32 v80, v67, v97
	v_mul_f32_e32 v122, v66, v97
	v_fma_f32 v124, v8, v82, -v134
	v_fmac_f32_e32 v135, v9, v82
	v_fma_f32 v126, v8, v84, -v136
	v_fmac_f32_e32 v137, v9, v84
	;; [unrolled: 2-line block ×4, first 2 shown]
	v_mul_f32_e32 v9, v75, v95
	v_mul_f32_e32 v95, v74, v95
	;; [unrolled: 1-line block ×4, first 2 shown]
	v_fma_f32 v132, v52, v82, -v142
	v_fmac_f32_e32 v143, v53, v82
	v_fma_f32 v133, v52, v84, -v144
	v_fmac_f32_e32 v145, v53, v84
	;; [unrolled: 2-line block ×4, first 2 shown]
	v_mul_f32_e32 v136, v56, v99
	v_mul_f32_e32 v140, v56, v101
	v_fma_f32 v142, v64, v82, -v150
	v_fmac_f32_e32 v151, v65, v82
	v_fma_f32 v144, v64, v84, -v152
	v_fmac_f32_e32 v153, v65, v84
	;; [unrolled: 2-line block ×4, first 2 shown]
	v_mul_f32_e32 v148, v56, v103
	v_mul_f32_e32 v152, v56, v105
	v_fma_f32 v154, v72, v82, -v158
	v_fmac_f32_e32 v83, v73, v82
	v_fma_f32 v82, v72, v84, -v159
	v_fmac_f32_e32 v85, v73, v84
	;; [unrolled: 2-line block ×4, first 2 shown]
	v_add_f32_e32 v40, v40, v106
	v_add_f32_e32 v41, v41, v107
	;; [unrolled: 1-line block ×32, first 2 shown]
	v_mul_f32_e32 v53, v57, v99
	v_mul_f32_e32 v138, v57, v101
	;; [unrolled: 1-line block ×16, first 2 shown]
	v_fma_f32 v162, v54, v90, -v162
	v_fmac_f32_e32 v163, v55, v90
	v_fma_f32 v164, v54, v92, -v164
	v_fmac_f32_e32 v165, v55, v92
	;; [unrolled: 2-line block ×8, first 2 shown]
	v_mul_f32_e32 v92, v69, v103
	v_mul_f32_e32 v175, v68, v103
	;; [unrolled: 1-line block ×4, first 2 shown]
	v_fma_f32 v176, v54, v94, -v176
	v_fmac_f32_e32 v177, v55, v94
	v_fma_f32 v54, v54, v96, -v178
	v_fmac_f32_e32 v179, v55, v96
	v_fma_f32 v48, v58, v94, -v48
	v_fmac_f32_e32 v119, v59, v94
	v_fma_f32 v55, v58, v96, -v180
	v_fmac_f32_e32 v181, v59, v96
	v_fma_f32 v58, v66, v94, -v71
	v_fmac_f32_e32 v78, v67, v94
	v_fma_f32 v59, v66, v96, -v80
	v_fmac_f32_e32 v122, v67, v96
	v_fma_f32 v9, v74, v94, -v9
	v_fmac_f32_e32 v95, v75, v94
	v_fma_f32 v66, v74, v96, -v130
	v_fmac_f32_e32 v97, v75, v96
	v_mul_f32_e32 v67, v77, v99
	v_mul_f32_e32 v71, v76, v99
	;; [unrolled: 1-line block ×4, first 2 shown]
	v_fmac_f32_e32 v136, v57, v98
	v_fmac_f32_e32 v140, v57, v100
	;; [unrolled: 1-line block ×4, first 2 shown]
	v_mul_f32_e32 v57, v77, v103
	v_mul_f32_e32 v94, v76, v103
	v_mul_f32_e32 v96, v77, v105
	v_mul_f32_e32 v99, v76, v105
	v_add_f32_e32 v29, v40, v124
	v_add_f32_e32 v35, v41, v135
	;; [unrolled: 1-line block ×32, first 2 shown]
	v_fma_f32 v53, v56, v98, -v53
	v_fma_f32 v80, v56, v100, -v138
	v_fma_f32 v65, v56, v102, -v65
	v_fma_f32 v56, v56, v104, -v150
	v_fma_f32 v84, v60, v98, -v84
	v_fmac_f32_e32 v156, v61, v98
	v_fma_f32 v101, v60, v100, -v158
	v_fmac_f32_e32 v159, v61, v100
	v_fma_f32 v73, v60, v102, -v73
	v_fmac_f32_e32 v86, v61, v102
	v_fma_f32 v60, v60, v104, -v88
	v_fmac_f32_e32 v161, v61, v104
	v_fma_f32 v61, v68, v98, -v182
	v_fmac_f32_e32 v183, v69, v98
	v_fma_f32 v88, v68, v100, -v184
	v_fmac_f32_e32 v185, v69, v100
	v_fma_f32 v92, v68, v102, -v92
	v_fmac_f32_e32 v175, v69, v102
	v_fma_f32 v68, v68, v104, -v186
	v_fmac_f32_e32 v187, v69, v104
	v_fma_f32 v67, v76, v98, -v67
	v_fmac_f32_e32 v71, v77, v98
	v_fma_f32 v69, v76, v100, -v74
	v_fmac_f32_e32 v75, v77, v100
	v_fma_f32 v57, v76, v102, -v57
	v_fmac_f32_e32 v94, v77, v102
	v_fma_f32 v74, v76, v104, -v96
	v_fmac_f32_e32 v99, v77, v104
	v_add_f32_e32 v29, v29, v162
	v_add_f32_e32 v34, v35, v163
	;; [unrolled: 1-line block ×64, first 2 shown]
	s_cbranch_vccnz .LBB504_2
.LBB504_3:
	s_clause 0x1
	s_load_dwordx4 s[16:19], s[4:5], 0x78
	s_load_dwordx8 s[0:7], s[4:5], 0x58
	s_waitcnt lgkmcnt(0)
	s_mul_i32 s9, s19, s8
	s_mul_hi_u32 s13, s18, s8
	s_mul_i32 s12, s18, s8
	s_add_i32 s13, s13, s9
	s_lshl_b64 s[12:13], s[12:13], 3
	s_add_u32 s9, s6, s12
	s_addc_u32 s12, s7, s13
	v_add_co_u32 v4, s7, s30, v1
	v_add_co_ci_u32_e64 v5, null, s31, 0, s7
	v_add_co_u32 v0, s7, s28, v0
	s_or_b32 s6, s10, s11
	v_add_co_ci_u32_e64 v1, null, s29, 0, s7
	s_bitset0_b32 s6, 31
	s_mov_b32 s13, 0
	s_cmp_lg_u32 s6, 0
	s_cbranch_scc1 .LBB504_5
; %bb.4:
	v_mul_lo_u32 v6, v5, s16
	v_mul_lo_u32 v8, v4, s17
	v_mad_u64_u32 v[2:3], null, v4, s16, 0
	v_mul_f32_e32 v42, s15, v41
	v_mul_f32_e32 v7, s14, v41
	;; [unrolled: 1-line block ×6, first 2 shown]
	v_add3_u32 v3, v3, v8, v6
	v_lshlrev_b64 v[8:9], 3, v[0:1]
	v_mul_f32_e32 v48, s15, v35
	v_mul_f32_e32 v47, s14, v35
	v_fma_f32 v6, v40, s14, -v42
	v_lshlrev_b64 v[2:3], 3, v[2:3]
	v_fmac_f32_e32 v7, s15, v40
	v_fma_f32 v42, v38, s14, -v44
	v_fmac_f32_e32 v43, s15, v38
	s_lshl_b64 s[6:7], s[16:17], 7
	v_fma_f32 v44, v36, s14, -v46
	v_add_co_u32 v49, vcc_lo, s9, v2
	v_add_co_ci_u32_e64 v50, null, s12, v3, vcc_lo
	v_fmac_f32_e32 v45, s15, v36
	v_add_co_u32 v2, vcc_lo, v49, v8
	v_add_co_ci_u32_e64 v3, null, v50, v9, vcc_lo
	v_fma_f32 v46, v34, s14, -v48
	v_fmac_f32_e32 v47, s15, v34
	v_add_co_u32 v48, vcc_lo, v49, s6
	global_store_dwordx2 v[2:3], v[6:7], off
	global_store_dwordx2 v[2:3], v[42:43], off offset:128
	global_store_dwordx2 v[2:3], v[44:45], off offset:256
	;; [unrolled: 1-line block ×3, first 2 shown]
	v_mul_f32_e32 v2, s15, v33
	v_mul_f32_e32 v3, s14, v33
	v_add_co_ci_u32_e64 v49, null, s7, v50, vcc_lo
	v_mul_f32_e32 v6, s15, v31
	v_mul_f32_e32 v7, s14, v31
	;; [unrolled: 1-line block ×4, first 2 shown]
	v_add_co_u32 v44, vcc_lo, v48, v8
	v_fma_f32 v2, v32, s14, -v2
	v_fmac_f32_e32 v3, s15, v32
	v_add_co_ci_u32_e64 v45, null, v49, v9, vcc_lo
	v_fma_f32 v6, v30, s14, -v6
	v_fmac_f32_e32 v7, s15, v30
	v_fma_f32 v42, v28, s14, -v42
	v_fmac_f32_e32 v43, s15, v28
	v_add_co_u32 v52, vcc_lo, v48, s6
	v_mul_f32_e32 v46, s15, v27
	v_mul_f32_e32 v47, s14, v27
	global_store_dwordx2 v[44:45], v[2:3], off
	global_store_dwordx2 v[44:45], v[6:7], off offset:128
	global_store_dwordx2 v[44:45], v[42:43], off offset:256
	v_mul_f32_e32 v2, s15, v25
	v_mul_f32_e32 v3, s14, v25
	v_add_co_ci_u32_e64 v53, null, s7, v49, vcc_lo
	v_mul_f32_e32 v42, s15, v23
	v_mul_f32_e32 v43, s14, v23
	;; [unrolled: 1-line block ×4, first 2 shown]
	v_add_co_u32 v6, vcc_lo, v52, v8
	v_mul_f32_e32 v50, s15, v19
	v_mul_f32_e32 v51, s14, v19
	v_fma_f32 v46, v26, s14, -v46
	v_fmac_f32_e32 v47, s15, v26
	v_fma_f32 v2, v24, s14, -v2
	v_fmac_f32_e32 v3, s15, v24
	v_add_co_ci_u32_e64 v7, null, v53, v9, vcc_lo
	v_fma_f32 v42, v22, s14, -v42
	v_fmac_f32_e32 v43, s15, v22
	v_fma_f32 v48, v20, s14, -v48
	v_fmac_f32_e32 v49, s15, v20
	v_fma_f32 v50, v18, s14, -v50
	v_fmac_f32_e32 v51, s15, v18
	global_store_dwordx2 v[44:45], v[46:47], off offset:384
	global_store_dwordx2 v[6:7], v[2:3], off
	global_store_dwordx2 v[6:7], v[42:43], off offset:128
	global_store_dwordx2 v[6:7], v[48:49], off offset:256
	;; [unrolled: 1-line block ×3, first 2 shown]
	v_mul_f32_e32 v2, s15, v17
	v_add_co_u32 v3, vcc_lo, v52, s6
	v_add_co_ci_u32_e64 v6, null, s7, v53, vcc_lo
	v_fma_f32 v42, v16, s14, -v2
	v_mul_f32_e32 v2, s15, v15
	v_add_co_u32 v7, vcc_lo, v3, v8
	v_mul_f32_e32 v43, s14, v17
	v_add_co_ci_u32_e64 v8, null, v6, v9, vcc_lo
	v_fma_f32 v44, v14, s14, -v2
	v_mul_f32_e32 v2, s15, v13
	v_mul_f32_e32 v3, s15, v10
	;; [unrolled: 1-line block ×5, first 2 shown]
	v_fma_f32 v46, v12, s14, -v2
	v_add_co_u32 v2, vcc_lo, 0x180, v7
	v_fmac_f32_e32 v43, s15, v16
	v_fma_f32 v9, v11, s14, -v3
	v_fmac_f32_e32 v6, s15, v11
	v_add_co_ci_u32_e64 v3, null, 0, v8, vcc_lo
	v_fmac_f32_e32 v45, s15, v14
	v_fmac_f32_e32 v47, s15, v12
	global_store_dwordx2 v[7:8], v[42:43], off
	global_store_dwordx2 v[7:8], v[44:45], off offset:128
	global_store_dwordx2 v[7:8], v[46:47], off offset:256
	global_store_dword v[7:8], v9, off offset:384
	s_andn2_b32 vcc_lo, exec_lo, s13
	s_cbranch_vccz .LBB504_6
	s_branch .LBB504_7
.LBB504_5:
                                        ; implicit-def: $vgpr6
                                        ; implicit-def: $vgpr2_vgpr3
.LBB504_6:
	v_mul_lo_u32 v6, v5, s2
	v_mul_lo_u32 v7, v4, s3
	v_mad_u64_u32 v[2:3], null, v4, s2, 0
	s_mul_i32 s5, s5, s8
	s_mul_hi_u32 s6, s4, s8
	s_mul_i32 s4, s4, s8
	s_add_i32 s5, s6, s5
	v_lshlrev_b64 v[0:1], 3, v[0:1]
	s_lshl_b64 s[4:5], s[4:5], 3
	v_add3_u32 v3, v3, v7, v6
	s_add_u32 s0, s0, s4
	s_addc_u32 s1, s1, s5
	v_mul_lo_u32 v42, v5, s16
	v_mul_lo_u32 v43, v4, s17
	v_lshlrev_b64 v[2:3], 3, v[2:3]
	v_mad_u64_u32 v[4:5], null, v4, s16, 0
	v_add_co_u32 v8, vcc_lo, s0, v2
	v_add_co_ci_u32_e64 v9, null, s1, v3, vcc_lo
	v_add3_u32 v5, v5, v43, v42
	v_add_co_u32 v2, vcc_lo, v8, v0
	v_add_co_ci_u32_e64 v3, null, v9, v1, vcc_lo
	v_mul_f32_e32 v42, s15, v41
	v_mul_f32_e32 v41, s14, v41
	v_lshlrev_b64 v[4:5], 3, v[4:5]
	global_load_dwordx2 v[6:7], v[2:3], off
	s_lshl_b64 s[0:1], s[2:3], 7
	v_fma_f32 v42, v40, s14, -v42
	v_fmac_f32_e32 v41, s15, v40
	s_lshl_b64 s[2:3], s[16:17], 7
	v_add_co_u32 v43, vcc_lo, s9, v4
	v_add_co_ci_u32_e64 v44, null, s12, v5, vcc_lo
	v_add_co_u32 v4, vcc_lo, v43, v0
	v_add_co_ci_u32_e64 v5, null, v44, v1, vcc_lo
	;; [unrolled: 2-line block ×3, first 2 shown]
	s_waitcnt vmcnt(0)
	v_mul_f32_e32 v40, s11, v7
	v_mul_f32_e32 v7, s10, v7
	v_fma_f32 v40, v6, s10, -v40
	v_fmac_f32_e32 v7, s11, v6
	v_add_f32_e32 v6, v42, v40
	v_add_f32_e32 v7, v41, v7
	v_mul_f32_e32 v40, s15, v39
	v_mul_f32_e32 v39, s14, v39
	global_store_dwordx2 v[4:5], v[6:7], off
	global_load_dwordx2 v[6:7], v[2:3], off offset:128
	v_fma_f32 v40, v38, s14, -v40
	v_fmac_f32_e32 v39, s15, v38
	s_waitcnt vmcnt(0)
	v_mul_f32_e32 v41, s11, v7
	v_mul_f32_e32 v7, s10, v7
	v_fma_f32 v38, v6, s10, -v41
	v_fmac_f32_e32 v7, s11, v6
	v_add_f32_e32 v6, v40, v38
	v_add_f32_e32 v7, v39, v7
	v_mul_f32_e32 v38, s15, v37
	v_mul_f32_e32 v37, s14, v37
	global_store_dwordx2 v[4:5], v[6:7], off offset:128
	global_load_dwordx2 v[6:7], v[2:3], off offset:256
	v_fma_f32 v38, v36, s14, -v38
	v_fmac_f32_e32 v37, s15, v36
	s_waitcnt vmcnt(0)
	v_mul_f32_e32 v39, s11, v7
	v_mul_f32_e32 v7, s10, v7
	v_fma_f32 v36, v6, s10, -v39
	v_fmac_f32_e32 v7, s11, v6
	v_add_f32_e32 v6, v38, v36
	v_add_f32_e32 v7, v37, v7
	global_store_dwordx2 v[4:5], v[6:7], off offset:256
	global_load_dwordx2 v[2:3], v[2:3], off offset:384
	v_mul_f32_e32 v6, s15, v35
	v_mul_f32_e32 v7, s14, v35
	v_fma_f32 v6, v34, s14, -v6
	v_fmac_f32_e32 v7, s15, v34
	s_waitcnt vmcnt(0)
	v_mul_f32_e32 v35, s11, v3
	v_mul_f32_e32 v3, s10, v3
	v_fma_f32 v34, v2, s10, -v35
	v_fmac_f32_e32 v3, s11, v2
	v_add_f32_e32 v2, v6, v34
	v_add_co_u32 v6, vcc_lo, v8, v0
	v_add_f32_e32 v3, v7, v3
	v_add_co_ci_u32_e64 v7, null, v9, v1, vcc_lo
	v_add_co_u32 v34, vcc_lo, v43, s2
	global_store_dwordx2 v[4:5], v[2:3], off offset:384
	global_load_dwordx2 v[2:3], v[6:7], off
	v_mul_f32_e32 v4, s15, v33
	v_mul_f32_e32 v5, s14, v33
	v_add_co_ci_u32_e64 v35, null, s3, v44, vcc_lo
	v_fma_f32 v4, v32, s14, -v4
	v_fmac_f32_e32 v5, s15, v32
	s_waitcnt vmcnt(0)
	v_mul_f32_e32 v32, s11, v3
	v_mul_f32_e32 v33, s10, v3
	v_fma_f32 v32, v2, s10, -v32
	v_fmac_f32_e32 v33, s11, v2
	v_add_co_u32 v2, vcc_lo, v34, v0
	v_add_co_ci_u32_e64 v3, null, v35, v1, vcc_lo
	v_add_f32_e32 v4, v4, v32
	v_add_f32_e32 v5, v5, v33
	v_mul_f32_e32 v32, s15, v31
	v_mul_f32_e32 v31, s14, v31
	v_add_co_u32 v8, vcc_lo, v8, s0
	global_store_dwordx2 v[2:3], v[4:5], off
	global_load_dwordx2 v[4:5], v[6:7], off offset:128
	v_fma_f32 v32, v30, s14, -v32
	v_fmac_f32_e32 v31, s15, v30
	v_add_co_ci_u32_e64 v9, null, s1, v9, vcc_lo
	s_waitcnt vmcnt(0)
	v_mul_f32_e32 v33, s11, v5
	v_mul_f32_e32 v5, s10, v5
	v_fma_f32 v30, v4, s10, -v33
	v_fmac_f32_e32 v5, s11, v4
	v_add_f32_e32 v4, v32, v30
	v_add_f32_e32 v5, v31, v5
	v_mul_f32_e32 v30, s15, v29
	v_mul_f32_e32 v29, s14, v29
	global_store_dwordx2 v[2:3], v[4:5], off offset:128
	global_load_dwordx2 v[4:5], v[6:7], off offset:256
	v_fma_f32 v30, v28, s14, -v30
	v_fmac_f32_e32 v29, s15, v28
	s_waitcnt vmcnt(0)
	v_mul_f32_e32 v31, s11, v5
	v_mul_f32_e32 v5, s10, v5
	v_fma_f32 v28, v4, s10, -v31
	v_fmac_f32_e32 v5, s11, v4
	v_add_f32_e32 v4, v30, v28
	v_add_f32_e32 v5, v29, v5
	global_store_dwordx2 v[2:3], v[4:5], off offset:256
	global_load_dwordx2 v[4:5], v[6:7], off offset:384
	v_mul_f32_e32 v6, s15, v27
	v_mul_f32_e32 v7, s14, v27
	v_fma_f32 v6, v26, s14, -v6
	v_fmac_f32_e32 v7, s15, v26
	s_waitcnt vmcnt(0)
	v_mul_f32_e32 v27, s11, v5
	v_mul_f32_e32 v5, s10, v5
	v_fma_f32 v26, v4, s10, -v27
	v_fmac_f32_e32 v5, s11, v4
	v_add_f32_e32 v4, v6, v26
	v_add_co_u32 v6, vcc_lo, v8, v0
	v_add_f32_e32 v5, v7, v5
	v_add_co_ci_u32_e64 v7, null, v9, v1, vcc_lo
	v_add_co_u32 v26, vcc_lo, v34, s2
	global_store_dwordx2 v[2:3], v[4:5], off offset:384
	global_load_dwordx2 v[2:3], v[6:7], off
	v_mul_f32_e32 v4, s15, v25
	v_mul_f32_e32 v5, s14, v25
	v_add_co_ci_u32_e64 v27, null, s3, v35, vcc_lo
	v_fma_f32 v4, v24, s14, -v4
	v_fmac_f32_e32 v5, s15, v24
	s_waitcnt vmcnt(0)
	v_mul_f32_e32 v24, s11, v3
	v_mul_f32_e32 v25, s10, v3
	v_fma_f32 v24, v2, s10, -v24
	v_fmac_f32_e32 v25, s11, v2
	v_add_co_u32 v2, vcc_lo, v26, v0
	v_add_co_ci_u32_e64 v3, null, v27, v1, vcc_lo
	v_add_f32_e32 v4, v4, v24
	v_add_f32_e32 v5, v5, v25
	v_mul_f32_e32 v24, s15, v23
	v_mul_f32_e32 v23, s14, v23
	v_add_co_u32 v8, vcc_lo, v8, s0
	global_store_dwordx2 v[2:3], v[4:5], off
	global_load_dwordx2 v[4:5], v[6:7], off offset:128
	v_fma_f32 v24, v22, s14, -v24
	v_fmac_f32_e32 v23, s15, v22
	v_add_co_ci_u32_e64 v9, null, s1, v9, vcc_lo
	s_waitcnt vmcnt(0)
	v_mul_f32_e32 v25, s11, v5
	v_mul_f32_e32 v5, s10, v5
	v_fma_f32 v22, v4, s10, -v25
	v_fmac_f32_e32 v5, s11, v4
	v_add_f32_e32 v4, v24, v22
	v_add_f32_e32 v5, v23, v5
	v_mul_f32_e32 v22, s15, v21
	v_mul_f32_e32 v21, s14, v21
	global_store_dwordx2 v[2:3], v[4:5], off offset:128
	global_load_dwordx2 v[4:5], v[6:7], off offset:256
	v_fma_f32 v22, v20, s14, -v22
	v_fmac_f32_e32 v21, s15, v20
	s_waitcnt vmcnt(0)
	v_mul_f32_e32 v23, s11, v5
	v_mul_f32_e32 v5, s10, v5
	v_fma_f32 v20, v4, s10, -v23
	v_fmac_f32_e32 v5, s11, v4
	v_add_f32_e32 v4, v22, v20
	v_add_f32_e32 v5, v21, v5
	global_store_dwordx2 v[2:3], v[4:5], off offset:256
	global_load_dwordx2 v[4:5], v[6:7], off offset:384
	v_mul_f32_e32 v6, s15, v19
	v_mul_f32_e32 v7, s14, v19
	v_fma_f32 v6, v18, s14, -v6
	v_fmac_f32_e32 v7, s15, v18
	s_waitcnt vmcnt(0)
	v_mul_f32_e32 v19, s11, v5
	v_mul_f32_e32 v5, s10, v5
	v_fma_f32 v18, v4, s10, -v19
	v_fmac_f32_e32 v5, s11, v4
	v_add_f32_e32 v4, v6, v18
	v_add_co_u32 v6, vcc_lo, v8, v0
	v_add_f32_e32 v5, v7, v5
	v_add_co_ci_u32_e64 v7, null, v9, v1, vcc_lo
	v_add_co_u32 v9, vcc_lo, v26, s2
	global_store_dwordx2 v[2:3], v[4:5], off offset:384
	global_load_dwordx2 v[2:3], v[6:7], off
	v_mul_f32_e32 v4, s15, v17
	v_mul_f32_e32 v5, s14, v17
	v_fma_f32 v4, v16, s14, -v4
	v_fmac_f32_e32 v5, s15, v16
	v_add_co_ci_u32_e64 v16, null, s3, v27, vcc_lo
	v_add_co_u32 v0, vcc_lo, v9, v0
	v_add_co_ci_u32_e64 v1, null, v16, v1, vcc_lo
	s_waitcnt vmcnt(0)
	v_mul_f32_e32 v8, s11, v3
	v_mul_f32_e32 v3, s10, v3
	v_fma_f32 v8, v2, s10, -v8
	v_fmac_f32_e32 v3, s11, v2
	v_add_f32_e32 v2, v4, v8
	v_add_f32_e32 v3, v5, v3
	v_mul_f32_e32 v4, s15, v15
	v_mul_f32_e32 v5, s14, v15
	global_store_dwordx2 v[0:1], v[2:3], off
	global_load_dwordx2 v[2:3], v[6:7], off offset:128
	v_fma_f32 v4, v14, s14, -v4
	v_fmac_f32_e32 v5, s15, v14
	s_waitcnt vmcnt(0)
	v_mul_f32_e32 v8, s11, v3
	v_mul_f32_e32 v3, s10, v3
	v_fma_f32 v8, v2, s10, -v8
	v_fmac_f32_e32 v3, s11, v2
	v_add_f32_e32 v2, v4, v8
	v_add_f32_e32 v3, v5, v3
	v_mul_f32_e32 v4, s15, v13
	v_mul_f32_e32 v5, s14, v13
	global_store_dwordx2 v[0:1], v[2:3], off offset:128
	global_load_dwordx2 v[2:3], v[6:7], off offset:256
	v_fma_f32 v4, v12, s14, -v4
	v_fmac_f32_e32 v5, s15, v12
	s_waitcnt vmcnt(0)
	v_mul_f32_e32 v8, s11, v3
	v_mul_f32_e32 v3, s10, v3
	v_fma_f32 v8, v2, s10, -v8
	v_fmac_f32_e32 v3, s11, v2
	v_add_f32_e32 v2, v4, v8
	v_add_f32_e32 v3, v5, v3
	v_mul_f32_e32 v4, s15, v10
	v_mul_f32_e32 v5, s14, v10
	global_store_dwordx2 v[0:1], v[2:3], off offset:256
	global_load_dwordx2 v[2:3], v[6:7], off offset:384
	v_fma_f32 v4, v11, s14, -v4
	v_fmac_f32_e32 v5, s15, v11
	s_waitcnt vmcnt(0)
	v_mul_f32_e32 v6, s11, v3
	v_mul_f32_e32 v3, s10, v3
	v_fma_f32 v6, v2, s10, -v6
	v_fmac_f32_e32 v3, s11, v2
	v_add_co_u32 v2, vcc_lo, 0x180, v0
	v_add_f32_e32 v4, v4, v6
	v_add_f32_e32 v6, v5, v3
	v_add_co_ci_u32_e64 v3, null, 0, v1, vcc_lo
	global_store_dword v[0:1], v4, off offset:384
.LBB504_7:
	global_store_dword v[2:3], v6, off offset:4
	s_endpgm
	.section	.rodata,"a",@progbits
	.p2align	6, 0x0
	.amdhsa_kernel _ZN12_GLOBAL__N_127rocblas_gemm_batched_kernelI19rocblas_complex_numIfELi16ELi16ELi64ELi64ELi4ELi64ELi4ELi4ELi64ELc84ELc84EKS2_S3_S2_EEvlllT_PT11_llS6_llS4_PT12_llPT13_lli
		.amdhsa_group_segment_fixed_size 4096
		.amdhsa_private_segment_fixed_size 0
		.amdhsa_kernarg_size 140
		.amdhsa_user_sgpr_count 6
		.amdhsa_user_sgpr_private_segment_buffer 1
		.amdhsa_user_sgpr_dispatch_ptr 0
		.amdhsa_user_sgpr_queue_ptr 0
		.amdhsa_user_sgpr_kernarg_segment_ptr 1
		.amdhsa_user_sgpr_dispatch_id 0
		.amdhsa_user_sgpr_flat_scratch_init 0
		.amdhsa_user_sgpr_private_segment_size 0
		.amdhsa_wavefront_size32 1
		.amdhsa_uses_dynamic_stack 0
		.amdhsa_system_sgpr_private_segment_wavefront_offset 0
		.amdhsa_system_sgpr_workgroup_id_x 1
		.amdhsa_system_sgpr_workgroup_id_y 1
		.amdhsa_system_sgpr_workgroup_id_z 1
		.amdhsa_system_sgpr_workgroup_info 0
		.amdhsa_system_vgpr_workitem_id 1
		.amdhsa_next_free_vgpr 188
		.amdhsa_next_free_sgpr 32
		.amdhsa_reserve_vcc 1
		.amdhsa_reserve_flat_scratch 0
		.amdhsa_float_round_mode_32 0
		.amdhsa_float_round_mode_16_64 0
		.amdhsa_float_denorm_mode_32 3
		.amdhsa_float_denorm_mode_16_64 3
		.amdhsa_dx10_clamp 1
		.amdhsa_ieee_mode 1
		.amdhsa_fp16_overflow 0
		.amdhsa_workgroup_processor_mode 1
		.amdhsa_memory_ordered 1
		.amdhsa_forward_progress 1
		.amdhsa_shared_vgpr_count 0
		.amdhsa_exception_fp_ieee_invalid_op 0
		.amdhsa_exception_fp_denorm_src 0
		.amdhsa_exception_fp_ieee_div_zero 0
		.amdhsa_exception_fp_ieee_overflow 0
		.amdhsa_exception_fp_ieee_underflow 0
		.amdhsa_exception_fp_ieee_inexact 0
		.amdhsa_exception_int_div_zero 0
	.end_amdhsa_kernel
	.section	.text._ZN12_GLOBAL__N_127rocblas_gemm_batched_kernelI19rocblas_complex_numIfELi16ELi16ELi64ELi64ELi4ELi64ELi4ELi4ELi64ELc84ELc84EKS2_S3_S2_EEvlllT_PT11_llS6_llS4_PT12_llPT13_lli,"axG",@progbits,_ZN12_GLOBAL__N_127rocblas_gemm_batched_kernelI19rocblas_complex_numIfELi16ELi16ELi64ELi64ELi4ELi64ELi4ELi4ELi64ELc84ELc84EKS2_S3_S2_EEvlllT_PT11_llS6_llS4_PT12_llPT13_lli,comdat
.Lfunc_end504:
	.size	_ZN12_GLOBAL__N_127rocblas_gemm_batched_kernelI19rocblas_complex_numIfELi16ELi16ELi64ELi64ELi4ELi64ELi4ELi4ELi64ELc84ELc84EKS2_S3_S2_EEvlllT_PT11_llS6_llS4_PT12_llPT13_lli, .Lfunc_end504-_ZN12_GLOBAL__N_127rocblas_gemm_batched_kernelI19rocblas_complex_numIfELi16ELi16ELi64ELi64ELi4ELi64ELi4ELi4ELi64ELc84ELc84EKS2_S3_S2_EEvlllT_PT11_llS6_llS4_PT12_llPT13_lli
                                        ; -- End function
	.set _ZN12_GLOBAL__N_127rocblas_gemm_batched_kernelI19rocblas_complex_numIfELi16ELi16ELi64ELi64ELi4ELi64ELi4ELi4ELi64ELc84ELc84EKS2_S3_S2_EEvlllT_PT11_llS6_llS4_PT12_llPT13_lli.num_vgpr, 188
	.set _ZN12_GLOBAL__N_127rocblas_gemm_batched_kernelI19rocblas_complex_numIfELi16ELi16ELi64ELi64ELi4ELi64ELi4ELi4ELi64ELc84ELc84EKS2_S3_S2_EEvlllT_PT11_llS6_llS4_PT12_llPT13_lli.num_agpr, 0
	.set _ZN12_GLOBAL__N_127rocblas_gemm_batched_kernelI19rocblas_complex_numIfELi16ELi16ELi64ELi64ELi4ELi64ELi4ELi4ELi64ELc84ELc84EKS2_S3_S2_EEvlllT_PT11_llS6_llS4_PT12_llPT13_lli.numbered_sgpr, 32
	.set _ZN12_GLOBAL__N_127rocblas_gemm_batched_kernelI19rocblas_complex_numIfELi16ELi16ELi64ELi64ELi4ELi64ELi4ELi4ELi64ELc84ELc84EKS2_S3_S2_EEvlllT_PT11_llS6_llS4_PT12_llPT13_lli.num_named_barrier, 0
	.set _ZN12_GLOBAL__N_127rocblas_gemm_batched_kernelI19rocblas_complex_numIfELi16ELi16ELi64ELi64ELi4ELi64ELi4ELi4ELi64ELc84ELc84EKS2_S3_S2_EEvlllT_PT11_llS6_llS4_PT12_llPT13_lli.private_seg_size, 0
	.set _ZN12_GLOBAL__N_127rocblas_gemm_batched_kernelI19rocblas_complex_numIfELi16ELi16ELi64ELi64ELi4ELi64ELi4ELi4ELi64ELc84ELc84EKS2_S3_S2_EEvlllT_PT11_llS6_llS4_PT12_llPT13_lli.uses_vcc, 1
	.set _ZN12_GLOBAL__N_127rocblas_gemm_batched_kernelI19rocblas_complex_numIfELi16ELi16ELi64ELi64ELi4ELi64ELi4ELi4ELi64ELc84ELc84EKS2_S3_S2_EEvlllT_PT11_llS6_llS4_PT12_llPT13_lli.uses_flat_scratch, 0
	.set _ZN12_GLOBAL__N_127rocblas_gemm_batched_kernelI19rocblas_complex_numIfELi16ELi16ELi64ELi64ELi4ELi64ELi4ELi4ELi64ELc84ELc84EKS2_S3_S2_EEvlllT_PT11_llS6_llS4_PT12_llPT13_lli.has_dyn_sized_stack, 0
	.set _ZN12_GLOBAL__N_127rocblas_gemm_batched_kernelI19rocblas_complex_numIfELi16ELi16ELi64ELi64ELi4ELi64ELi4ELi4ELi64ELc84ELc84EKS2_S3_S2_EEvlllT_PT11_llS6_llS4_PT12_llPT13_lli.has_recursion, 0
	.set _ZN12_GLOBAL__N_127rocblas_gemm_batched_kernelI19rocblas_complex_numIfELi16ELi16ELi64ELi64ELi4ELi64ELi4ELi4ELi64ELc84ELc84EKS2_S3_S2_EEvlllT_PT11_llS6_llS4_PT12_llPT13_lli.has_indirect_call, 0
	.section	.AMDGPU.csdata,"",@progbits
; Kernel info:
; codeLenInByte = 4924
; TotalNumSgprs: 34
; NumVgprs: 188
; ScratchSize: 0
; MemoryBound: 0
; FloatMode: 240
; IeeeMode: 1
; LDSByteSize: 4096 bytes/workgroup (compile time only)
; SGPRBlocks: 0
; VGPRBlocks: 23
; NumSGPRsForWavesPerEU: 34
; NumVGPRsForWavesPerEU: 188
; Occupancy: 5
; WaveLimiterHint : 1
; COMPUTE_PGM_RSRC2:SCRATCH_EN: 0
; COMPUTE_PGM_RSRC2:USER_SGPR: 6
; COMPUTE_PGM_RSRC2:TRAP_HANDLER: 0
; COMPUTE_PGM_RSRC2:TGID_X_EN: 1
; COMPUTE_PGM_RSRC2:TGID_Y_EN: 1
; COMPUTE_PGM_RSRC2:TGID_Z_EN: 1
; COMPUTE_PGM_RSRC2:TIDIG_COMP_CNT: 1
	.section	.text._ZN12_GLOBAL__N_127rocblas_gemm_batched_kernelI19rocblas_complex_numIfELi16ELi16ELi64ELi64ELi4ELi64ELi4ELi4ELi64ELc67ELc67EKS2_S3_S2_EEvlllT_PT11_llS6_llS4_PT12_llPT13_lli,"axG",@progbits,_ZN12_GLOBAL__N_127rocblas_gemm_batched_kernelI19rocblas_complex_numIfELi16ELi16ELi64ELi64ELi4ELi64ELi4ELi4ELi64ELc67ELc67EKS2_S3_S2_EEvlllT_PT11_llS6_llS4_PT12_llPT13_lli,comdat
	.globl	_ZN12_GLOBAL__N_127rocblas_gemm_batched_kernelI19rocblas_complex_numIfELi16ELi16ELi64ELi64ELi4ELi64ELi4ELi4ELi64ELc67ELc67EKS2_S3_S2_EEvlllT_PT11_llS6_llS4_PT12_llPT13_lli ; -- Begin function _ZN12_GLOBAL__N_127rocblas_gemm_batched_kernelI19rocblas_complex_numIfELi16ELi16ELi64ELi64ELi4ELi64ELi4ELi4ELi64ELc67ELc67EKS2_S3_S2_EEvlllT_PT11_llS6_llS4_PT12_llPT13_lli
	.p2align	8
	.type	_ZN12_GLOBAL__N_127rocblas_gemm_batched_kernelI19rocblas_complex_numIfELi16ELi16ELi64ELi64ELi4ELi64ELi4ELi4ELi64ELc67ELc67EKS2_S3_S2_EEvlllT_PT11_llS6_llS4_PT12_llPT13_lli,@function
_ZN12_GLOBAL__N_127rocblas_gemm_batched_kernelI19rocblas_complex_numIfELi16ELi16ELi64ELi64ELi4ELi64ELi4ELi4ELi64ELc67ELc67EKS2_S3_S2_EEvlllT_PT11_llS6_llS4_PT12_llPT13_lli: ; @_ZN12_GLOBAL__N_127rocblas_gemm_batched_kernelI19rocblas_complex_numIfELi16ELi16ELi64ELi64ELi4ELi64ELi4ELi4ELi64ELc67ELc67EKS2_S3_S2_EEvlllT_PT11_llS6_llS4_PT12_llPT13_lli
; %bb.0:
	s_clause 0x1
	s_load_dwordx16 s[12:27], s[4:5], 0x10
	s_load_dwordx2 s[10:11], s[4:5], 0x50
	s_mov_b32 s0, s7
	v_mov_b32_e32 v40, 0
	v_mov_b32_e32 v41, 0
	;; [unrolled: 1-line block ×17, first 2 shown]
	s_waitcnt lgkmcnt(0)
	v_cmp_lt_i64_e64 s2, s[12:13], 1
	v_mov_b32_e32 v25, 0
	v_mov_b32_e32 v22, 0
	;; [unrolled: 1-line block ×15, first 2 shown]
	s_ashr_i32 s7, s6, 31
	s_ashr_i32 s1, s0, 31
	s_lshl_b64 s[28:29], s[6:7], 6
	s_and_b32 vcc_lo, exec_lo, s2
	s_lshl_b64 s[30:31], s[0:1], 6
	s_cbranch_vccnz .LBB505_3
; %bb.1:
	v_lshl_add_u32 v6, v1, 4, v0
	v_and_b32_e32 v7, 3, v0
	s_mul_i32 s1, s21, s8
	s_mul_hi_u32 s2, s20, s8
	s_mul_hi_u32 s3, s26, s8
	v_lshrrev_b32_e32 v8, 2, v6
	v_and_b32_e32 v9, 63, v6
	v_lshlrev_b32_e32 v13, 3, v7
	v_lshrrev_b32_e32 v14, 6, v6
	s_add_i32 s1, s2, s1
	v_add_co_u32 v2, s0, v8, s30
	v_add_co_ci_u32_e64 v3, null, 0, s31, s0
	v_add_co_u32 v4, s0, s28, v9
	v_add_co_ci_u32_e64 v5, null, s29, 0, s0
	v_mad_u64_u32 v[2:3], null, s24, v7, v[2:3]
	v_mul_lo_u32 v11, s19, v4
	v_mul_lo_u32 v12, s18, v5
	v_mad_u64_u32 v[4:5], null, s18, v4, 0
	s_mul_i32 s0, s20, s8
	s_mul_i32 s2, s27, s8
	s_lshl_b64 s[0:1], s[0:1], 3
	s_add_i32 s3, s3, s2
	s_mul_i32 s2, s26, s8
	v_lshlrev_b32_e32 v9, 3, v9
	v_mad_u64_u32 v[6:7], null, s25, v7, v[3:4]
	v_add3_u32 v5, v5, v12, v11
	v_lshl_or_b32 v3, v8, 5, v13
	v_mov_b32_e32 v10, 0
	v_lshlrev_b32_e32 v42, 3, v0
	v_lshl_add_u32 v43, v1, 5, 0x800
	v_lshlrev_b64 v[4:5], 3, v[4:5]
	v_add_nc_u32_e32 v45, 0x800, v3
	v_mov_b32_e32 v3, v6
	v_lshlrev_b32_e32 v6, 3, v14
	v_lshl_or_b32 v44, v14, 9, v9
	v_mov_b32_e32 v11, 0
	v_add_co_u32 v4, vcc_lo, v4, s0
	v_lshlrev_b64 v[2:3], 3, v[2:3]
	v_add_co_ci_u32_e64 v5, null, s1, v5, vcc_lo
	s_lshl_b64 s[0:1], s[2:3], 3
	v_add_co_u32 v4, vcc_lo, v4, v6
	s_add_u32 s0, s22, s0
	v_add_co_ci_u32_e64 v5, null, 0, v5, vcc_lo
	s_addc_u32 s1, s23, s1
	v_add_co_u32 v6, vcc_lo, s0, v2
	v_add_co_ci_u32_e64 v7, null, s1, v3, vcc_lo
	v_add_co_u32 v2, vcc_lo, s16, v4
	v_add_co_ci_u32_e64 v3, null, s17, v5, vcc_lo
	v_add_co_u32 v4, vcc_lo, v6, 4
	v_add_co_ci_u32_e64 v5, null, 0, v7, vcc_lo
	v_mov_b32_e32 v13, 0
	v_mov_b32_e32 v12, 0
	;; [unrolled: 1-line block ×30, first 2 shown]
	s_lshl_b64 s[0:1], s[24:25], 5
	s_mov_b64 s[2:3], 0
.LBB505_2:                              ; =>This Inner Loop Header: Depth=1
	global_load_dwordx2 v[6:7], v[2:3], off
	global_load_dwordx2 v[8:9], v[4:5], off offset:-4
	s_add_u32 s2, s2, 4
	s_addc_u32 s3, s3, 0
	v_add_co_u32 v2, vcc_lo, v2, 32
	v_cmp_lt_i64_e64 s6, s[2:3], s[12:13]
	v_add_co_ci_u32_e64 v3, null, 0, v3, vcc_lo
	v_add_co_u32 v4, vcc_lo, v4, s0
	v_add_co_ci_u32_e64 v5, null, s1, v5, vcc_lo
	s_and_b32 vcc_lo, exec_lo, s6
	s_waitcnt vmcnt(1)
	v_xor_b32_e32 v7, 0x80000000, v7
	s_waitcnt vmcnt(0)
	v_xor_b32_e32 v9, 0x80000000, v9
	ds_write_b64 v44, v[6:7]
	ds_write_b64 v45, v[8:9]
	s_waitcnt lgkmcnt(0)
	s_barrier
	buffer_gl0_inv
	ds_read_b128 v[6:9], v43
	ds_read2_b64 v[46:49], v42 offset1:16
	ds_read_b128 v[50:53], v43 offset:512
	ds_read_b128 v[54:57], v43 offset:16
	;; [unrolled: 1-line block ×7, first 2 shown]
	ds_read2_b64 v[78:81], v42 offset0:32 offset1:48
	ds_read2_b64 v[82:85], v42 offset0:64 offset1:80
	;; [unrolled: 1-line block ×7, first 2 shown]
	s_waitcnt lgkmcnt(0)
	s_barrier
	buffer_gl0_inv
	v_mul_f32_e32 v106, v7, v47
	v_mul_f32_e32 v107, v6, v47
	;; [unrolled: 1-line block ×64, first 2 shown]
	v_fma_f32 v106, v6, v46, -v106
	v_fmac_f32_e32 v107, v7, v46
	v_fma_f32 v108, v6, v48, -v108
	v_fmac_f32_e32 v109, v7, v48
	;; [unrolled: 2-line block ×16, first 2 shown]
	v_mul_f32_e32 v162, v55, v91
	v_mul_f32_e32 v163, v54, v91
	;; [unrolled: 1-line block ×28, first 2 shown]
	v_fma_f32 v124, v8, v82, -v134
	v_fmac_f32_e32 v135, v9, v82
	v_fma_f32 v126, v8, v84, -v136
	v_fmac_f32_e32 v137, v9, v84
	;; [unrolled: 2-line block ×4, first 2 shown]
	v_mul_f32_e32 v9, v75, v95
	v_mul_f32_e32 v95, v74, v95
	;; [unrolled: 1-line block ×4, first 2 shown]
	v_fma_f32 v132, v52, v82, -v142
	v_fmac_f32_e32 v143, v53, v82
	v_fma_f32 v133, v52, v84, -v144
	v_fmac_f32_e32 v145, v53, v84
	;; [unrolled: 2-line block ×4, first 2 shown]
	v_mul_f32_e32 v136, v56, v99
	v_mul_f32_e32 v140, v56, v101
	v_fma_f32 v142, v64, v82, -v150
	v_fmac_f32_e32 v151, v65, v82
	v_fma_f32 v144, v64, v84, -v152
	v_fmac_f32_e32 v153, v65, v84
	;; [unrolled: 2-line block ×4, first 2 shown]
	v_mul_f32_e32 v148, v56, v103
	v_mul_f32_e32 v152, v56, v105
	v_fma_f32 v154, v72, v82, -v158
	v_fmac_f32_e32 v83, v73, v82
	v_fma_f32 v82, v72, v84, -v159
	v_fmac_f32_e32 v85, v73, v84
	;; [unrolled: 2-line block ×4, first 2 shown]
	v_add_f32_e32 v40, v40, v106
	v_add_f32_e32 v41, v41, v107
	;; [unrolled: 1-line block ×32, first 2 shown]
	v_mul_f32_e32 v53, v57, v99
	v_mul_f32_e32 v138, v57, v101
	;; [unrolled: 1-line block ×16, first 2 shown]
	v_fma_f32 v162, v54, v90, -v162
	v_fmac_f32_e32 v163, v55, v90
	v_fma_f32 v164, v54, v92, -v164
	v_fmac_f32_e32 v165, v55, v92
	;; [unrolled: 2-line block ×8, first 2 shown]
	v_mul_f32_e32 v92, v69, v103
	v_mul_f32_e32 v175, v68, v103
	;; [unrolled: 1-line block ×4, first 2 shown]
	v_fma_f32 v176, v54, v94, -v176
	v_fmac_f32_e32 v177, v55, v94
	v_fma_f32 v54, v54, v96, -v178
	v_fmac_f32_e32 v179, v55, v96
	;; [unrolled: 2-line block ×8, first 2 shown]
	v_mul_f32_e32 v67, v77, v99
	v_mul_f32_e32 v71, v76, v99
	;; [unrolled: 1-line block ×4, first 2 shown]
	v_fmac_f32_e32 v136, v57, v98
	v_fmac_f32_e32 v140, v57, v100
	;; [unrolled: 1-line block ×4, first 2 shown]
	v_mul_f32_e32 v57, v77, v103
	v_mul_f32_e32 v94, v76, v103
	;; [unrolled: 1-line block ×4, first 2 shown]
	v_add_f32_e32 v29, v40, v124
	v_add_f32_e32 v35, v41, v135
	;; [unrolled: 1-line block ×32, first 2 shown]
	v_fma_f32 v53, v56, v98, -v53
	v_fma_f32 v80, v56, v100, -v138
	;; [unrolled: 1-line block ×5, first 2 shown]
	v_fmac_f32_e32 v156, v61, v98
	v_fma_f32 v101, v60, v100, -v158
	v_fmac_f32_e32 v159, v61, v100
	v_fma_f32 v73, v60, v102, -v73
	;; [unrolled: 2-line block ×11, first 2 shown]
	v_fmac_f32_e32 v99, v77, v104
	v_add_f32_e32 v29, v29, v162
	v_add_f32_e32 v34, v35, v163
	;; [unrolled: 1-line block ×64, first 2 shown]
	s_cbranch_vccnz .LBB505_2
.LBB505_3:
	s_clause 0x1
	s_load_dwordx4 s[16:19], s[4:5], 0x78
	s_load_dwordx8 s[0:7], s[4:5], 0x58
	s_waitcnt lgkmcnt(0)
	s_mul_i32 s9, s19, s8
	s_mul_hi_u32 s13, s18, s8
	s_mul_i32 s12, s18, s8
	s_add_i32 s13, s13, s9
	s_lshl_b64 s[12:13], s[12:13], 3
	s_add_u32 s9, s6, s12
	s_addc_u32 s12, s7, s13
	v_add_co_u32 v4, s7, s30, v1
	v_add_co_ci_u32_e64 v5, null, s31, 0, s7
	v_add_co_u32 v0, s7, s28, v0
	s_or_b32 s6, s10, s11
	v_add_co_ci_u32_e64 v1, null, s29, 0, s7
	s_bitset0_b32 s6, 31
	s_mov_b32 s13, 0
	s_cmp_lg_u32 s6, 0
	s_cbranch_scc1 .LBB505_5
; %bb.4:
	v_mul_lo_u32 v6, v5, s16
	v_mul_lo_u32 v8, v4, s17
	v_mad_u64_u32 v[2:3], null, v4, s16, 0
	v_mul_f32_e32 v42, s15, v41
	v_mul_f32_e32 v7, s14, v41
	;; [unrolled: 1-line block ×6, first 2 shown]
	v_add3_u32 v3, v3, v8, v6
	v_lshlrev_b64 v[8:9], 3, v[0:1]
	v_mul_f32_e32 v48, s15, v35
	v_mul_f32_e32 v47, s14, v35
	v_fma_f32 v6, v40, s14, -v42
	v_lshlrev_b64 v[2:3], 3, v[2:3]
	v_fmac_f32_e32 v7, s15, v40
	v_fma_f32 v42, v38, s14, -v44
	v_fmac_f32_e32 v43, s15, v38
	s_lshl_b64 s[6:7], s[16:17], 7
	v_fma_f32 v44, v36, s14, -v46
	v_add_co_u32 v49, vcc_lo, s9, v2
	v_add_co_ci_u32_e64 v50, null, s12, v3, vcc_lo
	v_fmac_f32_e32 v45, s15, v36
	v_add_co_u32 v2, vcc_lo, v49, v8
	v_add_co_ci_u32_e64 v3, null, v50, v9, vcc_lo
	v_fma_f32 v46, v34, s14, -v48
	v_fmac_f32_e32 v47, s15, v34
	v_add_co_u32 v48, vcc_lo, v49, s6
	global_store_dwordx2 v[2:3], v[6:7], off
	global_store_dwordx2 v[2:3], v[42:43], off offset:128
	global_store_dwordx2 v[2:3], v[44:45], off offset:256
	;; [unrolled: 1-line block ×3, first 2 shown]
	v_mul_f32_e32 v2, s15, v33
	v_mul_f32_e32 v3, s14, v33
	v_add_co_ci_u32_e64 v49, null, s7, v50, vcc_lo
	v_mul_f32_e32 v6, s15, v31
	v_mul_f32_e32 v7, s14, v31
	;; [unrolled: 1-line block ×4, first 2 shown]
	v_add_co_u32 v44, vcc_lo, v48, v8
	v_fma_f32 v2, v32, s14, -v2
	v_fmac_f32_e32 v3, s15, v32
	v_add_co_ci_u32_e64 v45, null, v49, v9, vcc_lo
	v_fma_f32 v6, v30, s14, -v6
	v_fmac_f32_e32 v7, s15, v30
	v_fma_f32 v42, v28, s14, -v42
	v_fmac_f32_e32 v43, s15, v28
	v_add_co_u32 v52, vcc_lo, v48, s6
	v_mul_f32_e32 v46, s15, v27
	v_mul_f32_e32 v47, s14, v27
	global_store_dwordx2 v[44:45], v[2:3], off
	global_store_dwordx2 v[44:45], v[6:7], off offset:128
	global_store_dwordx2 v[44:45], v[42:43], off offset:256
	v_mul_f32_e32 v2, s15, v25
	v_mul_f32_e32 v3, s14, v25
	v_add_co_ci_u32_e64 v53, null, s7, v49, vcc_lo
	v_mul_f32_e32 v42, s15, v23
	v_mul_f32_e32 v43, s14, v23
	;; [unrolled: 1-line block ×4, first 2 shown]
	v_add_co_u32 v6, vcc_lo, v52, v8
	v_mul_f32_e32 v50, s15, v19
	v_mul_f32_e32 v51, s14, v19
	v_fma_f32 v46, v26, s14, -v46
	v_fmac_f32_e32 v47, s15, v26
	v_fma_f32 v2, v24, s14, -v2
	v_fmac_f32_e32 v3, s15, v24
	v_add_co_ci_u32_e64 v7, null, v53, v9, vcc_lo
	v_fma_f32 v42, v22, s14, -v42
	v_fmac_f32_e32 v43, s15, v22
	v_fma_f32 v48, v20, s14, -v48
	v_fmac_f32_e32 v49, s15, v20
	v_fma_f32 v50, v18, s14, -v50
	v_fmac_f32_e32 v51, s15, v18
	global_store_dwordx2 v[44:45], v[46:47], off offset:384
	global_store_dwordx2 v[6:7], v[2:3], off
	global_store_dwordx2 v[6:7], v[42:43], off offset:128
	global_store_dwordx2 v[6:7], v[48:49], off offset:256
	;; [unrolled: 1-line block ×3, first 2 shown]
	v_mul_f32_e32 v2, s15, v17
	v_add_co_u32 v3, vcc_lo, v52, s6
	v_add_co_ci_u32_e64 v6, null, s7, v53, vcc_lo
	v_fma_f32 v42, v16, s14, -v2
	v_mul_f32_e32 v2, s15, v15
	v_add_co_u32 v7, vcc_lo, v3, v8
	v_mul_f32_e32 v43, s14, v17
	v_add_co_ci_u32_e64 v8, null, v6, v9, vcc_lo
	v_fma_f32 v44, v14, s14, -v2
	v_mul_f32_e32 v2, s15, v13
	v_mul_f32_e32 v3, s15, v10
	;; [unrolled: 1-line block ×5, first 2 shown]
	v_fma_f32 v46, v12, s14, -v2
	v_add_co_u32 v2, vcc_lo, 0x180, v7
	v_fmac_f32_e32 v43, s15, v16
	v_fma_f32 v9, v11, s14, -v3
	v_fmac_f32_e32 v6, s15, v11
	v_add_co_ci_u32_e64 v3, null, 0, v8, vcc_lo
	v_fmac_f32_e32 v45, s15, v14
	v_fmac_f32_e32 v47, s15, v12
	global_store_dwordx2 v[7:8], v[42:43], off
	global_store_dwordx2 v[7:8], v[44:45], off offset:128
	global_store_dwordx2 v[7:8], v[46:47], off offset:256
	global_store_dword v[7:8], v9, off offset:384
	s_andn2_b32 vcc_lo, exec_lo, s13
	s_cbranch_vccz .LBB505_6
	s_branch .LBB505_7
.LBB505_5:
                                        ; implicit-def: $vgpr6
                                        ; implicit-def: $vgpr2_vgpr3
.LBB505_6:
	v_mul_lo_u32 v6, v5, s2
	v_mul_lo_u32 v7, v4, s3
	v_mad_u64_u32 v[2:3], null, v4, s2, 0
	s_mul_i32 s5, s5, s8
	s_mul_hi_u32 s6, s4, s8
	s_mul_i32 s4, s4, s8
	s_add_i32 s5, s6, s5
	v_lshlrev_b64 v[0:1], 3, v[0:1]
	s_lshl_b64 s[4:5], s[4:5], 3
	v_add3_u32 v3, v3, v7, v6
	s_add_u32 s0, s0, s4
	s_addc_u32 s1, s1, s5
	v_mul_lo_u32 v42, v5, s16
	v_mul_lo_u32 v43, v4, s17
	v_lshlrev_b64 v[2:3], 3, v[2:3]
	v_mad_u64_u32 v[4:5], null, v4, s16, 0
	v_add_co_u32 v8, vcc_lo, s0, v2
	v_add_co_ci_u32_e64 v9, null, s1, v3, vcc_lo
	v_add3_u32 v5, v5, v43, v42
	v_add_co_u32 v2, vcc_lo, v8, v0
	v_add_co_ci_u32_e64 v3, null, v9, v1, vcc_lo
	v_mul_f32_e32 v42, s15, v41
	v_mul_f32_e32 v41, s14, v41
	v_lshlrev_b64 v[4:5], 3, v[4:5]
	global_load_dwordx2 v[6:7], v[2:3], off
	s_lshl_b64 s[0:1], s[2:3], 7
	v_fma_f32 v42, v40, s14, -v42
	v_fmac_f32_e32 v41, s15, v40
	s_lshl_b64 s[2:3], s[16:17], 7
	v_add_co_u32 v43, vcc_lo, s9, v4
	v_add_co_ci_u32_e64 v44, null, s12, v5, vcc_lo
	v_add_co_u32 v4, vcc_lo, v43, v0
	v_add_co_ci_u32_e64 v5, null, v44, v1, vcc_lo
	;; [unrolled: 2-line block ×3, first 2 shown]
	s_waitcnt vmcnt(0)
	v_mul_f32_e32 v40, s11, v7
	v_mul_f32_e32 v7, s10, v7
	v_fma_f32 v40, v6, s10, -v40
	v_fmac_f32_e32 v7, s11, v6
	v_add_f32_e32 v6, v42, v40
	v_add_f32_e32 v7, v41, v7
	v_mul_f32_e32 v40, s15, v39
	v_mul_f32_e32 v39, s14, v39
	global_store_dwordx2 v[4:5], v[6:7], off
	global_load_dwordx2 v[6:7], v[2:3], off offset:128
	v_fma_f32 v40, v38, s14, -v40
	v_fmac_f32_e32 v39, s15, v38
	s_waitcnt vmcnt(0)
	v_mul_f32_e32 v41, s11, v7
	v_mul_f32_e32 v7, s10, v7
	v_fma_f32 v38, v6, s10, -v41
	v_fmac_f32_e32 v7, s11, v6
	v_add_f32_e32 v6, v40, v38
	v_add_f32_e32 v7, v39, v7
	v_mul_f32_e32 v38, s15, v37
	v_mul_f32_e32 v37, s14, v37
	global_store_dwordx2 v[4:5], v[6:7], off offset:128
	global_load_dwordx2 v[6:7], v[2:3], off offset:256
	v_fma_f32 v38, v36, s14, -v38
	v_fmac_f32_e32 v37, s15, v36
	s_waitcnt vmcnt(0)
	v_mul_f32_e32 v39, s11, v7
	v_mul_f32_e32 v7, s10, v7
	v_fma_f32 v36, v6, s10, -v39
	v_fmac_f32_e32 v7, s11, v6
	v_add_f32_e32 v6, v38, v36
	v_add_f32_e32 v7, v37, v7
	global_store_dwordx2 v[4:5], v[6:7], off offset:256
	global_load_dwordx2 v[2:3], v[2:3], off offset:384
	v_mul_f32_e32 v6, s15, v35
	v_mul_f32_e32 v7, s14, v35
	v_fma_f32 v6, v34, s14, -v6
	v_fmac_f32_e32 v7, s15, v34
	s_waitcnt vmcnt(0)
	v_mul_f32_e32 v35, s11, v3
	v_mul_f32_e32 v3, s10, v3
	v_fma_f32 v34, v2, s10, -v35
	v_fmac_f32_e32 v3, s11, v2
	v_add_f32_e32 v2, v6, v34
	v_add_co_u32 v6, vcc_lo, v8, v0
	v_add_f32_e32 v3, v7, v3
	v_add_co_ci_u32_e64 v7, null, v9, v1, vcc_lo
	v_add_co_u32 v34, vcc_lo, v43, s2
	global_store_dwordx2 v[4:5], v[2:3], off offset:384
	global_load_dwordx2 v[2:3], v[6:7], off
	v_mul_f32_e32 v4, s15, v33
	v_mul_f32_e32 v5, s14, v33
	v_add_co_ci_u32_e64 v35, null, s3, v44, vcc_lo
	v_fma_f32 v4, v32, s14, -v4
	v_fmac_f32_e32 v5, s15, v32
	s_waitcnt vmcnt(0)
	v_mul_f32_e32 v32, s11, v3
	v_mul_f32_e32 v33, s10, v3
	v_fma_f32 v32, v2, s10, -v32
	v_fmac_f32_e32 v33, s11, v2
	v_add_co_u32 v2, vcc_lo, v34, v0
	v_add_co_ci_u32_e64 v3, null, v35, v1, vcc_lo
	v_add_f32_e32 v4, v4, v32
	v_add_f32_e32 v5, v5, v33
	v_mul_f32_e32 v32, s15, v31
	v_mul_f32_e32 v31, s14, v31
	v_add_co_u32 v8, vcc_lo, v8, s0
	global_store_dwordx2 v[2:3], v[4:5], off
	global_load_dwordx2 v[4:5], v[6:7], off offset:128
	v_fma_f32 v32, v30, s14, -v32
	v_fmac_f32_e32 v31, s15, v30
	v_add_co_ci_u32_e64 v9, null, s1, v9, vcc_lo
	s_waitcnt vmcnt(0)
	v_mul_f32_e32 v33, s11, v5
	v_mul_f32_e32 v5, s10, v5
	v_fma_f32 v30, v4, s10, -v33
	v_fmac_f32_e32 v5, s11, v4
	v_add_f32_e32 v4, v32, v30
	v_add_f32_e32 v5, v31, v5
	v_mul_f32_e32 v30, s15, v29
	v_mul_f32_e32 v29, s14, v29
	global_store_dwordx2 v[2:3], v[4:5], off offset:128
	global_load_dwordx2 v[4:5], v[6:7], off offset:256
	v_fma_f32 v30, v28, s14, -v30
	v_fmac_f32_e32 v29, s15, v28
	s_waitcnt vmcnt(0)
	v_mul_f32_e32 v31, s11, v5
	v_mul_f32_e32 v5, s10, v5
	v_fma_f32 v28, v4, s10, -v31
	v_fmac_f32_e32 v5, s11, v4
	v_add_f32_e32 v4, v30, v28
	v_add_f32_e32 v5, v29, v5
	global_store_dwordx2 v[2:3], v[4:5], off offset:256
	global_load_dwordx2 v[4:5], v[6:7], off offset:384
	v_mul_f32_e32 v6, s15, v27
	v_mul_f32_e32 v7, s14, v27
	v_fma_f32 v6, v26, s14, -v6
	v_fmac_f32_e32 v7, s15, v26
	s_waitcnt vmcnt(0)
	v_mul_f32_e32 v27, s11, v5
	v_mul_f32_e32 v5, s10, v5
	v_fma_f32 v26, v4, s10, -v27
	v_fmac_f32_e32 v5, s11, v4
	v_add_f32_e32 v4, v6, v26
	v_add_co_u32 v6, vcc_lo, v8, v0
	v_add_f32_e32 v5, v7, v5
	v_add_co_ci_u32_e64 v7, null, v9, v1, vcc_lo
	v_add_co_u32 v26, vcc_lo, v34, s2
	global_store_dwordx2 v[2:3], v[4:5], off offset:384
	global_load_dwordx2 v[2:3], v[6:7], off
	v_mul_f32_e32 v4, s15, v25
	v_mul_f32_e32 v5, s14, v25
	v_add_co_ci_u32_e64 v27, null, s3, v35, vcc_lo
	v_fma_f32 v4, v24, s14, -v4
	v_fmac_f32_e32 v5, s15, v24
	s_waitcnt vmcnt(0)
	v_mul_f32_e32 v24, s11, v3
	v_mul_f32_e32 v25, s10, v3
	v_fma_f32 v24, v2, s10, -v24
	v_fmac_f32_e32 v25, s11, v2
	v_add_co_u32 v2, vcc_lo, v26, v0
	v_add_co_ci_u32_e64 v3, null, v27, v1, vcc_lo
	v_add_f32_e32 v4, v4, v24
	v_add_f32_e32 v5, v5, v25
	v_mul_f32_e32 v24, s15, v23
	v_mul_f32_e32 v23, s14, v23
	v_add_co_u32 v8, vcc_lo, v8, s0
	global_store_dwordx2 v[2:3], v[4:5], off
	global_load_dwordx2 v[4:5], v[6:7], off offset:128
	v_fma_f32 v24, v22, s14, -v24
	v_fmac_f32_e32 v23, s15, v22
	v_add_co_ci_u32_e64 v9, null, s1, v9, vcc_lo
	s_waitcnt vmcnt(0)
	v_mul_f32_e32 v25, s11, v5
	v_mul_f32_e32 v5, s10, v5
	v_fma_f32 v22, v4, s10, -v25
	v_fmac_f32_e32 v5, s11, v4
	v_add_f32_e32 v4, v24, v22
	v_add_f32_e32 v5, v23, v5
	v_mul_f32_e32 v22, s15, v21
	v_mul_f32_e32 v21, s14, v21
	global_store_dwordx2 v[2:3], v[4:5], off offset:128
	global_load_dwordx2 v[4:5], v[6:7], off offset:256
	v_fma_f32 v22, v20, s14, -v22
	v_fmac_f32_e32 v21, s15, v20
	s_waitcnt vmcnt(0)
	v_mul_f32_e32 v23, s11, v5
	v_mul_f32_e32 v5, s10, v5
	v_fma_f32 v20, v4, s10, -v23
	v_fmac_f32_e32 v5, s11, v4
	v_add_f32_e32 v4, v22, v20
	v_add_f32_e32 v5, v21, v5
	global_store_dwordx2 v[2:3], v[4:5], off offset:256
	global_load_dwordx2 v[4:5], v[6:7], off offset:384
	v_mul_f32_e32 v6, s15, v19
	v_mul_f32_e32 v7, s14, v19
	v_fma_f32 v6, v18, s14, -v6
	v_fmac_f32_e32 v7, s15, v18
	s_waitcnt vmcnt(0)
	v_mul_f32_e32 v19, s11, v5
	v_mul_f32_e32 v5, s10, v5
	v_fma_f32 v18, v4, s10, -v19
	v_fmac_f32_e32 v5, s11, v4
	v_add_f32_e32 v4, v6, v18
	v_add_co_u32 v6, vcc_lo, v8, v0
	v_add_f32_e32 v5, v7, v5
	v_add_co_ci_u32_e64 v7, null, v9, v1, vcc_lo
	v_add_co_u32 v9, vcc_lo, v26, s2
	global_store_dwordx2 v[2:3], v[4:5], off offset:384
	global_load_dwordx2 v[2:3], v[6:7], off
	v_mul_f32_e32 v4, s15, v17
	v_mul_f32_e32 v5, s14, v17
	v_fma_f32 v4, v16, s14, -v4
	v_fmac_f32_e32 v5, s15, v16
	v_add_co_ci_u32_e64 v16, null, s3, v27, vcc_lo
	v_add_co_u32 v0, vcc_lo, v9, v0
	v_add_co_ci_u32_e64 v1, null, v16, v1, vcc_lo
	s_waitcnt vmcnt(0)
	v_mul_f32_e32 v8, s11, v3
	v_mul_f32_e32 v3, s10, v3
	v_fma_f32 v8, v2, s10, -v8
	v_fmac_f32_e32 v3, s11, v2
	v_add_f32_e32 v2, v4, v8
	v_add_f32_e32 v3, v5, v3
	v_mul_f32_e32 v4, s15, v15
	v_mul_f32_e32 v5, s14, v15
	global_store_dwordx2 v[0:1], v[2:3], off
	global_load_dwordx2 v[2:3], v[6:7], off offset:128
	v_fma_f32 v4, v14, s14, -v4
	v_fmac_f32_e32 v5, s15, v14
	s_waitcnt vmcnt(0)
	v_mul_f32_e32 v8, s11, v3
	v_mul_f32_e32 v3, s10, v3
	v_fma_f32 v8, v2, s10, -v8
	v_fmac_f32_e32 v3, s11, v2
	v_add_f32_e32 v2, v4, v8
	v_add_f32_e32 v3, v5, v3
	v_mul_f32_e32 v4, s15, v13
	v_mul_f32_e32 v5, s14, v13
	global_store_dwordx2 v[0:1], v[2:3], off offset:128
	global_load_dwordx2 v[2:3], v[6:7], off offset:256
	v_fma_f32 v4, v12, s14, -v4
	v_fmac_f32_e32 v5, s15, v12
	s_waitcnt vmcnt(0)
	v_mul_f32_e32 v8, s11, v3
	v_mul_f32_e32 v3, s10, v3
	v_fma_f32 v8, v2, s10, -v8
	v_fmac_f32_e32 v3, s11, v2
	v_add_f32_e32 v2, v4, v8
	v_add_f32_e32 v3, v5, v3
	v_mul_f32_e32 v4, s15, v10
	v_mul_f32_e32 v5, s14, v10
	global_store_dwordx2 v[0:1], v[2:3], off offset:256
	global_load_dwordx2 v[2:3], v[6:7], off offset:384
	v_fma_f32 v4, v11, s14, -v4
	v_fmac_f32_e32 v5, s15, v11
	s_waitcnt vmcnt(0)
	v_mul_f32_e32 v6, s11, v3
	v_mul_f32_e32 v3, s10, v3
	v_fma_f32 v6, v2, s10, -v6
	v_fmac_f32_e32 v3, s11, v2
	v_add_co_u32 v2, vcc_lo, 0x180, v0
	v_add_f32_e32 v4, v4, v6
	v_add_f32_e32 v6, v5, v3
	v_add_co_ci_u32_e64 v3, null, 0, v1, vcc_lo
	global_store_dword v[0:1], v4, off offset:384
.LBB505_7:
	global_store_dword v[2:3], v6, off offset:4
	s_endpgm
	.section	.rodata,"a",@progbits
	.p2align	6, 0x0
	.amdhsa_kernel _ZN12_GLOBAL__N_127rocblas_gemm_batched_kernelI19rocblas_complex_numIfELi16ELi16ELi64ELi64ELi4ELi64ELi4ELi4ELi64ELc67ELc67EKS2_S3_S2_EEvlllT_PT11_llS6_llS4_PT12_llPT13_lli
		.amdhsa_group_segment_fixed_size 4096
		.amdhsa_private_segment_fixed_size 0
		.amdhsa_kernarg_size 140
		.amdhsa_user_sgpr_count 6
		.amdhsa_user_sgpr_private_segment_buffer 1
		.amdhsa_user_sgpr_dispatch_ptr 0
		.amdhsa_user_sgpr_queue_ptr 0
		.amdhsa_user_sgpr_kernarg_segment_ptr 1
		.amdhsa_user_sgpr_dispatch_id 0
		.amdhsa_user_sgpr_flat_scratch_init 0
		.amdhsa_user_sgpr_private_segment_size 0
		.amdhsa_wavefront_size32 1
		.amdhsa_uses_dynamic_stack 0
		.amdhsa_system_sgpr_private_segment_wavefront_offset 0
		.amdhsa_system_sgpr_workgroup_id_x 1
		.amdhsa_system_sgpr_workgroup_id_y 1
		.amdhsa_system_sgpr_workgroup_id_z 1
		.amdhsa_system_sgpr_workgroup_info 0
		.amdhsa_system_vgpr_workitem_id 1
		.amdhsa_next_free_vgpr 188
		.amdhsa_next_free_sgpr 32
		.amdhsa_reserve_vcc 1
		.amdhsa_reserve_flat_scratch 0
		.amdhsa_float_round_mode_32 0
		.amdhsa_float_round_mode_16_64 0
		.amdhsa_float_denorm_mode_32 3
		.amdhsa_float_denorm_mode_16_64 3
		.amdhsa_dx10_clamp 1
		.amdhsa_ieee_mode 1
		.amdhsa_fp16_overflow 0
		.amdhsa_workgroup_processor_mode 1
		.amdhsa_memory_ordered 1
		.amdhsa_forward_progress 1
		.amdhsa_shared_vgpr_count 0
		.amdhsa_exception_fp_ieee_invalid_op 0
		.amdhsa_exception_fp_denorm_src 0
		.amdhsa_exception_fp_ieee_div_zero 0
		.amdhsa_exception_fp_ieee_overflow 0
		.amdhsa_exception_fp_ieee_underflow 0
		.amdhsa_exception_fp_ieee_inexact 0
		.amdhsa_exception_int_div_zero 0
	.end_amdhsa_kernel
	.section	.text._ZN12_GLOBAL__N_127rocblas_gemm_batched_kernelI19rocblas_complex_numIfELi16ELi16ELi64ELi64ELi4ELi64ELi4ELi4ELi64ELc67ELc67EKS2_S3_S2_EEvlllT_PT11_llS6_llS4_PT12_llPT13_lli,"axG",@progbits,_ZN12_GLOBAL__N_127rocblas_gemm_batched_kernelI19rocblas_complex_numIfELi16ELi16ELi64ELi64ELi4ELi64ELi4ELi4ELi64ELc67ELc67EKS2_S3_S2_EEvlllT_PT11_llS6_llS4_PT12_llPT13_lli,comdat
.Lfunc_end505:
	.size	_ZN12_GLOBAL__N_127rocblas_gemm_batched_kernelI19rocblas_complex_numIfELi16ELi16ELi64ELi64ELi4ELi64ELi4ELi4ELi64ELc67ELc67EKS2_S3_S2_EEvlllT_PT11_llS6_llS4_PT12_llPT13_lli, .Lfunc_end505-_ZN12_GLOBAL__N_127rocblas_gemm_batched_kernelI19rocblas_complex_numIfELi16ELi16ELi64ELi64ELi4ELi64ELi4ELi4ELi64ELc67ELc67EKS2_S3_S2_EEvlllT_PT11_llS6_llS4_PT12_llPT13_lli
                                        ; -- End function
	.set _ZN12_GLOBAL__N_127rocblas_gemm_batched_kernelI19rocblas_complex_numIfELi16ELi16ELi64ELi64ELi4ELi64ELi4ELi4ELi64ELc67ELc67EKS2_S3_S2_EEvlllT_PT11_llS6_llS4_PT12_llPT13_lli.num_vgpr, 188
	.set _ZN12_GLOBAL__N_127rocblas_gemm_batched_kernelI19rocblas_complex_numIfELi16ELi16ELi64ELi64ELi4ELi64ELi4ELi4ELi64ELc67ELc67EKS2_S3_S2_EEvlllT_PT11_llS6_llS4_PT12_llPT13_lli.num_agpr, 0
	.set _ZN12_GLOBAL__N_127rocblas_gemm_batched_kernelI19rocblas_complex_numIfELi16ELi16ELi64ELi64ELi4ELi64ELi4ELi4ELi64ELc67ELc67EKS2_S3_S2_EEvlllT_PT11_llS6_llS4_PT12_llPT13_lli.numbered_sgpr, 32
	.set _ZN12_GLOBAL__N_127rocblas_gemm_batched_kernelI19rocblas_complex_numIfELi16ELi16ELi64ELi64ELi4ELi64ELi4ELi4ELi64ELc67ELc67EKS2_S3_S2_EEvlllT_PT11_llS6_llS4_PT12_llPT13_lli.num_named_barrier, 0
	.set _ZN12_GLOBAL__N_127rocblas_gemm_batched_kernelI19rocblas_complex_numIfELi16ELi16ELi64ELi64ELi4ELi64ELi4ELi4ELi64ELc67ELc67EKS2_S3_S2_EEvlllT_PT11_llS6_llS4_PT12_llPT13_lli.private_seg_size, 0
	.set _ZN12_GLOBAL__N_127rocblas_gemm_batched_kernelI19rocblas_complex_numIfELi16ELi16ELi64ELi64ELi4ELi64ELi4ELi4ELi64ELc67ELc67EKS2_S3_S2_EEvlllT_PT11_llS6_llS4_PT12_llPT13_lli.uses_vcc, 1
	.set _ZN12_GLOBAL__N_127rocblas_gemm_batched_kernelI19rocblas_complex_numIfELi16ELi16ELi64ELi64ELi4ELi64ELi4ELi4ELi64ELc67ELc67EKS2_S3_S2_EEvlllT_PT11_llS6_llS4_PT12_llPT13_lli.uses_flat_scratch, 0
	.set _ZN12_GLOBAL__N_127rocblas_gemm_batched_kernelI19rocblas_complex_numIfELi16ELi16ELi64ELi64ELi4ELi64ELi4ELi4ELi64ELc67ELc67EKS2_S3_S2_EEvlllT_PT11_llS6_llS4_PT12_llPT13_lli.has_dyn_sized_stack, 0
	.set _ZN12_GLOBAL__N_127rocblas_gemm_batched_kernelI19rocblas_complex_numIfELi16ELi16ELi64ELi64ELi4ELi64ELi4ELi4ELi64ELc67ELc67EKS2_S3_S2_EEvlllT_PT11_llS6_llS4_PT12_llPT13_lli.has_recursion, 0
	.set _ZN12_GLOBAL__N_127rocblas_gemm_batched_kernelI19rocblas_complex_numIfELi16ELi16ELi64ELi64ELi4ELi64ELi4ELi4ELi64ELc67ELc67EKS2_S3_S2_EEvlllT_PT11_llS6_llS4_PT12_llPT13_lli.has_indirect_call, 0
	.section	.AMDGPU.csdata,"",@progbits
; Kernel info:
; codeLenInByte = 4956
; TotalNumSgprs: 34
; NumVgprs: 188
; ScratchSize: 0
; MemoryBound: 0
; FloatMode: 240
; IeeeMode: 1
; LDSByteSize: 4096 bytes/workgroup (compile time only)
; SGPRBlocks: 0
; VGPRBlocks: 23
; NumSGPRsForWavesPerEU: 34
; NumVGPRsForWavesPerEU: 188
; Occupancy: 5
; WaveLimiterHint : 1
; COMPUTE_PGM_RSRC2:SCRATCH_EN: 0
; COMPUTE_PGM_RSRC2:USER_SGPR: 6
; COMPUTE_PGM_RSRC2:TRAP_HANDLER: 0
; COMPUTE_PGM_RSRC2:TGID_X_EN: 1
; COMPUTE_PGM_RSRC2:TGID_Y_EN: 1
; COMPUTE_PGM_RSRC2:TGID_Z_EN: 1
; COMPUTE_PGM_RSRC2:TIDIG_COMP_CNT: 1
	.section	.text._ZN12_GLOBAL__N_127rocblas_gemm_batched_kernelI19rocblas_complex_numIfELi16ELi16ELi64ELi64ELi4ELi64ELi4ELi4ELi64ELc67ELc78EKS2_S3_S2_EEvlllT_PT11_llS6_llS4_PT12_llPT13_lli,"axG",@progbits,_ZN12_GLOBAL__N_127rocblas_gemm_batched_kernelI19rocblas_complex_numIfELi16ELi16ELi64ELi64ELi4ELi64ELi4ELi4ELi64ELc67ELc78EKS2_S3_S2_EEvlllT_PT11_llS6_llS4_PT12_llPT13_lli,comdat
	.globl	_ZN12_GLOBAL__N_127rocblas_gemm_batched_kernelI19rocblas_complex_numIfELi16ELi16ELi64ELi64ELi4ELi64ELi4ELi4ELi64ELc67ELc78EKS2_S3_S2_EEvlllT_PT11_llS6_llS4_PT12_llPT13_lli ; -- Begin function _ZN12_GLOBAL__N_127rocblas_gemm_batched_kernelI19rocblas_complex_numIfELi16ELi16ELi64ELi64ELi4ELi64ELi4ELi4ELi64ELc67ELc78EKS2_S3_S2_EEvlllT_PT11_llS6_llS4_PT12_llPT13_lli
	.p2align	8
	.type	_ZN12_GLOBAL__N_127rocblas_gemm_batched_kernelI19rocblas_complex_numIfELi16ELi16ELi64ELi64ELi4ELi64ELi4ELi4ELi64ELc67ELc78EKS2_S3_S2_EEvlllT_PT11_llS6_llS4_PT12_llPT13_lli,@function
_ZN12_GLOBAL__N_127rocblas_gemm_batched_kernelI19rocblas_complex_numIfELi16ELi16ELi64ELi64ELi4ELi64ELi4ELi4ELi64ELc67ELc78EKS2_S3_S2_EEvlllT_PT11_llS6_llS4_PT12_llPT13_lli: ; @_ZN12_GLOBAL__N_127rocblas_gemm_batched_kernelI19rocblas_complex_numIfELi16ELi16ELi64ELi64ELi4ELi64ELi4ELi4ELi64ELc67ELc78EKS2_S3_S2_EEvlllT_PT11_llS6_llS4_PT12_llPT13_lli
; %bb.0:
	s_clause 0x1
	s_load_dwordx16 s[12:27], s[4:5], 0x10
	s_load_dwordx2 s[10:11], s[4:5], 0x50
	s_mov_b32 s0, s7
	v_mov_b32_e32 v40, 0
	v_mov_b32_e32 v41, 0
	;; [unrolled: 1-line block ×17, first 2 shown]
	s_waitcnt lgkmcnt(0)
	v_cmp_lt_i64_e64 s2, s[12:13], 1
	v_mov_b32_e32 v25, 0
	v_mov_b32_e32 v22, 0
	;; [unrolled: 1-line block ×15, first 2 shown]
	s_ashr_i32 s7, s6, 31
	s_ashr_i32 s1, s0, 31
	s_lshl_b64 s[28:29], s[6:7], 6
	s_and_b32 vcc_lo, exec_lo, s2
	s_lshl_b64 s[30:31], s[0:1], 6
	s_cbranch_vccnz .LBB506_3
; %bb.1:
	v_lshl_add_u32 v2, v1, 4, v0
	v_and_b32_e32 v3, 3, v0
	s_mul_hi_u32 s1, s20, s8
	v_mov_b32_e32 v10, 0
	v_lshlrev_b32_e32 v44, 3, v0
	v_and_b32_e32 v4, 63, v2
	v_lshlrev_b32_e32 v6, 3, v3
	v_lshrrev_b32_e32 v5, 2, v2
	v_lshrrev_b32_e32 v8, 6, v2
	v_lshl_add_u32 v45, v1, 5, 0x800
	v_add_co_u32 v3, s0, s28, v4
	v_add_co_ci_u32_e64 v7, null, s29, 0, s0
	v_lshl_or_b32 v9, v5, 5, v6
	v_mul_lo_u32 v11, s19, v3
	v_mad_u64_u32 v[2:3], null, s18, v3, 0
	v_mul_lo_u32 v7, s18, v7
	v_add_co_u32 v5, s0, v5, s30
	v_lshlrev_b32_e32 v4, 3, v4
	v_add_co_ci_u32_e64 v12, null, 0, s31, s0
	v_add_nc_u32_e32 v43, 0x800, v9
	s_mul_i32 s0, s21, s8
	v_lshl_or_b32 v42, v8, 9, v4
	v_add3_u32 v3, v3, v7, v11
	v_mul_lo_u32 v7, s25, v5
	v_mul_lo_u32 v9, s24, v12
	v_mad_u64_u32 v[4:5], null, s24, v5, 0
	v_lshlrev_b64 v[2:3], 3, v[2:3]
	s_add_i32 s1, s1, s0
	s_mul_i32 s0, s20, s8
	v_lshlrev_b32_e32 v8, 3, v8
	s_lshl_b64 s[0:1], s[0:1], 3
	v_mov_b32_e32 v11, 0
	v_add3_u32 v5, v5, v9, v7
	v_add_co_u32 v7, vcc_lo, v2, s0
	v_add_co_ci_u32_e64 v9, null, s1, v3, vcc_lo
	s_mul_i32 s0, s27, s8
	s_mul_hi_u32 s1, s26, s8
	v_lshlrev_b64 v[2:3], 3, v[4:5]
	s_add_i32 s1, s1, s0
	s_mul_i32 s0, s26, s8
	v_add_co_u32 v4, vcc_lo, v7, v8
	s_lshl_b64 s[0:1], s[0:1], 3
	v_add_co_ci_u32_e64 v5, null, 0, v9, vcc_lo
	v_add_co_u32 v2, vcc_lo, v2, s0
	v_add_co_ci_u32_e64 v3, null, s1, v3, vcc_lo
	v_add_co_u32 v4, vcc_lo, s16, v4
	;; [unrolled: 2-line block ×5, first 2 shown]
	v_add_co_ci_u32_e64 v5, null, s23, v7, vcc_lo
	v_mov_b32_e32 v13, 0
	v_mov_b32_e32 v12, 0
	;; [unrolled: 1-line block ×30, first 2 shown]
	s_mov_b64 s[0:1], 0
.LBB506_2:                              ; =>This Inner Loop Header: Depth=1
	global_load_dwordx2 v[6:7], v[2:3], off offset:-4
	global_load_dwordx2 v[8:9], v[4:5], off
	s_add_u32 s0, s0, 4
	s_addc_u32 s1, s1, 0
	v_add_co_u32 v2, vcc_lo, v2, 32
	v_cmp_lt_i64_e64 s2, s[0:1], s[12:13]
	v_add_co_ci_u32_e64 v3, null, 0, v3, vcc_lo
	v_add_co_u32 v4, vcc_lo, v4, 32
	v_add_co_ci_u32_e64 v5, null, 0, v5, vcc_lo
	s_and_b32 vcc_lo, exec_lo, s2
	s_waitcnt vmcnt(1)
	v_xor_b32_e32 v7, 0x80000000, v7
	s_waitcnt vmcnt(0)
	ds_write_b64 v43, v[8:9]
	ds_write_b64 v42, v[6:7]
	s_waitcnt lgkmcnt(0)
	s_barrier
	buffer_gl0_inv
	ds_read_b128 v[6:9], v45
	ds_read2_b64 v[46:49], v44 offset1:16
	ds_read_b128 v[50:53], v45 offset:512
	ds_read_b128 v[54:57], v45 offset:16
	;; [unrolled: 1-line block ×7, first 2 shown]
	ds_read2_b64 v[78:81], v44 offset0:32 offset1:48
	ds_read2_b64 v[82:85], v44 offset0:64 offset1:80
	;; [unrolled: 1-line block ×7, first 2 shown]
	s_waitcnt lgkmcnt(0)
	s_barrier
	buffer_gl0_inv
	v_mul_f32_e32 v106, v7, v47
	v_mul_f32_e32 v107, v6, v47
	;; [unrolled: 1-line block ×64, first 2 shown]
	v_fma_f32 v106, v6, v46, -v106
	v_fmac_f32_e32 v107, v7, v46
	v_fma_f32 v108, v6, v48, -v108
	v_fmac_f32_e32 v109, v7, v48
	;; [unrolled: 2-line block ×16, first 2 shown]
	v_mul_f32_e32 v162, v55, v91
	v_mul_f32_e32 v163, v54, v91
	;; [unrolled: 1-line block ×28, first 2 shown]
	v_fma_f32 v124, v8, v82, -v134
	v_fmac_f32_e32 v135, v9, v82
	v_fma_f32 v126, v8, v84, -v136
	v_fmac_f32_e32 v137, v9, v84
	;; [unrolled: 2-line block ×4, first 2 shown]
	v_mul_f32_e32 v9, v75, v95
	v_mul_f32_e32 v95, v74, v95
	;; [unrolled: 1-line block ×4, first 2 shown]
	v_fma_f32 v132, v52, v82, -v142
	v_fmac_f32_e32 v143, v53, v82
	v_fma_f32 v133, v52, v84, -v144
	v_fmac_f32_e32 v145, v53, v84
	;; [unrolled: 2-line block ×4, first 2 shown]
	v_mul_f32_e32 v136, v56, v99
	v_mul_f32_e32 v140, v56, v101
	v_fma_f32 v142, v64, v82, -v150
	v_fmac_f32_e32 v151, v65, v82
	v_fma_f32 v144, v64, v84, -v152
	v_fmac_f32_e32 v153, v65, v84
	;; [unrolled: 2-line block ×4, first 2 shown]
	v_mul_f32_e32 v148, v56, v103
	v_mul_f32_e32 v152, v56, v105
	v_fma_f32 v154, v72, v82, -v158
	v_fmac_f32_e32 v83, v73, v82
	v_fma_f32 v82, v72, v84, -v159
	v_fmac_f32_e32 v85, v73, v84
	;; [unrolled: 2-line block ×4, first 2 shown]
	v_add_f32_e32 v40, v40, v106
	v_add_f32_e32 v41, v41, v107
	;; [unrolled: 1-line block ×32, first 2 shown]
	v_mul_f32_e32 v53, v57, v99
	v_mul_f32_e32 v138, v57, v101
	;; [unrolled: 1-line block ×16, first 2 shown]
	v_fma_f32 v162, v54, v90, -v162
	v_fmac_f32_e32 v163, v55, v90
	v_fma_f32 v164, v54, v92, -v164
	v_fmac_f32_e32 v165, v55, v92
	;; [unrolled: 2-line block ×8, first 2 shown]
	v_mul_f32_e32 v92, v69, v103
	v_mul_f32_e32 v175, v68, v103
	;; [unrolled: 1-line block ×4, first 2 shown]
	v_fma_f32 v176, v54, v94, -v176
	v_fmac_f32_e32 v177, v55, v94
	v_fma_f32 v54, v54, v96, -v178
	v_fmac_f32_e32 v179, v55, v96
	;; [unrolled: 2-line block ×8, first 2 shown]
	v_mul_f32_e32 v67, v77, v99
	v_mul_f32_e32 v71, v76, v99
	;; [unrolled: 1-line block ×4, first 2 shown]
	v_fmac_f32_e32 v136, v57, v98
	v_fmac_f32_e32 v140, v57, v100
	;; [unrolled: 1-line block ×4, first 2 shown]
	v_mul_f32_e32 v57, v77, v103
	v_mul_f32_e32 v94, v76, v103
	;; [unrolled: 1-line block ×4, first 2 shown]
	v_add_f32_e32 v29, v40, v124
	v_add_f32_e32 v35, v41, v135
	;; [unrolled: 1-line block ×32, first 2 shown]
	v_fma_f32 v53, v56, v98, -v53
	v_fma_f32 v80, v56, v100, -v138
	;; [unrolled: 1-line block ×5, first 2 shown]
	v_fmac_f32_e32 v156, v61, v98
	v_fma_f32 v101, v60, v100, -v158
	v_fmac_f32_e32 v159, v61, v100
	v_fma_f32 v73, v60, v102, -v73
	;; [unrolled: 2-line block ×11, first 2 shown]
	v_fmac_f32_e32 v99, v77, v104
	v_add_f32_e32 v29, v29, v162
	v_add_f32_e32 v34, v35, v163
	;; [unrolled: 1-line block ×64, first 2 shown]
	s_cbranch_vccnz .LBB506_2
.LBB506_3:
	s_clause 0x1
	s_load_dwordx4 s[16:19], s[4:5], 0x78
	s_load_dwordx8 s[0:7], s[4:5], 0x58
	s_waitcnt lgkmcnt(0)
	s_mul_i32 s9, s19, s8
	s_mul_hi_u32 s13, s18, s8
	s_mul_i32 s12, s18, s8
	s_add_i32 s13, s13, s9
	s_lshl_b64 s[12:13], s[12:13], 3
	s_add_u32 s9, s6, s12
	s_addc_u32 s12, s7, s13
	v_add_co_u32 v4, s7, s30, v1
	v_add_co_ci_u32_e64 v5, null, s31, 0, s7
	v_add_co_u32 v0, s7, s28, v0
	s_or_b32 s6, s10, s11
	v_add_co_ci_u32_e64 v1, null, s29, 0, s7
	s_bitset0_b32 s6, 31
	s_mov_b32 s13, 0
	s_cmp_lg_u32 s6, 0
	s_cbranch_scc1 .LBB506_5
; %bb.4:
	v_mul_lo_u32 v6, v5, s16
	v_mul_lo_u32 v8, v4, s17
	v_mad_u64_u32 v[2:3], null, v4, s16, 0
	v_mul_f32_e32 v42, s15, v41
	v_mul_f32_e32 v7, s14, v41
	;; [unrolled: 1-line block ×6, first 2 shown]
	v_add3_u32 v3, v3, v8, v6
	v_lshlrev_b64 v[8:9], 3, v[0:1]
	v_mul_f32_e32 v48, s15, v35
	v_mul_f32_e32 v47, s14, v35
	v_fma_f32 v6, v40, s14, -v42
	v_lshlrev_b64 v[2:3], 3, v[2:3]
	v_fmac_f32_e32 v7, s15, v40
	v_fma_f32 v42, v38, s14, -v44
	v_fmac_f32_e32 v43, s15, v38
	s_lshl_b64 s[6:7], s[16:17], 7
	v_fma_f32 v44, v36, s14, -v46
	v_add_co_u32 v49, vcc_lo, s9, v2
	v_add_co_ci_u32_e64 v50, null, s12, v3, vcc_lo
	v_fmac_f32_e32 v45, s15, v36
	v_add_co_u32 v2, vcc_lo, v49, v8
	v_add_co_ci_u32_e64 v3, null, v50, v9, vcc_lo
	v_fma_f32 v46, v34, s14, -v48
	v_fmac_f32_e32 v47, s15, v34
	v_add_co_u32 v48, vcc_lo, v49, s6
	global_store_dwordx2 v[2:3], v[6:7], off
	global_store_dwordx2 v[2:3], v[42:43], off offset:128
	global_store_dwordx2 v[2:3], v[44:45], off offset:256
	;; [unrolled: 1-line block ×3, first 2 shown]
	v_mul_f32_e32 v2, s15, v33
	v_mul_f32_e32 v3, s14, v33
	v_add_co_ci_u32_e64 v49, null, s7, v50, vcc_lo
	v_mul_f32_e32 v6, s15, v31
	v_mul_f32_e32 v7, s14, v31
	;; [unrolled: 1-line block ×4, first 2 shown]
	v_add_co_u32 v44, vcc_lo, v48, v8
	v_fma_f32 v2, v32, s14, -v2
	v_fmac_f32_e32 v3, s15, v32
	v_add_co_ci_u32_e64 v45, null, v49, v9, vcc_lo
	v_fma_f32 v6, v30, s14, -v6
	v_fmac_f32_e32 v7, s15, v30
	v_fma_f32 v42, v28, s14, -v42
	v_fmac_f32_e32 v43, s15, v28
	v_add_co_u32 v52, vcc_lo, v48, s6
	v_mul_f32_e32 v46, s15, v27
	v_mul_f32_e32 v47, s14, v27
	global_store_dwordx2 v[44:45], v[2:3], off
	global_store_dwordx2 v[44:45], v[6:7], off offset:128
	global_store_dwordx2 v[44:45], v[42:43], off offset:256
	v_mul_f32_e32 v2, s15, v25
	v_mul_f32_e32 v3, s14, v25
	v_add_co_ci_u32_e64 v53, null, s7, v49, vcc_lo
	v_mul_f32_e32 v42, s15, v23
	v_mul_f32_e32 v43, s14, v23
	;; [unrolled: 1-line block ×4, first 2 shown]
	v_add_co_u32 v6, vcc_lo, v52, v8
	v_mul_f32_e32 v50, s15, v19
	v_mul_f32_e32 v51, s14, v19
	v_fma_f32 v46, v26, s14, -v46
	v_fmac_f32_e32 v47, s15, v26
	v_fma_f32 v2, v24, s14, -v2
	v_fmac_f32_e32 v3, s15, v24
	v_add_co_ci_u32_e64 v7, null, v53, v9, vcc_lo
	v_fma_f32 v42, v22, s14, -v42
	v_fmac_f32_e32 v43, s15, v22
	v_fma_f32 v48, v20, s14, -v48
	v_fmac_f32_e32 v49, s15, v20
	;; [unrolled: 2-line block ×3, first 2 shown]
	global_store_dwordx2 v[44:45], v[46:47], off offset:384
	global_store_dwordx2 v[6:7], v[2:3], off
	global_store_dwordx2 v[6:7], v[42:43], off offset:128
	global_store_dwordx2 v[6:7], v[48:49], off offset:256
	;; [unrolled: 1-line block ×3, first 2 shown]
	v_mul_f32_e32 v2, s15, v17
	v_add_co_u32 v3, vcc_lo, v52, s6
	v_add_co_ci_u32_e64 v6, null, s7, v53, vcc_lo
	v_fma_f32 v42, v16, s14, -v2
	v_mul_f32_e32 v2, s15, v15
	v_add_co_u32 v7, vcc_lo, v3, v8
	v_mul_f32_e32 v43, s14, v17
	v_add_co_ci_u32_e64 v8, null, v6, v9, vcc_lo
	v_fma_f32 v44, v14, s14, -v2
	v_mul_f32_e32 v2, s15, v13
	v_mul_f32_e32 v3, s15, v10
	;; [unrolled: 1-line block ×5, first 2 shown]
	v_fma_f32 v46, v12, s14, -v2
	v_add_co_u32 v2, vcc_lo, 0x180, v7
	v_fmac_f32_e32 v43, s15, v16
	v_fma_f32 v9, v11, s14, -v3
	v_fmac_f32_e32 v6, s15, v11
	v_add_co_ci_u32_e64 v3, null, 0, v8, vcc_lo
	v_fmac_f32_e32 v45, s15, v14
	v_fmac_f32_e32 v47, s15, v12
	global_store_dwordx2 v[7:8], v[42:43], off
	global_store_dwordx2 v[7:8], v[44:45], off offset:128
	global_store_dwordx2 v[7:8], v[46:47], off offset:256
	global_store_dword v[7:8], v9, off offset:384
	s_andn2_b32 vcc_lo, exec_lo, s13
	s_cbranch_vccz .LBB506_6
	s_branch .LBB506_7
.LBB506_5:
                                        ; implicit-def: $vgpr6
                                        ; implicit-def: $vgpr2_vgpr3
.LBB506_6:
	v_mul_lo_u32 v6, v5, s2
	v_mul_lo_u32 v7, v4, s3
	v_mad_u64_u32 v[2:3], null, v4, s2, 0
	s_mul_i32 s5, s5, s8
	s_mul_hi_u32 s6, s4, s8
	s_mul_i32 s4, s4, s8
	s_add_i32 s5, s6, s5
	v_lshlrev_b64 v[0:1], 3, v[0:1]
	s_lshl_b64 s[4:5], s[4:5], 3
	v_add3_u32 v3, v3, v7, v6
	s_add_u32 s0, s0, s4
	s_addc_u32 s1, s1, s5
	v_mul_lo_u32 v42, v5, s16
	v_mul_lo_u32 v43, v4, s17
	v_lshlrev_b64 v[2:3], 3, v[2:3]
	v_mad_u64_u32 v[4:5], null, v4, s16, 0
	v_add_co_u32 v8, vcc_lo, s0, v2
	v_add_co_ci_u32_e64 v9, null, s1, v3, vcc_lo
	v_add3_u32 v5, v5, v43, v42
	v_add_co_u32 v2, vcc_lo, v8, v0
	v_add_co_ci_u32_e64 v3, null, v9, v1, vcc_lo
	v_mul_f32_e32 v42, s15, v41
	v_mul_f32_e32 v41, s14, v41
	v_lshlrev_b64 v[4:5], 3, v[4:5]
	global_load_dwordx2 v[6:7], v[2:3], off
	s_lshl_b64 s[0:1], s[2:3], 7
	v_fma_f32 v42, v40, s14, -v42
	v_fmac_f32_e32 v41, s15, v40
	s_lshl_b64 s[2:3], s[16:17], 7
	v_add_co_u32 v43, vcc_lo, s9, v4
	v_add_co_ci_u32_e64 v44, null, s12, v5, vcc_lo
	v_add_co_u32 v4, vcc_lo, v43, v0
	v_add_co_ci_u32_e64 v5, null, v44, v1, vcc_lo
	;; [unrolled: 2-line block ×3, first 2 shown]
	s_waitcnt vmcnt(0)
	v_mul_f32_e32 v40, s11, v7
	v_mul_f32_e32 v7, s10, v7
	v_fma_f32 v40, v6, s10, -v40
	v_fmac_f32_e32 v7, s11, v6
	v_add_f32_e32 v6, v42, v40
	v_add_f32_e32 v7, v41, v7
	v_mul_f32_e32 v40, s15, v39
	v_mul_f32_e32 v39, s14, v39
	global_store_dwordx2 v[4:5], v[6:7], off
	global_load_dwordx2 v[6:7], v[2:3], off offset:128
	v_fma_f32 v40, v38, s14, -v40
	v_fmac_f32_e32 v39, s15, v38
	s_waitcnt vmcnt(0)
	v_mul_f32_e32 v41, s11, v7
	v_mul_f32_e32 v7, s10, v7
	v_fma_f32 v38, v6, s10, -v41
	v_fmac_f32_e32 v7, s11, v6
	v_add_f32_e32 v6, v40, v38
	v_add_f32_e32 v7, v39, v7
	v_mul_f32_e32 v38, s15, v37
	v_mul_f32_e32 v37, s14, v37
	global_store_dwordx2 v[4:5], v[6:7], off offset:128
	global_load_dwordx2 v[6:7], v[2:3], off offset:256
	v_fma_f32 v38, v36, s14, -v38
	v_fmac_f32_e32 v37, s15, v36
	s_waitcnt vmcnt(0)
	v_mul_f32_e32 v39, s11, v7
	v_mul_f32_e32 v7, s10, v7
	v_fma_f32 v36, v6, s10, -v39
	v_fmac_f32_e32 v7, s11, v6
	v_add_f32_e32 v6, v38, v36
	v_add_f32_e32 v7, v37, v7
	global_store_dwordx2 v[4:5], v[6:7], off offset:256
	global_load_dwordx2 v[2:3], v[2:3], off offset:384
	v_mul_f32_e32 v6, s15, v35
	v_mul_f32_e32 v7, s14, v35
	v_fma_f32 v6, v34, s14, -v6
	v_fmac_f32_e32 v7, s15, v34
	s_waitcnt vmcnt(0)
	v_mul_f32_e32 v35, s11, v3
	v_mul_f32_e32 v3, s10, v3
	v_fma_f32 v34, v2, s10, -v35
	v_fmac_f32_e32 v3, s11, v2
	v_add_f32_e32 v2, v6, v34
	v_add_co_u32 v6, vcc_lo, v8, v0
	v_add_f32_e32 v3, v7, v3
	v_add_co_ci_u32_e64 v7, null, v9, v1, vcc_lo
	v_add_co_u32 v34, vcc_lo, v43, s2
	global_store_dwordx2 v[4:5], v[2:3], off offset:384
	global_load_dwordx2 v[2:3], v[6:7], off
	v_mul_f32_e32 v4, s15, v33
	v_mul_f32_e32 v5, s14, v33
	v_add_co_ci_u32_e64 v35, null, s3, v44, vcc_lo
	v_fma_f32 v4, v32, s14, -v4
	v_fmac_f32_e32 v5, s15, v32
	s_waitcnt vmcnt(0)
	v_mul_f32_e32 v32, s11, v3
	v_mul_f32_e32 v33, s10, v3
	v_fma_f32 v32, v2, s10, -v32
	v_fmac_f32_e32 v33, s11, v2
	v_add_co_u32 v2, vcc_lo, v34, v0
	v_add_co_ci_u32_e64 v3, null, v35, v1, vcc_lo
	v_add_f32_e32 v4, v4, v32
	v_add_f32_e32 v5, v5, v33
	v_mul_f32_e32 v32, s15, v31
	v_mul_f32_e32 v31, s14, v31
	v_add_co_u32 v8, vcc_lo, v8, s0
	global_store_dwordx2 v[2:3], v[4:5], off
	global_load_dwordx2 v[4:5], v[6:7], off offset:128
	v_fma_f32 v32, v30, s14, -v32
	v_fmac_f32_e32 v31, s15, v30
	v_add_co_ci_u32_e64 v9, null, s1, v9, vcc_lo
	s_waitcnt vmcnt(0)
	v_mul_f32_e32 v33, s11, v5
	v_mul_f32_e32 v5, s10, v5
	v_fma_f32 v30, v4, s10, -v33
	v_fmac_f32_e32 v5, s11, v4
	v_add_f32_e32 v4, v32, v30
	v_add_f32_e32 v5, v31, v5
	v_mul_f32_e32 v30, s15, v29
	v_mul_f32_e32 v29, s14, v29
	global_store_dwordx2 v[2:3], v[4:5], off offset:128
	global_load_dwordx2 v[4:5], v[6:7], off offset:256
	v_fma_f32 v30, v28, s14, -v30
	v_fmac_f32_e32 v29, s15, v28
	s_waitcnt vmcnt(0)
	v_mul_f32_e32 v31, s11, v5
	v_mul_f32_e32 v5, s10, v5
	v_fma_f32 v28, v4, s10, -v31
	v_fmac_f32_e32 v5, s11, v4
	v_add_f32_e32 v4, v30, v28
	v_add_f32_e32 v5, v29, v5
	global_store_dwordx2 v[2:3], v[4:5], off offset:256
	global_load_dwordx2 v[4:5], v[6:7], off offset:384
	v_mul_f32_e32 v6, s15, v27
	v_mul_f32_e32 v7, s14, v27
	v_fma_f32 v6, v26, s14, -v6
	v_fmac_f32_e32 v7, s15, v26
	s_waitcnt vmcnt(0)
	v_mul_f32_e32 v27, s11, v5
	v_mul_f32_e32 v5, s10, v5
	v_fma_f32 v26, v4, s10, -v27
	v_fmac_f32_e32 v5, s11, v4
	v_add_f32_e32 v4, v6, v26
	v_add_co_u32 v6, vcc_lo, v8, v0
	v_add_f32_e32 v5, v7, v5
	v_add_co_ci_u32_e64 v7, null, v9, v1, vcc_lo
	v_add_co_u32 v26, vcc_lo, v34, s2
	global_store_dwordx2 v[2:3], v[4:5], off offset:384
	global_load_dwordx2 v[2:3], v[6:7], off
	v_mul_f32_e32 v4, s15, v25
	v_mul_f32_e32 v5, s14, v25
	v_add_co_ci_u32_e64 v27, null, s3, v35, vcc_lo
	v_fma_f32 v4, v24, s14, -v4
	v_fmac_f32_e32 v5, s15, v24
	s_waitcnt vmcnt(0)
	v_mul_f32_e32 v24, s11, v3
	v_mul_f32_e32 v25, s10, v3
	v_fma_f32 v24, v2, s10, -v24
	v_fmac_f32_e32 v25, s11, v2
	v_add_co_u32 v2, vcc_lo, v26, v0
	v_add_co_ci_u32_e64 v3, null, v27, v1, vcc_lo
	v_add_f32_e32 v4, v4, v24
	v_add_f32_e32 v5, v5, v25
	v_mul_f32_e32 v24, s15, v23
	v_mul_f32_e32 v23, s14, v23
	v_add_co_u32 v8, vcc_lo, v8, s0
	global_store_dwordx2 v[2:3], v[4:5], off
	global_load_dwordx2 v[4:5], v[6:7], off offset:128
	v_fma_f32 v24, v22, s14, -v24
	v_fmac_f32_e32 v23, s15, v22
	v_add_co_ci_u32_e64 v9, null, s1, v9, vcc_lo
	s_waitcnt vmcnt(0)
	v_mul_f32_e32 v25, s11, v5
	v_mul_f32_e32 v5, s10, v5
	v_fma_f32 v22, v4, s10, -v25
	v_fmac_f32_e32 v5, s11, v4
	v_add_f32_e32 v4, v24, v22
	v_add_f32_e32 v5, v23, v5
	v_mul_f32_e32 v22, s15, v21
	v_mul_f32_e32 v21, s14, v21
	global_store_dwordx2 v[2:3], v[4:5], off offset:128
	global_load_dwordx2 v[4:5], v[6:7], off offset:256
	v_fma_f32 v22, v20, s14, -v22
	v_fmac_f32_e32 v21, s15, v20
	s_waitcnt vmcnt(0)
	v_mul_f32_e32 v23, s11, v5
	v_mul_f32_e32 v5, s10, v5
	v_fma_f32 v20, v4, s10, -v23
	v_fmac_f32_e32 v5, s11, v4
	v_add_f32_e32 v4, v22, v20
	v_add_f32_e32 v5, v21, v5
	global_store_dwordx2 v[2:3], v[4:5], off offset:256
	global_load_dwordx2 v[4:5], v[6:7], off offset:384
	v_mul_f32_e32 v6, s15, v19
	v_mul_f32_e32 v7, s14, v19
	v_fma_f32 v6, v18, s14, -v6
	v_fmac_f32_e32 v7, s15, v18
	s_waitcnt vmcnt(0)
	v_mul_f32_e32 v19, s11, v5
	v_mul_f32_e32 v5, s10, v5
	v_fma_f32 v18, v4, s10, -v19
	v_fmac_f32_e32 v5, s11, v4
	v_add_f32_e32 v4, v6, v18
	v_add_co_u32 v6, vcc_lo, v8, v0
	v_add_f32_e32 v5, v7, v5
	v_add_co_ci_u32_e64 v7, null, v9, v1, vcc_lo
	v_add_co_u32 v9, vcc_lo, v26, s2
	global_store_dwordx2 v[2:3], v[4:5], off offset:384
	global_load_dwordx2 v[2:3], v[6:7], off
	v_mul_f32_e32 v4, s15, v17
	v_mul_f32_e32 v5, s14, v17
	v_fma_f32 v4, v16, s14, -v4
	v_fmac_f32_e32 v5, s15, v16
	v_add_co_ci_u32_e64 v16, null, s3, v27, vcc_lo
	v_add_co_u32 v0, vcc_lo, v9, v0
	v_add_co_ci_u32_e64 v1, null, v16, v1, vcc_lo
	s_waitcnt vmcnt(0)
	v_mul_f32_e32 v8, s11, v3
	v_mul_f32_e32 v3, s10, v3
	v_fma_f32 v8, v2, s10, -v8
	v_fmac_f32_e32 v3, s11, v2
	v_add_f32_e32 v2, v4, v8
	v_add_f32_e32 v3, v5, v3
	v_mul_f32_e32 v4, s15, v15
	v_mul_f32_e32 v5, s14, v15
	global_store_dwordx2 v[0:1], v[2:3], off
	global_load_dwordx2 v[2:3], v[6:7], off offset:128
	v_fma_f32 v4, v14, s14, -v4
	v_fmac_f32_e32 v5, s15, v14
	s_waitcnt vmcnt(0)
	v_mul_f32_e32 v8, s11, v3
	v_mul_f32_e32 v3, s10, v3
	v_fma_f32 v8, v2, s10, -v8
	v_fmac_f32_e32 v3, s11, v2
	v_add_f32_e32 v2, v4, v8
	v_add_f32_e32 v3, v5, v3
	v_mul_f32_e32 v4, s15, v13
	v_mul_f32_e32 v5, s14, v13
	global_store_dwordx2 v[0:1], v[2:3], off offset:128
	global_load_dwordx2 v[2:3], v[6:7], off offset:256
	v_fma_f32 v4, v12, s14, -v4
	v_fmac_f32_e32 v5, s15, v12
	s_waitcnt vmcnt(0)
	v_mul_f32_e32 v8, s11, v3
	v_mul_f32_e32 v3, s10, v3
	v_fma_f32 v8, v2, s10, -v8
	v_fmac_f32_e32 v3, s11, v2
	v_add_f32_e32 v2, v4, v8
	v_add_f32_e32 v3, v5, v3
	v_mul_f32_e32 v4, s15, v10
	v_mul_f32_e32 v5, s14, v10
	global_store_dwordx2 v[0:1], v[2:3], off offset:256
	global_load_dwordx2 v[2:3], v[6:7], off offset:384
	v_fma_f32 v4, v11, s14, -v4
	v_fmac_f32_e32 v5, s15, v11
	s_waitcnt vmcnt(0)
	v_mul_f32_e32 v6, s11, v3
	v_mul_f32_e32 v3, s10, v3
	v_fma_f32 v6, v2, s10, -v6
	v_fmac_f32_e32 v3, s11, v2
	v_add_co_u32 v2, vcc_lo, 0x180, v0
	v_add_f32_e32 v4, v4, v6
	v_add_f32_e32 v6, v5, v3
	v_add_co_ci_u32_e64 v3, null, 0, v1, vcc_lo
	global_store_dword v[0:1], v4, off offset:384
.LBB506_7:
	global_store_dword v[2:3], v6, off offset:4
	s_endpgm
	.section	.rodata,"a",@progbits
	.p2align	6, 0x0
	.amdhsa_kernel _ZN12_GLOBAL__N_127rocblas_gemm_batched_kernelI19rocblas_complex_numIfELi16ELi16ELi64ELi64ELi4ELi64ELi4ELi4ELi64ELc67ELc78EKS2_S3_S2_EEvlllT_PT11_llS6_llS4_PT12_llPT13_lli
		.amdhsa_group_segment_fixed_size 4096
		.amdhsa_private_segment_fixed_size 0
		.amdhsa_kernarg_size 140
		.amdhsa_user_sgpr_count 6
		.amdhsa_user_sgpr_private_segment_buffer 1
		.amdhsa_user_sgpr_dispatch_ptr 0
		.amdhsa_user_sgpr_queue_ptr 0
		.amdhsa_user_sgpr_kernarg_segment_ptr 1
		.amdhsa_user_sgpr_dispatch_id 0
		.amdhsa_user_sgpr_flat_scratch_init 0
		.amdhsa_user_sgpr_private_segment_size 0
		.amdhsa_wavefront_size32 1
		.amdhsa_uses_dynamic_stack 0
		.amdhsa_system_sgpr_private_segment_wavefront_offset 0
		.amdhsa_system_sgpr_workgroup_id_x 1
		.amdhsa_system_sgpr_workgroup_id_y 1
		.amdhsa_system_sgpr_workgroup_id_z 1
		.amdhsa_system_sgpr_workgroup_info 0
		.amdhsa_system_vgpr_workitem_id 1
		.amdhsa_next_free_vgpr 188
		.amdhsa_next_free_sgpr 32
		.amdhsa_reserve_vcc 1
		.amdhsa_reserve_flat_scratch 0
		.amdhsa_float_round_mode_32 0
		.amdhsa_float_round_mode_16_64 0
		.amdhsa_float_denorm_mode_32 3
		.amdhsa_float_denorm_mode_16_64 3
		.amdhsa_dx10_clamp 1
		.amdhsa_ieee_mode 1
		.amdhsa_fp16_overflow 0
		.amdhsa_workgroup_processor_mode 1
		.amdhsa_memory_ordered 1
		.amdhsa_forward_progress 1
		.amdhsa_shared_vgpr_count 0
		.amdhsa_exception_fp_ieee_invalid_op 0
		.amdhsa_exception_fp_denorm_src 0
		.amdhsa_exception_fp_ieee_div_zero 0
		.amdhsa_exception_fp_ieee_overflow 0
		.amdhsa_exception_fp_ieee_underflow 0
		.amdhsa_exception_fp_ieee_inexact 0
		.amdhsa_exception_int_div_zero 0
	.end_amdhsa_kernel
	.section	.text._ZN12_GLOBAL__N_127rocblas_gemm_batched_kernelI19rocblas_complex_numIfELi16ELi16ELi64ELi64ELi4ELi64ELi4ELi4ELi64ELc67ELc78EKS2_S3_S2_EEvlllT_PT11_llS6_llS4_PT12_llPT13_lli,"axG",@progbits,_ZN12_GLOBAL__N_127rocblas_gemm_batched_kernelI19rocblas_complex_numIfELi16ELi16ELi64ELi64ELi4ELi64ELi4ELi4ELi64ELc67ELc78EKS2_S3_S2_EEvlllT_PT11_llS6_llS4_PT12_llPT13_lli,comdat
.Lfunc_end506:
	.size	_ZN12_GLOBAL__N_127rocblas_gemm_batched_kernelI19rocblas_complex_numIfELi16ELi16ELi64ELi64ELi4ELi64ELi4ELi4ELi64ELc67ELc78EKS2_S3_S2_EEvlllT_PT11_llS6_llS4_PT12_llPT13_lli, .Lfunc_end506-_ZN12_GLOBAL__N_127rocblas_gemm_batched_kernelI19rocblas_complex_numIfELi16ELi16ELi64ELi64ELi4ELi64ELi4ELi4ELi64ELc67ELc78EKS2_S3_S2_EEvlllT_PT11_llS6_llS4_PT12_llPT13_lli
                                        ; -- End function
	.set _ZN12_GLOBAL__N_127rocblas_gemm_batched_kernelI19rocblas_complex_numIfELi16ELi16ELi64ELi64ELi4ELi64ELi4ELi4ELi64ELc67ELc78EKS2_S3_S2_EEvlllT_PT11_llS6_llS4_PT12_llPT13_lli.num_vgpr, 188
	.set _ZN12_GLOBAL__N_127rocblas_gemm_batched_kernelI19rocblas_complex_numIfELi16ELi16ELi64ELi64ELi4ELi64ELi4ELi4ELi64ELc67ELc78EKS2_S3_S2_EEvlllT_PT11_llS6_llS4_PT12_llPT13_lli.num_agpr, 0
	.set _ZN12_GLOBAL__N_127rocblas_gemm_batched_kernelI19rocblas_complex_numIfELi16ELi16ELi64ELi64ELi4ELi64ELi4ELi4ELi64ELc67ELc78EKS2_S3_S2_EEvlllT_PT11_llS6_llS4_PT12_llPT13_lli.numbered_sgpr, 32
	.set _ZN12_GLOBAL__N_127rocblas_gemm_batched_kernelI19rocblas_complex_numIfELi16ELi16ELi64ELi64ELi4ELi64ELi4ELi4ELi64ELc67ELc78EKS2_S3_S2_EEvlllT_PT11_llS6_llS4_PT12_llPT13_lli.num_named_barrier, 0
	.set _ZN12_GLOBAL__N_127rocblas_gemm_batched_kernelI19rocblas_complex_numIfELi16ELi16ELi64ELi64ELi4ELi64ELi4ELi4ELi64ELc67ELc78EKS2_S3_S2_EEvlllT_PT11_llS6_llS4_PT12_llPT13_lli.private_seg_size, 0
	.set _ZN12_GLOBAL__N_127rocblas_gemm_batched_kernelI19rocblas_complex_numIfELi16ELi16ELi64ELi64ELi4ELi64ELi4ELi4ELi64ELc67ELc78EKS2_S3_S2_EEvlllT_PT11_llS6_llS4_PT12_llPT13_lli.uses_vcc, 1
	.set _ZN12_GLOBAL__N_127rocblas_gemm_batched_kernelI19rocblas_complex_numIfELi16ELi16ELi64ELi64ELi4ELi64ELi4ELi4ELi64ELc67ELc78EKS2_S3_S2_EEvlllT_PT11_llS6_llS4_PT12_llPT13_lli.uses_flat_scratch, 0
	.set _ZN12_GLOBAL__N_127rocblas_gemm_batched_kernelI19rocblas_complex_numIfELi16ELi16ELi64ELi64ELi4ELi64ELi4ELi4ELi64ELc67ELc78EKS2_S3_S2_EEvlllT_PT11_llS6_llS4_PT12_llPT13_lli.has_dyn_sized_stack, 0
	.set _ZN12_GLOBAL__N_127rocblas_gemm_batched_kernelI19rocblas_complex_numIfELi16ELi16ELi64ELi64ELi4ELi64ELi4ELi4ELi64ELc67ELc78EKS2_S3_S2_EEvlllT_PT11_llS6_llS4_PT12_llPT13_lli.has_recursion, 0
	.set _ZN12_GLOBAL__N_127rocblas_gemm_batched_kernelI19rocblas_complex_numIfELi16ELi16ELi64ELi64ELi4ELi64ELi4ELi4ELi64ELc67ELc78EKS2_S3_S2_EEvlllT_PT11_llS6_llS4_PT12_llPT13_lli.has_indirect_call, 0
	.section	.AMDGPU.csdata,"",@progbits
; Kernel info:
; codeLenInByte = 4980
; TotalNumSgprs: 34
; NumVgprs: 188
; ScratchSize: 0
; MemoryBound: 0
; FloatMode: 240
; IeeeMode: 1
; LDSByteSize: 4096 bytes/workgroup (compile time only)
; SGPRBlocks: 0
; VGPRBlocks: 23
; NumSGPRsForWavesPerEU: 34
; NumVGPRsForWavesPerEU: 188
; Occupancy: 5
; WaveLimiterHint : 1
; COMPUTE_PGM_RSRC2:SCRATCH_EN: 0
; COMPUTE_PGM_RSRC2:USER_SGPR: 6
; COMPUTE_PGM_RSRC2:TRAP_HANDLER: 0
; COMPUTE_PGM_RSRC2:TGID_X_EN: 1
; COMPUTE_PGM_RSRC2:TGID_Y_EN: 1
; COMPUTE_PGM_RSRC2:TGID_Z_EN: 1
; COMPUTE_PGM_RSRC2:TIDIG_COMP_CNT: 1
	.section	.text._ZN12_GLOBAL__N_127rocblas_gemm_batched_kernelI19rocblas_complex_numIfELi16ELi16ELi64ELi64ELi4ELi64ELi4ELi4ELi64ELc67ELc84EKS2_S3_S2_EEvlllT_PT11_llS6_llS4_PT12_llPT13_lli,"axG",@progbits,_ZN12_GLOBAL__N_127rocblas_gemm_batched_kernelI19rocblas_complex_numIfELi16ELi16ELi64ELi64ELi4ELi64ELi4ELi4ELi64ELc67ELc84EKS2_S3_S2_EEvlllT_PT11_llS6_llS4_PT12_llPT13_lli,comdat
	.globl	_ZN12_GLOBAL__N_127rocblas_gemm_batched_kernelI19rocblas_complex_numIfELi16ELi16ELi64ELi64ELi4ELi64ELi4ELi4ELi64ELc67ELc84EKS2_S3_S2_EEvlllT_PT11_llS6_llS4_PT12_llPT13_lli ; -- Begin function _ZN12_GLOBAL__N_127rocblas_gemm_batched_kernelI19rocblas_complex_numIfELi16ELi16ELi64ELi64ELi4ELi64ELi4ELi4ELi64ELc67ELc84EKS2_S3_S2_EEvlllT_PT11_llS6_llS4_PT12_llPT13_lli
	.p2align	8
	.type	_ZN12_GLOBAL__N_127rocblas_gemm_batched_kernelI19rocblas_complex_numIfELi16ELi16ELi64ELi64ELi4ELi64ELi4ELi4ELi64ELc67ELc84EKS2_S3_S2_EEvlllT_PT11_llS6_llS4_PT12_llPT13_lli,@function
_ZN12_GLOBAL__N_127rocblas_gemm_batched_kernelI19rocblas_complex_numIfELi16ELi16ELi64ELi64ELi4ELi64ELi4ELi4ELi64ELc67ELc84EKS2_S3_S2_EEvlllT_PT11_llS6_llS4_PT12_llPT13_lli: ; @_ZN12_GLOBAL__N_127rocblas_gemm_batched_kernelI19rocblas_complex_numIfELi16ELi16ELi64ELi64ELi4ELi64ELi4ELi4ELi64ELc67ELc84EKS2_S3_S2_EEvlllT_PT11_llS6_llS4_PT12_llPT13_lli
; %bb.0:
	s_clause 0x1
	s_load_dwordx16 s[12:27], s[4:5], 0x10
	s_load_dwordx2 s[10:11], s[4:5], 0x50
	s_mov_b32 s0, s7
	v_mov_b32_e32 v40, 0
	v_mov_b32_e32 v41, 0
	;; [unrolled: 1-line block ×17, first 2 shown]
	s_waitcnt lgkmcnt(0)
	v_cmp_lt_i64_e64 s2, s[12:13], 1
	v_mov_b32_e32 v25, 0
	v_mov_b32_e32 v22, 0
	;; [unrolled: 1-line block ×15, first 2 shown]
	s_ashr_i32 s7, s6, 31
	s_ashr_i32 s1, s0, 31
	s_lshl_b64 s[28:29], s[6:7], 6
	s_and_b32 vcc_lo, exec_lo, s2
	s_lshl_b64 s[30:31], s[0:1], 6
	s_cbranch_vccnz .LBB507_3
; %bb.1:
	v_lshl_add_u32 v6, v1, 4, v0
	v_and_b32_e32 v7, 3, v0
	s_mul_i32 s1, s21, s8
	s_mul_hi_u32 s2, s20, s8
	v_mov_b32_e32 v10, 0
	v_lshrrev_b32_e32 v8, 2, v6
	v_and_b32_e32 v9, 63, v6
	v_lshlrev_b32_e32 v14, 3, v7
	v_lshrrev_b32_e32 v13, 6, v6
	s_add_i32 s1, s2, s1
	v_add_co_u32 v2, s0, v8, s30
	v_add_co_ci_u32_e64 v3, null, 0, s31, s0
	v_add_co_u32 v4, s0, s28, v9
	v_add_co_ci_u32_e64 v5, null, s29, 0, s0
	v_mad_u64_u32 v[2:3], null, s24, v7, v[2:3]
	v_mul_lo_u32 v11, s19, v4
	v_mul_lo_u32 v12, s18, v5
	v_mad_u64_u32 v[4:5], null, s18, v4, 0
	s_mul_i32 s0, s20, s8
	v_lshlrev_b32_e32 v9, 3, v9
	s_lshl_b64 s[0:1], s[0:1], 3
	v_lshlrev_b32_e32 v42, 3, v0
	v_lshl_add_u32 v43, v1, 5, 0x800
	v_mov_b32_e32 v15, 0
	v_add3_u32 v5, v5, v12, v11
	v_mad_u64_u32 v[6:7], null, s25, v7, v[3:4]
	v_lshl_or_b32 v3, v8, 5, v14
	v_lshl_or_b32 v44, v13, 9, v9
	v_lshlrev_b64 v[4:5], 3, v[4:5]
	v_mov_b32_e32 v11, 0
	v_mov_b32_e32 v12, 0
	v_add_nc_u32_e32 v45, 0x800, v3
	v_mov_b32_e32 v3, v6
	v_lshlrev_b32_e32 v6, 3, v13
	v_add_co_u32 v4, vcc_lo, v4, s0
	v_add_co_ci_u32_e64 v5, null, s1, v5, vcc_lo
	s_mul_i32 s0, s27, s8
	v_add_co_u32 v4, vcc_lo, v4, v6
	v_add_co_ci_u32_e64 v5, null, 0, v5, vcc_lo
	s_mul_hi_u32 s1, s26, s8
	v_add_co_u32 v6, vcc_lo, s16, v4
	s_add_i32 s1, s1, s0
	s_mul_i32 s0, s26, s8
	v_add_co_ci_u32_e64 v7, null, s17, v5, vcc_lo
	v_lshlrev_b64 v[4:5], 3, v[2:3]
	s_lshl_b64 s[0:1], s[0:1], 3
	v_add_co_u32 v2, vcc_lo, v6, 4
	s_add_u32 s0, s22, s0
	v_add_co_ci_u32_e64 v3, null, 0, v7, vcc_lo
	s_addc_u32 s1, s23, s1
	v_add_co_u32 v4, vcc_lo, s0, v4
	v_add_co_ci_u32_e64 v5, null, s1, v5, vcc_lo
	v_mov_b32_e32 v13, 0
	v_mov_b32_e32 v14, 0
	;; [unrolled: 1-line block ×28, first 2 shown]
	s_lshl_b64 s[0:1], s[24:25], 5
	s_mov_b64 s[2:3], 0
.LBB507_2:                              ; =>This Inner Loop Header: Depth=1
	global_load_dwordx2 v[6:7], v[2:3], off offset:-4
	global_load_dwordx2 v[8:9], v[4:5], off
	s_add_u32 s2, s2, 4
	s_addc_u32 s3, s3, 0
	v_add_co_u32 v2, vcc_lo, v2, 32
	v_cmp_lt_i64_e64 s6, s[2:3], s[12:13]
	v_add_co_ci_u32_e64 v3, null, 0, v3, vcc_lo
	v_add_co_u32 v4, vcc_lo, v4, s0
	v_add_co_ci_u32_e64 v5, null, s1, v5, vcc_lo
	s_and_b32 vcc_lo, exec_lo, s6
	s_waitcnt vmcnt(1)
	v_xor_b32_e32 v7, 0x80000000, v7
	s_waitcnt vmcnt(0)
	ds_write_b64 v45, v[8:9]
	ds_write_b64 v44, v[6:7]
	s_waitcnt lgkmcnt(0)
	s_barrier
	buffer_gl0_inv
	ds_read_b128 v[6:9], v43
	ds_read2_b64 v[46:49], v42 offset1:16
	ds_read_b128 v[50:53], v43 offset:512
	ds_read_b128 v[54:57], v43 offset:16
	;; [unrolled: 1-line block ×7, first 2 shown]
	ds_read2_b64 v[78:81], v42 offset0:32 offset1:48
	ds_read2_b64 v[82:85], v42 offset0:64 offset1:80
	;; [unrolled: 1-line block ×7, first 2 shown]
	s_waitcnt lgkmcnt(0)
	s_barrier
	buffer_gl0_inv
	v_mul_f32_e32 v106, v7, v47
	v_mul_f32_e32 v107, v6, v47
	;; [unrolled: 1-line block ×64, first 2 shown]
	v_fma_f32 v106, v6, v46, -v106
	v_fmac_f32_e32 v107, v7, v46
	v_fma_f32 v108, v6, v48, -v108
	v_fmac_f32_e32 v109, v7, v48
	;; [unrolled: 2-line block ×16, first 2 shown]
	v_mul_f32_e32 v162, v55, v91
	v_mul_f32_e32 v163, v54, v91
	v_mul_f32_e32 v164, v55, v93
	v_mul_f32_e32 v165, v54, v93
	v_mul_f32_e32 v166, v59, v91
	v_mul_f32_e32 v167, v58, v91
	v_mul_f32_e32 v168, v59, v93
	v_mul_f32_e32 v169, v58, v93
	v_mul_f32_e32 v170, v67, v91
	v_mul_f32_e32 v171, v66, v91
	v_mul_f32_e32 v172, v67, v93
	v_mul_f32_e32 v173, v66, v93
	v_mul_f32_e32 v174, v75, v91
	v_mul_f32_e32 v91, v74, v91
	v_mul_f32_e32 v175, v75, v93
	v_mul_f32_e32 v93, v74, v93
	v_mul_f32_e32 v176, v55, v95
	v_mul_f32_e32 v177, v54, v95
	v_mul_f32_e32 v178, v55, v97
	v_mul_f32_e32 v179, v54, v97
	v_mul_f32_e32 v48, v59, v95
	v_mul_f32_e32 v119, v58, v95
	v_mul_f32_e32 v180, v59, v97
	v_mul_f32_e32 v181, v58, v97
	v_mul_f32_e32 v71, v67, v95
	v_mul_f32_e32 v78, v66, v95
	v_mul_f32_e32 v80, v67, v97
	v_mul_f32_e32 v122, v66, v97
	v_fma_f32 v124, v8, v82, -v134
	v_fmac_f32_e32 v135, v9, v82
	v_fma_f32 v126, v8, v84, -v136
	v_fmac_f32_e32 v137, v9, v84
	;; [unrolled: 2-line block ×4, first 2 shown]
	v_mul_f32_e32 v9, v75, v95
	v_mul_f32_e32 v95, v74, v95
	;; [unrolled: 1-line block ×4, first 2 shown]
	v_fma_f32 v132, v52, v82, -v142
	v_fmac_f32_e32 v143, v53, v82
	v_fma_f32 v133, v52, v84, -v144
	v_fmac_f32_e32 v145, v53, v84
	;; [unrolled: 2-line block ×4, first 2 shown]
	v_mul_f32_e32 v136, v56, v99
	v_mul_f32_e32 v140, v56, v101
	v_fma_f32 v142, v64, v82, -v150
	v_fmac_f32_e32 v151, v65, v82
	v_fma_f32 v144, v64, v84, -v152
	v_fmac_f32_e32 v153, v65, v84
	;; [unrolled: 2-line block ×4, first 2 shown]
	v_mul_f32_e32 v148, v56, v103
	v_mul_f32_e32 v152, v56, v105
	v_fma_f32 v154, v72, v82, -v158
	v_fmac_f32_e32 v83, v73, v82
	v_fma_f32 v82, v72, v84, -v159
	v_fmac_f32_e32 v85, v73, v84
	v_fma_f32 v160, v72, v86, -v160
	v_fmac_f32_e32 v87, v73, v86
	v_fma_f32 v72, v72, v88, -v161
	v_fmac_f32_e32 v89, v73, v88
	v_add_f32_e32 v40, v40, v106
	v_add_f32_e32 v41, v41, v107
	;; [unrolled: 1-line block ×32, first 2 shown]
	v_mul_f32_e32 v53, v57, v99
	v_mul_f32_e32 v138, v57, v101
	;; [unrolled: 1-line block ×16, first 2 shown]
	v_fma_f32 v162, v54, v90, -v162
	v_fmac_f32_e32 v163, v55, v90
	v_fma_f32 v164, v54, v92, -v164
	v_fmac_f32_e32 v165, v55, v92
	;; [unrolled: 2-line block ×8, first 2 shown]
	v_mul_f32_e32 v92, v69, v103
	v_mul_f32_e32 v175, v68, v103
	;; [unrolled: 1-line block ×4, first 2 shown]
	v_fma_f32 v176, v54, v94, -v176
	v_fmac_f32_e32 v177, v55, v94
	v_fma_f32 v54, v54, v96, -v178
	v_fmac_f32_e32 v179, v55, v96
	v_fma_f32 v48, v58, v94, -v48
	v_fmac_f32_e32 v119, v59, v94
	v_fma_f32 v55, v58, v96, -v180
	v_fmac_f32_e32 v181, v59, v96
	v_fma_f32 v58, v66, v94, -v71
	v_fmac_f32_e32 v78, v67, v94
	v_fma_f32 v59, v66, v96, -v80
	v_fmac_f32_e32 v122, v67, v96
	v_fma_f32 v9, v74, v94, -v9
	v_fmac_f32_e32 v95, v75, v94
	v_fma_f32 v66, v74, v96, -v130
	v_fmac_f32_e32 v97, v75, v96
	v_mul_f32_e32 v67, v77, v99
	v_mul_f32_e32 v71, v76, v99
	;; [unrolled: 1-line block ×4, first 2 shown]
	v_fmac_f32_e32 v136, v57, v98
	v_fmac_f32_e32 v140, v57, v100
	;; [unrolled: 1-line block ×4, first 2 shown]
	v_mul_f32_e32 v57, v77, v103
	v_mul_f32_e32 v94, v76, v103
	;; [unrolled: 1-line block ×4, first 2 shown]
	v_add_f32_e32 v29, v40, v124
	v_add_f32_e32 v35, v41, v135
	;; [unrolled: 1-line block ×32, first 2 shown]
	v_fma_f32 v53, v56, v98, -v53
	v_fma_f32 v80, v56, v100, -v138
	;; [unrolled: 1-line block ×5, first 2 shown]
	v_fmac_f32_e32 v156, v61, v98
	v_fma_f32 v101, v60, v100, -v158
	v_fmac_f32_e32 v159, v61, v100
	v_fma_f32 v73, v60, v102, -v73
	;; [unrolled: 2-line block ×11, first 2 shown]
	v_fmac_f32_e32 v99, v77, v104
	v_add_f32_e32 v29, v29, v162
	v_add_f32_e32 v34, v35, v163
	;; [unrolled: 1-line block ×64, first 2 shown]
	s_cbranch_vccnz .LBB507_2
.LBB507_3:
	s_clause 0x1
	s_load_dwordx4 s[16:19], s[4:5], 0x78
	s_load_dwordx8 s[0:7], s[4:5], 0x58
	s_waitcnt lgkmcnt(0)
	s_mul_i32 s9, s19, s8
	s_mul_hi_u32 s13, s18, s8
	s_mul_i32 s12, s18, s8
	s_add_i32 s13, s13, s9
	s_lshl_b64 s[12:13], s[12:13], 3
	s_add_u32 s9, s6, s12
	s_addc_u32 s12, s7, s13
	v_add_co_u32 v4, s7, s30, v1
	v_add_co_ci_u32_e64 v5, null, s31, 0, s7
	v_add_co_u32 v0, s7, s28, v0
	s_or_b32 s6, s10, s11
	v_add_co_ci_u32_e64 v1, null, s29, 0, s7
	s_bitset0_b32 s6, 31
	s_mov_b32 s13, 0
	s_cmp_lg_u32 s6, 0
	s_cbranch_scc1 .LBB507_5
; %bb.4:
	v_mul_lo_u32 v6, v5, s16
	v_mul_lo_u32 v8, v4, s17
	v_mad_u64_u32 v[2:3], null, v4, s16, 0
	v_mul_f32_e32 v42, s15, v41
	v_mul_f32_e32 v7, s14, v41
	v_mul_f32_e32 v44, s15, v39
	v_mul_f32_e32 v43, s14, v39
	v_mul_f32_e32 v46, s15, v37
	v_mul_f32_e32 v45, s14, v37
	v_add3_u32 v3, v3, v8, v6
	v_lshlrev_b64 v[8:9], 3, v[0:1]
	v_mul_f32_e32 v48, s15, v35
	v_mul_f32_e32 v47, s14, v35
	v_fma_f32 v6, v40, s14, -v42
	v_lshlrev_b64 v[2:3], 3, v[2:3]
	v_fmac_f32_e32 v7, s15, v40
	v_fma_f32 v42, v38, s14, -v44
	v_fmac_f32_e32 v43, s15, v38
	s_lshl_b64 s[6:7], s[16:17], 7
	v_fma_f32 v44, v36, s14, -v46
	v_add_co_u32 v49, vcc_lo, s9, v2
	v_add_co_ci_u32_e64 v50, null, s12, v3, vcc_lo
	v_fmac_f32_e32 v45, s15, v36
	v_add_co_u32 v2, vcc_lo, v49, v8
	v_add_co_ci_u32_e64 v3, null, v50, v9, vcc_lo
	v_fma_f32 v46, v34, s14, -v48
	v_fmac_f32_e32 v47, s15, v34
	v_add_co_u32 v48, vcc_lo, v49, s6
	global_store_dwordx2 v[2:3], v[6:7], off
	global_store_dwordx2 v[2:3], v[42:43], off offset:128
	global_store_dwordx2 v[2:3], v[44:45], off offset:256
	;; [unrolled: 1-line block ×3, first 2 shown]
	v_mul_f32_e32 v2, s15, v33
	v_mul_f32_e32 v3, s14, v33
	v_add_co_ci_u32_e64 v49, null, s7, v50, vcc_lo
	v_mul_f32_e32 v6, s15, v31
	v_mul_f32_e32 v7, s14, v31
	;; [unrolled: 1-line block ×4, first 2 shown]
	v_add_co_u32 v44, vcc_lo, v48, v8
	v_fma_f32 v2, v32, s14, -v2
	v_fmac_f32_e32 v3, s15, v32
	v_add_co_ci_u32_e64 v45, null, v49, v9, vcc_lo
	v_fma_f32 v6, v30, s14, -v6
	v_fmac_f32_e32 v7, s15, v30
	v_fma_f32 v42, v28, s14, -v42
	v_fmac_f32_e32 v43, s15, v28
	v_add_co_u32 v52, vcc_lo, v48, s6
	v_mul_f32_e32 v46, s15, v27
	v_mul_f32_e32 v47, s14, v27
	global_store_dwordx2 v[44:45], v[2:3], off
	global_store_dwordx2 v[44:45], v[6:7], off offset:128
	global_store_dwordx2 v[44:45], v[42:43], off offset:256
	v_mul_f32_e32 v2, s15, v25
	v_mul_f32_e32 v3, s14, v25
	v_add_co_ci_u32_e64 v53, null, s7, v49, vcc_lo
	v_mul_f32_e32 v42, s15, v23
	v_mul_f32_e32 v43, s14, v23
	;; [unrolled: 1-line block ×4, first 2 shown]
	v_add_co_u32 v6, vcc_lo, v52, v8
	v_mul_f32_e32 v50, s15, v19
	v_mul_f32_e32 v51, s14, v19
	v_fma_f32 v46, v26, s14, -v46
	v_fmac_f32_e32 v47, s15, v26
	v_fma_f32 v2, v24, s14, -v2
	v_fmac_f32_e32 v3, s15, v24
	v_add_co_ci_u32_e64 v7, null, v53, v9, vcc_lo
	v_fma_f32 v42, v22, s14, -v42
	v_fmac_f32_e32 v43, s15, v22
	v_fma_f32 v48, v20, s14, -v48
	v_fmac_f32_e32 v49, s15, v20
	v_fma_f32 v50, v18, s14, -v50
	v_fmac_f32_e32 v51, s15, v18
	global_store_dwordx2 v[44:45], v[46:47], off offset:384
	global_store_dwordx2 v[6:7], v[2:3], off
	global_store_dwordx2 v[6:7], v[42:43], off offset:128
	global_store_dwordx2 v[6:7], v[48:49], off offset:256
	;; [unrolled: 1-line block ×3, first 2 shown]
	v_mul_f32_e32 v2, s15, v17
	v_add_co_u32 v3, vcc_lo, v52, s6
	v_add_co_ci_u32_e64 v6, null, s7, v53, vcc_lo
	v_fma_f32 v42, v16, s14, -v2
	v_mul_f32_e32 v2, s15, v15
	v_add_co_u32 v7, vcc_lo, v3, v8
	v_mul_f32_e32 v43, s14, v17
	v_add_co_ci_u32_e64 v8, null, v6, v9, vcc_lo
	v_fma_f32 v44, v14, s14, -v2
	v_mul_f32_e32 v2, s15, v13
	v_mul_f32_e32 v3, s15, v10
	;; [unrolled: 1-line block ×5, first 2 shown]
	v_fma_f32 v46, v12, s14, -v2
	v_add_co_u32 v2, vcc_lo, 0x180, v7
	v_fmac_f32_e32 v43, s15, v16
	v_fma_f32 v9, v11, s14, -v3
	v_fmac_f32_e32 v6, s15, v11
	v_add_co_ci_u32_e64 v3, null, 0, v8, vcc_lo
	v_fmac_f32_e32 v45, s15, v14
	v_fmac_f32_e32 v47, s15, v12
	global_store_dwordx2 v[7:8], v[42:43], off
	global_store_dwordx2 v[7:8], v[44:45], off offset:128
	global_store_dwordx2 v[7:8], v[46:47], off offset:256
	global_store_dword v[7:8], v9, off offset:384
	s_andn2_b32 vcc_lo, exec_lo, s13
	s_cbranch_vccz .LBB507_6
	s_branch .LBB507_7
.LBB507_5:
                                        ; implicit-def: $vgpr6
                                        ; implicit-def: $vgpr2_vgpr3
.LBB507_6:
	v_mul_lo_u32 v6, v5, s2
	v_mul_lo_u32 v7, v4, s3
	v_mad_u64_u32 v[2:3], null, v4, s2, 0
	s_mul_i32 s5, s5, s8
	s_mul_hi_u32 s6, s4, s8
	s_mul_i32 s4, s4, s8
	s_add_i32 s5, s6, s5
	v_lshlrev_b64 v[0:1], 3, v[0:1]
	s_lshl_b64 s[4:5], s[4:5], 3
	v_add3_u32 v3, v3, v7, v6
	s_add_u32 s0, s0, s4
	s_addc_u32 s1, s1, s5
	v_mul_lo_u32 v42, v5, s16
	v_mul_lo_u32 v43, v4, s17
	v_lshlrev_b64 v[2:3], 3, v[2:3]
	v_mad_u64_u32 v[4:5], null, v4, s16, 0
	v_add_co_u32 v8, vcc_lo, s0, v2
	v_add_co_ci_u32_e64 v9, null, s1, v3, vcc_lo
	v_add3_u32 v5, v5, v43, v42
	v_add_co_u32 v2, vcc_lo, v8, v0
	v_add_co_ci_u32_e64 v3, null, v9, v1, vcc_lo
	v_mul_f32_e32 v42, s15, v41
	v_mul_f32_e32 v41, s14, v41
	v_lshlrev_b64 v[4:5], 3, v[4:5]
	global_load_dwordx2 v[6:7], v[2:3], off
	s_lshl_b64 s[0:1], s[2:3], 7
	v_fma_f32 v42, v40, s14, -v42
	v_fmac_f32_e32 v41, s15, v40
	s_lshl_b64 s[2:3], s[16:17], 7
	v_add_co_u32 v43, vcc_lo, s9, v4
	v_add_co_ci_u32_e64 v44, null, s12, v5, vcc_lo
	v_add_co_u32 v4, vcc_lo, v43, v0
	v_add_co_ci_u32_e64 v5, null, v44, v1, vcc_lo
	;; [unrolled: 2-line block ×3, first 2 shown]
	s_waitcnt vmcnt(0)
	v_mul_f32_e32 v40, s11, v7
	v_mul_f32_e32 v7, s10, v7
	v_fma_f32 v40, v6, s10, -v40
	v_fmac_f32_e32 v7, s11, v6
	v_add_f32_e32 v6, v42, v40
	v_add_f32_e32 v7, v41, v7
	v_mul_f32_e32 v40, s15, v39
	v_mul_f32_e32 v39, s14, v39
	global_store_dwordx2 v[4:5], v[6:7], off
	global_load_dwordx2 v[6:7], v[2:3], off offset:128
	v_fma_f32 v40, v38, s14, -v40
	v_fmac_f32_e32 v39, s15, v38
	s_waitcnt vmcnt(0)
	v_mul_f32_e32 v41, s11, v7
	v_mul_f32_e32 v7, s10, v7
	v_fma_f32 v38, v6, s10, -v41
	v_fmac_f32_e32 v7, s11, v6
	v_add_f32_e32 v6, v40, v38
	v_add_f32_e32 v7, v39, v7
	v_mul_f32_e32 v38, s15, v37
	v_mul_f32_e32 v37, s14, v37
	global_store_dwordx2 v[4:5], v[6:7], off offset:128
	global_load_dwordx2 v[6:7], v[2:3], off offset:256
	v_fma_f32 v38, v36, s14, -v38
	v_fmac_f32_e32 v37, s15, v36
	s_waitcnt vmcnt(0)
	v_mul_f32_e32 v39, s11, v7
	v_mul_f32_e32 v7, s10, v7
	v_fma_f32 v36, v6, s10, -v39
	v_fmac_f32_e32 v7, s11, v6
	v_add_f32_e32 v6, v38, v36
	v_add_f32_e32 v7, v37, v7
	global_store_dwordx2 v[4:5], v[6:7], off offset:256
	global_load_dwordx2 v[2:3], v[2:3], off offset:384
	v_mul_f32_e32 v6, s15, v35
	v_mul_f32_e32 v7, s14, v35
	v_fma_f32 v6, v34, s14, -v6
	v_fmac_f32_e32 v7, s15, v34
	s_waitcnt vmcnt(0)
	v_mul_f32_e32 v35, s11, v3
	v_mul_f32_e32 v3, s10, v3
	v_fma_f32 v34, v2, s10, -v35
	v_fmac_f32_e32 v3, s11, v2
	v_add_f32_e32 v2, v6, v34
	v_add_co_u32 v6, vcc_lo, v8, v0
	v_add_f32_e32 v3, v7, v3
	v_add_co_ci_u32_e64 v7, null, v9, v1, vcc_lo
	v_add_co_u32 v34, vcc_lo, v43, s2
	global_store_dwordx2 v[4:5], v[2:3], off offset:384
	global_load_dwordx2 v[2:3], v[6:7], off
	v_mul_f32_e32 v4, s15, v33
	v_mul_f32_e32 v5, s14, v33
	v_add_co_ci_u32_e64 v35, null, s3, v44, vcc_lo
	v_fma_f32 v4, v32, s14, -v4
	v_fmac_f32_e32 v5, s15, v32
	s_waitcnt vmcnt(0)
	v_mul_f32_e32 v32, s11, v3
	v_mul_f32_e32 v33, s10, v3
	v_fma_f32 v32, v2, s10, -v32
	v_fmac_f32_e32 v33, s11, v2
	v_add_co_u32 v2, vcc_lo, v34, v0
	v_add_co_ci_u32_e64 v3, null, v35, v1, vcc_lo
	v_add_f32_e32 v4, v4, v32
	v_add_f32_e32 v5, v5, v33
	v_mul_f32_e32 v32, s15, v31
	v_mul_f32_e32 v31, s14, v31
	v_add_co_u32 v8, vcc_lo, v8, s0
	global_store_dwordx2 v[2:3], v[4:5], off
	global_load_dwordx2 v[4:5], v[6:7], off offset:128
	v_fma_f32 v32, v30, s14, -v32
	v_fmac_f32_e32 v31, s15, v30
	v_add_co_ci_u32_e64 v9, null, s1, v9, vcc_lo
	s_waitcnt vmcnt(0)
	v_mul_f32_e32 v33, s11, v5
	v_mul_f32_e32 v5, s10, v5
	v_fma_f32 v30, v4, s10, -v33
	v_fmac_f32_e32 v5, s11, v4
	v_add_f32_e32 v4, v32, v30
	v_add_f32_e32 v5, v31, v5
	v_mul_f32_e32 v30, s15, v29
	v_mul_f32_e32 v29, s14, v29
	global_store_dwordx2 v[2:3], v[4:5], off offset:128
	global_load_dwordx2 v[4:5], v[6:7], off offset:256
	v_fma_f32 v30, v28, s14, -v30
	v_fmac_f32_e32 v29, s15, v28
	s_waitcnt vmcnt(0)
	v_mul_f32_e32 v31, s11, v5
	v_mul_f32_e32 v5, s10, v5
	v_fma_f32 v28, v4, s10, -v31
	v_fmac_f32_e32 v5, s11, v4
	v_add_f32_e32 v4, v30, v28
	v_add_f32_e32 v5, v29, v5
	global_store_dwordx2 v[2:3], v[4:5], off offset:256
	global_load_dwordx2 v[4:5], v[6:7], off offset:384
	v_mul_f32_e32 v6, s15, v27
	v_mul_f32_e32 v7, s14, v27
	v_fma_f32 v6, v26, s14, -v6
	v_fmac_f32_e32 v7, s15, v26
	s_waitcnt vmcnt(0)
	v_mul_f32_e32 v27, s11, v5
	v_mul_f32_e32 v5, s10, v5
	v_fma_f32 v26, v4, s10, -v27
	v_fmac_f32_e32 v5, s11, v4
	v_add_f32_e32 v4, v6, v26
	v_add_co_u32 v6, vcc_lo, v8, v0
	v_add_f32_e32 v5, v7, v5
	v_add_co_ci_u32_e64 v7, null, v9, v1, vcc_lo
	v_add_co_u32 v26, vcc_lo, v34, s2
	global_store_dwordx2 v[2:3], v[4:5], off offset:384
	global_load_dwordx2 v[2:3], v[6:7], off
	v_mul_f32_e32 v4, s15, v25
	v_mul_f32_e32 v5, s14, v25
	v_add_co_ci_u32_e64 v27, null, s3, v35, vcc_lo
	v_fma_f32 v4, v24, s14, -v4
	v_fmac_f32_e32 v5, s15, v24
	s_waitcnt vmcnt(0)
	v_mul_f32_e32 v24, s11, v3
	v_mul_f32_e32 v25, s10, v3
	v_fma_f32 v24, v2, s10, -v24
	v_fmac_f32_e32 v25, s11, v2
	v_add_co_u32 v2, vcc_lo, v26, v0
	v_add_co_ci_u32_e64 v3, null, v27, v1, vcc_lo
	v_add_f32_e32 v4, v4, v24
	v_add_f32_e32 v5, v5, v25
	v_mul_f32_e32 v24, s15, v23
	v_mul_f32_e32 v23, s14, v23
	v_add_co_u32 v8, vcc_lo, v8, s0
	global_store_dwordx2 v[2:3], v[4:5], off
	global_load_dwordx2 v[4:5], v[6:7], off offset:128
	v_fma_f32 v24, v22, s14, -v24
	v_fmac_f32_e32 v23, s15, v22
	v_add_co_ci_u32_e64 v9, null, s1, v9, vcc_lo
	s_waitcnt vmcnt(0)
	v_mul_f32_e32 v25, s11, v5
	v_mul_f32_e32 v5, s10, v5
	v_fma_f32 v22, v4, s10, -v25
	v_fmac_f32_e32 v5, s11, v4
	v_add_f32_e32 v4, v24, v22
	v_add_f32_e32 v5, v23, v5
	v_mul_f32_e32 v22, s15, v21
	v_mul_f32_e32 v21, s14, v21
	global_store_dwordx2 v[2:3], v[4:5], off offset:128
	global_load_dwordx2 v[4:5], v[6:7], off offset:256
	v_fma_f32 v22, v20, s14, -v22
	v_fmac_f32_e32 v21, s15, v20
	s_waitcnt vmcnt(0)
	v_mul_f32_e32 v23, s11, v5
	v_mul_f32_e32 v5, s10, v5
	v_fma_f32 v20, v4, s10, -v23
	v_fmac_f32_e32 v5, s11, v4
	v_add_f32_e32 v4, v22, v20
	v_add_f32_e32 v5, v21, v5
	global_store_dwordx2 v[2:3], v[4:5], off offset:256
	global_load_dwordx2 v[4:5], v[6:7], off offset:384
	v_mul_f32_e32 v6, s15, v19
	v_mul_f32_e32 v7, s14, v19
	v_fma_f32 v6, v18, s14, -v6
	v_fmac_f32_e32 v7, s15, v18
	s_waitcnt vmcnt(0)
	v_mul_f32_e32 v19, s11, v5
	v_mul_f32_e32 v5, s10, v5
	v_fma_f32 v18, v4, s10, -v19
	v_fmac_f32_e32 v5, s11, v4
	v_add_f32_e32 v4, v6, v18
	v_add_co_u32 v6, vcc_lo, v8, v0
	v_add_f32_e32 v5, v7, v5
	v_add_co_ci_u32_e64 v7, null, v9, v1, vcc_lo
	v_add_co_u32 v9, vcc_lo, v26, s2
	global_store_dwordx2 v[2:3], v[4:5], off offset:384
	global_load_dwordx2 v[2:3], v[6:7], off
	v_mul_f32_e32 v4, s15, v17
	v_mul_f32_e32 v5, s14, v17
	v_fma_f32 v4, v16, s14, -v4
	v_fmac_f32_e32 v5, s15, v16
	v_add_co_ci_u32_e64 v16, null, s3, v27, vcc_lo
	v_add_co_u32 v0, vcc_lo, v9, v0
	v_add_co_ci_u32_e64 v1, null, v16, v1, vcc_lo
	s_waitcnt vmcnt(0)
	v_mul_f32_e32 v8, s11, v3
	v_mul_f32_e32 v3, s10, v3
	v_fma_f32 v8, v2, s10, -v8
	v_fmac_f32_e32 v3, s11, v2
	v_add_f32_e32 v2, v4, v8
	v_add_f32_e32 v3, v5, v3
	v_mul_f32_e32 v4, s15, v15
	v_mul_f32_e32 v5, s14, v15
	global_store_dwordx2 v[0:1], v[2:3], off
	global_load_dwordx2 v[2:3], v[6:7], off offset:128
	v_fma_f32 v4, v14, s14, -v4
	v_fmac_f32_e32 v5, s15, v14
	s_waitcnt vmcnt(0)
	v_mul_f32_e32 v8, s11, v3
	v_mul_f32_e32 v3, s10, v3
	v_fma_f32 v8, v2, s10, -v8
	v_fmac_f32_e32 v3, s11, v2
	v_add_f32_e32 v2, v4, v8
	v_add_f32_e32 v3, v5, v3
	v_mul_f32_e32 v4, s15, v13
	v_mul_f32_e32 v5, s14, v13
	global_store_dwordx2 v[0:1], v[2:3], off offset:128
	global_load_dwordx2 v[2:3], v[6:7], off offset:256
	v_fma_f32 v4, v12, s14, -v4
	v_fmac_f32_e32 v5, s15, v12
	s_waitcnt vmcnt(0)
	v_mul_f32_e32 v8, s11, v3
	v_mul_f32_e32 v3, s10, v3
	v_fma_f32 v8, v2, s10, -v8
	v_fmac_f32_e32 v3, s11, v2
	v_add_f32_e32 v2, v4, v8
	v_add_f32_e32 v3, v5, v3
	v_mul_f32_e32 v4, s15, v10
	v_mul_f32_e32 v5, s14, v10
	global_store_dwordx2 v[0:1], v[2:3], off offset:256
	global_load_dwordx2 v[2:3], v[6:7], off offset:384
	v_fma_f32 v4, v11, s14, -v4
	v_fmac_f32_e32 v5, s15, v11
	s_waitcnt vmcnt(0)
	v_mul_f32_e32 v6, s11, v3
	v_mul_f32_e32 v3, s10, v3
	v_fma_f32 v6, v2, s10, -v6
	v_fmac_f32_e32 v3, s11, v2
	v_add_co_u32 v2, vcc_lo, 0x180, v0
	v_add_f32_e32 v4, v4, v6
	v_add_f32_e32 v6, v5, v3
	v_add_co_ci_u32_e64 v3, null, 0, v1, vcc_lo
	global_store_dword v[0:1], v4, off offset:384
.LBB507_7:
	global_store_dword v[2:3], v6, off offset:4
	s_endpgm
	.section	.rodata,"a",@progbits
	.p2align	6, 0x0
	.amdhsa_kernel _ZN12_GLOBAL__N_127rocblas_gemm_batched_kernelI19rocblas_complex_numIfELi16ELi16ELi64ELi64ELi4ELi64ELi4ELi4ELi64ELc67ELc84EKS2_S3_S2_EEvlllT_PT11_llS6_llS4_PT12_llPT13_lli
		.amdhsa_group_segment_fixed_size 4096
		.amdhsa_private_segment_fixed_size 0
		.amdhsa_kernarg_size 140
		.amdhsa_user_sgpr_count 6
		.amdhsa_user_sgpr_private_segment_buffer 1
		.amdhsa_user_sgpr_dispatch_ptr 0
		.amdhsa_user_sgpr_queue_ptr 0
		.amdhsa_user_sgpr_kernarg_segment_ptr 1
		.amdhsa_user_sgpr_dispatch_id 0
		.amdhsa_user_sgpr_flat_scratch_init 0
		.amdhsa_user_sgpr_private_segment_size 0
		.amdhsa_wavefront_size32 1
		.amdhsa_uses_dynamic_stack 0
		.amdhsa_system_sgpr_private_segment_wavefront_offset 0
		.amdhsa_system_sgpr_workgroup_id_x 1
		.amdhsa_system_sgpr_workgroup_id_y 1
		.amdhsa_system_sgpr_workgroup_id_z 1
		.amdhsa_system_sgpr_workgroup_info 0
		.amdhsa_system_vgpr_workitem_id 1
		.amdhsa_next_free_vgpr 188
		.amdhsa_next_free_sgpr 32
		.amdhsa_reserve_vcc 1
		.amdhsa_reserve_flat_scratch 0
		.amdhsa_float_round_mode_32 0
		.amdhsa_float_round_mode_16_64 0
		.amdhsa_float_denorm_mode_32 3
		.amdhsa_float_denorm_mode_16_64 3
		.amdhsa_dx10_clamp 1
		.amdhsa_ieee_mode 1
		.amdhsa_fp16_overflow 0
		.amdhsa_workgroup_processor_mode 1
		.amdhsa_memory_ordered 1
		.amdhsa_forward_progress 1
		.amdhsa_shared_vgpr_count 0
		.amdhsa_exception_fp_ieee_invalid_op 0
		.amdhsa_exception_fp_denorm_src 0
		.amdhsa_exception_fp_ieee_div_zero 0
		.amdhsa_exception_fp_ieee_overflow 0
		.amdhsa_exception_fp_ieee_underflow 0
		.amdhsa_exception_fp_ieee_inexact 0
		.amdhsa_exception_int_div_zero 0
	.end_amdhsa_kernel
	.section	.text._ZN12_GLOBAL__N_127rocblas_gemm_batched_kernelI19rocblas_complex_numIfELi16ELi16ELi64ELi64ELi4ELi64ELi4ELi4ELi64ELc67ELc84EKS2_S3_S2_EEvlllT_PT11_llS6_llS4_PT12_llPT13_lli,"axG",@progbits,_ZN12_GLOBAL__N_127rocblas_gemm_batched_kernelI19rocblas_complex_numIfELi16ELi16ELi64ELi64ELi4ELi64ELi4ELi4ELi64ELc67ELc84EKS2_S3_S2_EEvlllT_PT11_llS6_llS4_PT12_llPT13_lli,comdat
.Lfunc_end507:
	.size	_ZN12_GLOBAL__N_127rocblas_gemm_batched_kernelI19rocblas_complex_numIfELi16ELi16ELi64ELi64ELi4ELi64ELi4ELi4ELi64ELc67ELc84EKS2_S3_S2_EEvlllT_PT11_llS6_llS4_PT12_llPT13_lli, .Lfunc_end507-_ZN12_GLOBAL__N_127rocblas_gemm_batched_kernelI19rocblas_complex_numIfELi16ELi16ELi64ELi64ELi4ELi64ELi4ELi4ELi64ELc67ELc84EKS2_S3_S2_EEvlllT_PT11_llS6_llS4_PT12_llPT13_lli
                                        ; -- End function
	.set _ZN12_GLOBAL__N_127rocblas_gemm_batched_kernelI19rocblas_complex_numIfELi16ELi16ELi64ELi64ELi4ELi64ELi4ELi4ELi64ELc67ELc84EKS2_S3_S2_EEvlllT_PT11_llS6_llS4_PT12_llPT13_lli.num_vgpr, 188
	.set _ZN12_GLOBAL__N_127rocblas_gemm_batched_kernelI19rocblas_complex_numIfELi16ELi16ELi64ELi64ELi4ELi64ELi4ELi4ELi64ELc67ELc84EKS2_S3_S2_EEvlllT_PT11_llS6_llS4_PT12_llPT13_lli.num_agpr, 0
	.set _ZN12_GLOBAL__N_127rocblas_gemm_batched_kernelI19rocblas_complex_numIfELi16ELi16ELi64ELi64ELi4ELi64ELi4ELi4ELi64ELc67ELc84EKS2_S3_S2_EEvlllT_PT11_llS6_llS4_PT12_llPT13_lli.numbered_sgpr, 32
	.set _ZN12_GLOBAL__N_127rocblas_gemm_batched_kernelI19rocblas_complex_numIfELi16ELi16ELi64ELi64ELi4ELi64ELi4ELi4ELi64ELc67ELc84EKS2_S3_S2_EEvlllT_PT11_llS6_llS4_PT12_llPT13_lli.num_named_barrier, 0
	.set _ZN12_GLOBAL__N_127rocblas_gemm_batched_kernelI19rocblas_complex_numIfELi16ELi16ELi64ELi64ELi4ELi64ELi4ELi4ELi64ELc67ELc84EKS2_S3_S2_EEvlllT_PT11_llS6_llS4_PT12_llPT13_lli.private_seg_size, 0
	.set _ZN12_GLOBAL__N_127rocblas_gemm_batched_kernelI19rocblas_complex_numIfELi16ELi16ELi64ELi64ELi4ELi64ELi4ELi4ELi64ELc67ELc84EKS2_S3_S2_EEvlllT_PT11_llS6_llS4_PT12_llPT13_lli.uses_vcc, 1
	.set _ZN12_GLOBAL__N_127rocblas_gemm_batched_kernelI19rocblas_complex_numIfELi16ELi16ELi64ELi64ELi4ELi64ELi4ELi4ELi64ELc67ELc84EKS2_S3_S2_EEvlllT_PT11_llS6_llS4_PT12_llPT13_lli.uses_flat_scratch, 0
	.set _ZN12_GLOBAL__N_127rocblas_gemm_batched_kernelI19rocblas_complex_numIfELi16ELi16ELi64ELi64ELi4ELi64ELi4ELi4ELi64ELc67ELc84EKS2_S3_S2_EEvlllT_PT11_llS6_llS4_PT12_llPT13_lli.has_dyn_sized_stack, 0
	.set _ZN12_GLOBAL__N_127rocblas_gemm_batched_kernelI19rocblas_complex_numIfELi16ELi16ELi64ELi64ELi4ELi64ELi4ELi4ELi64ELc67ELc84EKS2_S3_S2_EEvlllT_PT11_llS6_llS4_PT12_llPT13_lli.has_recursion, 0
	.set _ZN12_GLOBAL__N_127rocblas_gemm_batched_kernelI19rocblas_complex_numIfELi16ELi16ELi64ELi64ELi4ELi64ELi4ELi4ELi64ELc67ELc84EKS2_S3_S2_EEvlllT_PT11_llS6_llS4_PT12_llPT13_lli.has_indirect_call, 0
	.section	.AMDGPU.csdata,"",@progbits
; Kernel info:
; codeLenInByte = 4948
; TotalNumSgprs: 34
; NumVgprs: 188
; ScratchSize: 0
; MemoryBound: 0
; FloatMode: 240
; IeeeMode: 1
; LDSByteSize: 4096 bytes/workgroup (compile time only)
; SGPRBlocks: 0
; VGPRBlocks: 23
; NumSGPRsForWavesPerEU: 34
; NumVGPRsForWavesPerEU: 188
; Occupancy: 5
; WaveLimiterHint : 1
; COMPUTE_PGM_RSRC2:SCRATCH_EN: 0
; COMPUTE_PGM_RSRC2:USER_SGPR: 6
; COMPUTE_PGM_RSRC2:TRAP_HANDLER: 0
; COMPUTE_PGM_RSRC2:TGID_X_EN: 1
; COMPUTE_PGM_RSRC2:TGID_Y_EN: 1
; COMPUTE_PGM_RSRC2:TGID_Z_EN: 1
; COMPUTE_PGM_RSRC2:TIDIG_COMP_CNT: 1
	.section	.text._ZN12_GLOBAL__N_127rocblas_gemm_batched_kernelI19rocblas_complex_numIfELi16ELi16ELi64ELi64ELi4ELi64ELi4ELi4ELi64ELc78ELc67EKS2_S3_S2_EEvlllT_PT11_llS6_llS4_PT12_llPT13_lli,"axG",@progbits,_ZN12_GLOBAL__N_127rocblas_gemm_batched_kernelI19rocblas_complex_numIfELi16ELi16ELi64ELi64ELi4ELi64ELi4ELi4ELi64ELc78ELc67EKS2_S3_S2_EEvlllT_PT11_llS6_llS4_PT12_llPT13_lli,comdat
	.globl	_ZN12_GLOBAL__N_127rocblas_gemm_batched_kernelI19rocblas_complex_numIfELi16ELi16ELi64ELi64ELi4ELi64ELi4ELi4ELi64ELc78ELc67EKS2_S3_S2_EEvlllT_PT11_llS6_llS4_PT12_llPT13_lli ; -- Begin function _ZN12_GLOBAL__N_127rocblas_gemm_batched_kernelI19rocblas_complex_numIfELi16ELi16ELi64ELi64ELi4ELi64ELi4ELi4ELi64ELc78ELc67EKS2_S3_S2_EEvlllT_PT11_llS6_llS4_PT12_llPT13_lli
	.p2align	8
	.type	_ZN12_GLOBAL__N_127rocblas_gemm_batched_kernelI19rocblas_complex_numIfELi16ELi16ELi64ELi64ELi4ELi64ELi4ELi4ELi64ELc78ELc67EKS2_S3_S2_EEvlllT_PT11_llS6_llS4_PT12_llPT13_lli,@function
_ZN12_GLOBAL__N_127rocblas_gemm_batched_kernelI19rocblas_complex_numIfELi16ELi16ELi64ELi64ELi4ELi64ELi4ELi4ELi64ELc78ELc67EKS2_S3_S2_EEvlllT_PT11_llS6_llS4_PT12_llPT13_lli: ; @_ZN12_GLOBAL__N_127rocblas_gemm_batched_kernelI19rocblas_complex_numIfELi16ELi16ELi64ELi64ELi4ELi64ELi4ELi4ELi64ELc78ELc67EKS2_S3_S2_EEvlllT_PT11_llS6_llS4_PT12_llPT13_lli
; %bb.0:
	s_clause 0x1
	s_load_dwordx16 s[12:27], s[4:5], 0x10
	s_load_dwordx2 s[10:11], s[4:5], 0x50
	s_mov_b32 s0, s7
	v_mov_b32_e32 v40, 0
	v_mov_b32_e32 v41, 0
	;; [unrolled: 1-line block ×17, first 2 shown]
	s_waitcnt lgkmcnt(0)
	v_cmp_lt_i64_e64 s2, s[12:13], 1
	v_mov_b32_e32 v25, 0
	v_mov_b32_e32 v22, 0
	;; [unrolled: 1-line block ×15, first 2 shown]
	s_ashr_i32 s7, s6, 31
	s_ashr_i32 s1, s0, 31
	s_lshl_b64 s[28:29], s[6:7], 6
	s_and_b32 vcc_lo, exec_lo, s2
	s_lshl_b64 s[30:31], s[0:1], 6
	s_cbranch_vccnz .LBB508_3
; %bb.1:
	v_lshl_add_u32 v6, v1, 4, v0
	v_and_b32_e32 v8, 3, v0
	s_mul_i32 s1, s21, s8
	s_mul_hi_u32 s2, s20, s8
	v_mov_b32_e32 v10, 0
	v_lshrrev_b32_e32 v7, 2, v6
	v_lshrrev_b32_e32 v9, 6, v6
	v_lshlrev_b32_e32 v12, 3, v8
	v_and_b32_e32 v11, 63, v6
	s_add_i32 s1, s2, s1
	v_add_co_u32 v2, s0, v7, s30
	v_add_co_ci_u32_e64 v3, null, 0, s31, s0
	v_mad_u64_u32 v[4:5], null, s18, v9, s[28:29]
	v_lshl_or_b32 v12, v7, 5, v12
	v_mad_u64_u32 v[2:3], null, s24, v8, v[2:3]
	s_mul_i32 s0, s20, s8
	s_mul_hi_u32 s2, s26, s8
	s_lshl_b64 s[0:1], s[0:1], 3
	v_mad_u64_u32 v[5:6], null, s19, v9, v[5:6]
	s_add_u32 s6, s16, s0
	v_mad_u64_u32 v[6:7], null, s25, v8, v[3:4]
	v_add_co_u32 v4, vcc_lo, v4, v11
	s_mul_i32 s0, s27, s8
	v_add_co_ci_u32_e64 v5, null, 0, v5, vcc_lo
	s_addc_u32 s7, s17, s1
	v_mov_b32_e32 v3, v6
	s_add_i32 s1, s2, s0
	s_mul_i32 s0, s26, s8
	v_lshlrev_b64 v[4:5], 3, v[4:5]
	s_lshl_b64 s[2:3], s[0:1], 3
	v_lshlrev_b64 v[2:3], 3, v[2:3]
	s_lshl_b64 s[0:1], s[18:19], 5
	s_add_u32 s2, s22, s2
	s_addc_u32 s3, s23, s3
	v_lshlrev_b32_e32 v13, 3, v11
	v_lshlrev_b32_e32 v42, 3, v0
	v_add_co_u32 v6, vcc_lo, s2, v2
	v_add_co_ci_u32_e64 v7, null, s3, v3, vcc_lo
	v_add_co_u32 v2, vcc_lo, s6, v4
	v_add_co_ci_u32_e64 v3, null, s7, v5, vcc_lo
	v_add_co_u32 v4, vcc_lo, v6, 4
	v_lshl_add_u32 v43, v1, 5, 0x800
	v_lshl_or_b32 v44, v9, 9, v13
	v_add_nc_u32_e32 v45, 0x800, v12
	v_add_co_ci_u32_e64 v5, null, 0, v7, vcc_lo
	v_mov_b32_e32 v11, 0
	v_mov_b32_e32 v13, 0
	;; [unrolled: 1-line block ×31, first 2 shown]
	s_lshl_b64 s[2:3], s[24:25], 5
	s_mov_b64 s[6:7], 0
.LBB508_2:                              ; =>This Inner Loop Header: Depth=1
	global_load_dwordx2 v[6:7], v[4:5], off offset:-4
	global_load_dwordx2 v[8:9], v[2:3], off
	s_add_u32 s6, s6, 4
	s_addc_u32 s7, s7, 0
	v_add_co_u32 v2, vcc_lo, v2, s0
	v_cmp_lt_i64_e64 s9, s[6:7], s[12:13]
	v_add_co_ci_u32_e64 v3, null, s1, v3, vcc_lo
	v_add_co_u32 v4, vcc_lo, v4, s2
	v_add_co_ci_u32_e64 v5, null, s3, v5, vcc_lo
	s_and_b32 vcc_lo, exec_lo, s9
	s_waitcnt vmcnt(1)
	v_xor_b32_e32 v7, 0x80000000, v7
	s_waitcnt vmcnt(0)
	ds_write_b64 v44, v[8:9]
	ds_write_b64 v45, v[6:7]
	s_waitcnt lgkmcnt(0)
	s_barrier
	buffer_gl0_inv
	ds_read_b128 v[6:9], v43
	ds_read2_b64 v[46:49], v42 offset1:16
	ds_read_b128 v[50:53], v43 offset:512
	ds_read_b128 v[54:57], v43 offset:16
	;; [unrolled: 1-line block ×7, first 2 shown]
	ds_read2_b64 v[78:81], v42 offset0:32 offset1:48
	ds_read2_b64 v[82:85], v42 offset0:64 offset1:80
	ds_read2_b64 v[86:89], v42 offset0:96 offset1:112
	ds_read2_b64 v[90:93], v42 offset0:128 offset1:144
	ds_read2_b64 v[94:97], v42 offset0:160 offset1:176
	ds_read2_b64 v[98:101], v42 offset0:192 offset1:208
	ds_read2_b64 v[102:105], v42 offset0:224 offset1:240
	s_waitcnt lgkmcnt(0)
	s_barrier
	buffer_gl0_inv
	v_mul_f32_e32 v106, v7, v47
	v_mul_f32_e32 v107, v6, v47
	;; [unrolled: 1-line block ×64, first 2 shown]
	v_fma_f32 v106, v6, v46, -v106
	v_fmac_f32_e32 v107, v7, v46
	v_fma_f32 v108, v6, v48, -v108
	v_fmac_f32_e32 v109, v7, v48
	;; [unrolled: 2-line block ×16, first 2 shown]
	v_mul_f32_e32 v162, v55, v91
	v_mul_f32_e32 v163, v54, v91
	;; [unrolled: 1-line block ×28, first 2 shown]
	v_fma_f32 v124, v8, v82, -v134
	v_fmac_f32_e32 v135, v9, v82
	v_fma_f32 v126, v8, v84, -v136
	v_fmac_f32_e32 v137, v9, v84
	;; [unrolled: 2-line block ×4, first 2 shown]
	v_mul_f32_e32 v9, v75, v95
	v_mul_f32_e32 v95, v74, v95
	;; [unrolled: 1-line block ×4, first 2 shown]
	v_fma_f32 v132, v52, v82, -v142
	v_fmac_f32_e32 v143, v53, v82
	v_fma_f32 v133, v52, v84, -v144
	v_fmac_f32_e32 v145, v53, v84
	;; [unrolled: 2-line block ×4, first 2 shown]
	v_mul_f32_e32 v136, v56, v99
	v_mul_f32_e32 v140, v56, v101
	v_fma_f32 v142, v64, v82, -v150
	v_fmac_f32_e32 v151, v65, v82
	v_fma_f32 v144, v64, v84, -v152
	v_fmac_f32_e32 v153, v65, v84
	v_fma_f32 v146, v64, v86, -v154
	v_fmac_f32_e32 v155, v65, v86
	v_fma_f32 v64, v64, v88, -v156
	v_fmac_f32_e32 v157, v65, v88
	v_mul_f32_e32 v148, v56, v103
	v_mul_f32_e32 v152, v56, v105
	v_fma_f32 v154, v72, v82, -v158
	v_fmac_f32_e32 v83, v73, v82
	v_fma_f32 v82, v72, v84, -v159
	v_fmac_f32_e32 v85, v73, v84
	;; [unrolled: 2-line block ×4, first 2 shown]
	v_add_f32_e32 v40, v40, v106
	v_add_f32_e32 v41, v41, v107
	v_add_f32_e32 v38, v38, v108
	v_add_f32_e32 v39, v39, v109
	v_add_f32_e32 v36, v36, v120
	v_add_f32_e32 v37, v37, v121
	v_add_f32_e32 v6, v34, v6
	v_add_f32_e32 v34, v35, v123
	v_add_f32_e32 v32, v32, v110
	v_add_f32_e32 v33, v33, v111
	v_add_f32_e32 v30, v30, v112
	v_add_f32_e32 v31, v31, v113
	v_add_f32_e32 v7, v28, v7
	v_add_f32_e32 v28, v29, v125
	v_add_f32_e32 v26, v26, v50
	v_add_f32_e32 v27, v27, v127
	v_add_f32_e32 v24, v24, v114
	v_add_f32_e32 v25, v25, v115
	v_add_f32_e32 v22, v22, v116
	v_add_f32_e32 v23, v23, v117
	v_add_f32_e32 v20, v20, v51
	v_add_f32_e32 v21, v21, v129
	v_add_f32_e32 v18, v18, v62
	v_add_f32_e32 v19, v19, v131
	v_add_f32_e32 v16, v16, v118
	v_add_f32_e32 v17, v17, v47
	v_add_f32_e32 v14, v14, v46
	v_add_f32_e32 v15, v15, v49
	v_add_f32_e32 v12, v12, v63
	v_add_f32_e32 v13, v13, v79
	v_add_f32_e32 v11, v11, v70
	v_add_f32_e32 v10, v10, v81
	v_mul_f32_e32 v53, v57, v99
	v_mul_f32_e32 v138, v57, v101
	v_mul_f32_e32 v65, v57, v103
	v_mul_f32_e32 v150, v57, v105
	v_mul_f32_e32 v84, v61, v99
	v_mul_f32_e32 v156, v60, v99
	v_mul_f32_e32 v158, v61, v101
	v_mul_f32_e32 v159, v60, v101
	v_mul_f32_e32 v73, v61, v103
	v_mul_f32_e32 v86, v60, v103
	v_mul_f32_e32 v88, v61, v105
	v_mul_f32_e32 v161, v60, v105
	v_mul_f32_e32 v182, v69, v99
	v_mul_f32_e32 v183, v68, v99
	v_mul_f32_e32 v184, v69, v101
	v_mul_f32_e32 v185, v68, v101
	v_fma_f32 v162, v54, v90, -v162
	v_fmac_f32_e32 v163, v55, v90
	v_fma_f32 v164, v54, v92, -v164
	v_fmac_f32_e32 v165, v55, v92
	;; [unrolled: 2-line block ×8, first 2 shown]
	v_mul_f32_e32 v92, v69, v103
	v_mul_f32_e32 v175, v68, v103
	;; [unrolled: 1-line block ×4, first 2 shown]
	v_fma_f32 v176, v54, v94, -v176
	v_fmac_f32_e32 v177, v55, v94
	v_fma_f32 v54, v54, v96, -v178
	v_fmac_f32_e32 v179, v55, v96
	;; [unrolled: 2-line block ×8, first 2 shown]
	v_mul_f32_e32 v67, v77, v99
	v_mul_f32_e32 v71, v76, v99
	;; [unrolled: 1-line block ×4, first 2 shown]
	v_fmac_f32_e32 v136, v57, v98
	v_fmac_f32_e32 v140, v57, v100
	;; [unrolled: 1-line block ×4, first 2 shown]
	v_mul_f32_e32 v57, v77, v103
	v_mul_f32_e32 v94, v76, v103
	;; [unrolled: 1-line block ×4, first 2 shown]
	v_add_f32_e32 v29, v40, v124
	v_add_f32_e32 v35, v41, v135
	;; [unrolled: 1-line block ×32, first 2 shown]
	v_fma_f32 v53, v56, v98, -v53
	v_fma_f32 v80, v56, v100, -v138
	;; [unrolled: 1-line block ×5, first 2 shown]
	v_fmac_f32_e32 v156, v61, v98
	v_fma_f32 v101, v60, v100, -v158
	v_fmac_f32_e32 v159, v61, v100
	v_fma_f32 v73, v60, v102, -v73
	;; [unrolled: 2-line block ×11, first 2 shown]
	v_fmac_f32_e32 v99, v77, v104
	v_add_f32_e32 v29, v29, v162
	v_add_f32_e32 v34, v35, v163
	;; [unrolled: 1-line block ×64, first 2 shown]
	s_cbranch_vccnz .LBB508_2
.LBB508_3:
	s_clause 0x1
	s_load_dwordx4 s[16:19], s[4:5], 0x78
	s_load_dwordx8 s[0:7], s[4:5], 0x58
	s_waitcnt lgkmcnt(0)
	s_mul_i32 s9, s19, s8
	s_mul_hi_u32 s13, s18, s8
	s_mul_i32 s12, s18, s8
	s_add_i32 s13, s13, s9
	s_lshl_b64 s[12:13], s[12:13], 3
	s_add_u32 s9, s6, s12
	s_addc_u32 s12, s7, s13
	v_add_co_u32 v4, s7, s30, v1
	v_add_co_ci_u32_e64 v5, null, s31, 0, s7
	v_add_co_u32 v0, s7, s28, v0
	s_or_b32 s6, s10, s11
	v_add_co_ci_u32_e64 v1, null, s29, 0, s7
	s_bitset0_b32 s6, 31
	s_mov_b32 s13, 0
	s_cmp_lg_u32 s6, 0
	s_cbranch_scc1 .LBB508_5
; %bb.4:
	v_mul_lo_u32 v6, v5, s16
	v_mul_lo_u32 v8, v4, s17
	v_mad_u64_u32 v[2:3], null, v4, s16, 0
	v_mul_f32_e32 v42, s15, v41
	v_mul_f32_e32 v7, s14, v41
	;; [unrolled: 1-line block ×6, first 2 shown]
	v_add3_u32 v3, v3, v8, v6
	v_lshlrev_b64 v[8:9], 3, v[0:1]
	v_mul_f32_e32 v48, s15, v35
	v_mul_f32_e32 v47, s14, v35
	v_fma_f32 v6, v40, s14, -v42
	v_lshlrev_b64 v[2:3], 3, v[2:3]
	v_fmac_f32_e32 v7, s15, v40
	v_fma_f32 v42, v38, s14, -v44
	v_fmac_f32_e32 v43, s15, v38
	s_lshl_b64 s[6:7], s[16:17], 7
	v_fma_f32 v44, v36, s14, -v46
	v_add_co_u32 v49, vcc_lo, s9, v2
	v_add_co_ci_u32_e64 v50, null, s12, v3, vcc_lo
	v_fmac_f32_e32 v45, s15, v36
	v_add_co_u32 v2, vcc_lo, v49, v8
	v_add_co_ci_u32_e64 v3, null, v50, v9, vcc_lo
	v_fma_f32 v46, v34, s14, -v48
	v_fmac_f32_e32 v47, s15, v34
	v_add_co_u32 v48, vcc_lo, v49, s6
	global_store_dwordx2 v[2:3], v[6:7], off
	global_store_dwordx2 v[2:3], v[42:43], off offset:128
	global_store_dwordx2 v[2:3], v[44:45], off offset:256
	;; [unrolled: 1-line block ×3, first 2 shown]
	v_mul_f32_e32 v2, s15, v33
	v_mul_f32_e32 v3, s14, v33
	v_add_co_ci_u32_e64 v49, null, s7, v50, vcc_lo
	v_mul_f32_e32 v6, s15, v31
	v_mul_f32_e32 v7, s14, v31
	;; [unrolled: 1-line block ×4, first 2 shown]
	v_add_co_u32 v44, vcc_lo, v48, v8
	v_fma_f32 v2, v32, s14, -v2
	v_fmac_f32_e32 v3, s15, v32
	v_add_co_ci_u32_e64 v45, null, v49, v9, vcc_lo
	v_fma_f32 v6, v30, s14, -v6
	v_fmac_f32_e32 v7, s15, v30
	v_fma_f32 v42, v28, s14, -v42
	v_fmac_f32_e32 v43, s15, v28
	v_add_co_u32 v52, vcc_lo, v48, s6
	v_mul_f32_e32 v46, s15, v27
	v_mul_f32_e32 v47, s14, v27
	global_store_dwordx2 v[44:45], v[2:3], off
	global_store_dwordx2 v[44:45], v[6:7], off offset:128
	global_store_dwordx2 v[44:45], v[42:43], off offset:256
	v_mul_f32_e32 v2, s15, v25
	v_mul_f32_e32 v3, s14, v25
	v_add_co_ci_u32_e64 v53, null, s7, v49, vcc_lo
	v_mul_f32_e32 v42, s15, v23
	v_mul_f32_e32 v43, s14, v23
	;; [unrolled: 1-line block ×4, first 2 shown]
	v_add_co_u32 v6, vcc_lo, v52, v8
	v_mul_f32_e32 v50, s15, v19
	v_mul_f32_e32 v51, s14, v19
	v_fma_f32 v46, v26, s14, -v46
	v_fmac_f32_e32 v47, s15, v26
	v_fma_f32 v2, v24, s14, -v2
	v_fmac_f32_e32 v3, s15, v24
	v_add_co_ci_u32_e64 v7, null, v53, v9, vcc_lo
	v_fma_f32 v42, v22, s14, -v42
	v_fmac_f32_e32 v43, s15, v22
	v_fma_f32 v48, v20, s14, -v48
	v_fmac_f32_e32 v49, s15, v20
	;; [unrolled: 2-line block ×3, first 2 shown]
	global_store_dwordx2 v[44:45], v[46:47], off offset:384
	global_store_dwordx2 v[6:7], v[2:3], off
	global_store_dwordx2 v[6:7], v[42:43], off offset:128
	global_store_dwordx2 v[6:7], v[48:49], off offset:256
	;; [unrolled: 1-line block ×3, first 2 shown]
	v_mul_f32_e32 v2, s15, v17
	v_add_co_u32 v3, vcc_lo, v52, s6
	v_add_co_ci_u32_e64 v6, null, s7, v53, vcc_lo
	v_fma_f32 v42, v16, s14, -v2
	v_mul_f32_e32 v2, s15, v15
	v_add_co_u32 v7, vcc_lo, v3, v8
	v_mul_f32_e32 v43, s14, v17
	v_add_co_ci_u32_e64 v8, null, v6, v9, vcc_lo
	v_fma_f32 v44, v14, s14, -v2
	v_mul_f32_e32 v2, s15, v13
	v_mul_f32_e32 v3, s15, v10
	;; [unrolled: 1-line block ×5, first 2 shown]
	v_fma_f32 v46, v12, s14, -v2
	v_add_co_u32 v2, vcc_lo, 0x180, v7
	v_fmac_f32_e32 v43, s15, v16
	v_fma_f32 v9, v11, s14, -v3
	v_fmac_f32_e32 v6, s15, v11
	v_add_co_ci_u32_e64 v3, null, 0, v8, vcc_lo
	v_fmac_f32_e32 v45, s15, v14
	v_fmac_f32_e32 v47, s15, v12
	global_store_dwordx2 v[7:8], v[42:43], off
	global_store_dwordx2 v[7:8], v[44:45], off offset:128
	global_store_dwordx2 v[7:8], v[46:47], off offset:256
	global_store_dword v[7:8], v9, off offset:384
	s_andn2_b32 vcc_lo, exec_lo, s13
	s_cbranch_vccz .LBB508_6
	s_branch .LBB508_7
.LBB508_5:
                                        ; implicit-def: $vgpr6
                                        ; implicit-def: $vgpr2_vgpr3
.LBB508_6:
	v_mul_lo_u32 v6, v5, s2
	v_mul_lo_u32 v7, v4, s3
	v_mad_u64_u32 v[2:3], null, v4, s2, 0
	s_mul_i32 s5, s5, s8
	s_mul_hi_u32 s6, s4, s8
	s_mul_i32 s4, s4, s8
	s_add_i32 s5, s6, s5
	v_lshlrev_b64 v[0:1], 3, v[0:1]
	s_lshl_b64 s[4:5], s[4:5], 3
	v_add3_u32 v3, v3, v7, v6
	s_add_u32 s0, s0, s4
	s_addc_u32 s1, s1, s5
	v_mul_lo_u32 v42, v5, s16
	v_mul_lo_u32 v43, v4, s17
	v_lshlrev_b64 v[2:3], 3, v[2:3]
	v_mad_u64_u32 v[4:5], null, v4, s16, 0
	v_add_co_u32 v8, vcc_lo, s0, v2
	v_add_co_ci_u32_e64 v9, null, s1, v3, vcc_lo
	v_add3_u32 v5, v5, v43, v42
	v_add_co_u32 v2, vcc_lo, v8, v0
	v_add_co_ci_u32_e64 v3, null, v9, v1, vcc_lo
	v_mul_f32_e32 v42, s15, v41
	v_mul_f32_e32 v41, s14, v41
	v_lshlrev_b64 v[4:5], 3, v[4:5]
	global_load_dwordx2 v[6:7], v[2:3], off
	s_lshl_b64 s[0:1], s[2:3], 7
	v_fma_f32 v42, v40, s14, -v42
	v_fmac_f32_e32 v41, s15, v40
	s_lshl_b64 s[2:3], s[16:17], 7
	v_add_co_u32 v43, vcc_lo, s9, v4
	v_add_co_ci_u32_e64 v44, null, s12, v5, vcc_lo
	v_add_co_u32 v4, vcc_lo, v43, v0
	v_add_co_ci_u32_e64 v5, null, v44, v1, vcc_lo
	;; [unrolled: 2-line block ×3, first 2 shown]
	s_waitcnt vmcnt(0)
	v_mul_f32_e32 v40, s11, v7
	v_mul_f32_e32 v7, s10, v7
	v_fma_f32 v40, v6, s10, -v40
	v_fmac_f32_e32 v7, s11, v6
	v_add_f32_e32 v6, v42, v40
	v_add_f32_e32 v7, v41, v7
	v_mul_f32_e32 v40, s15, v39
	v_mul_f32_e32 v39, s14, v39
	global_store_dwordx2 v[4:5], v[6:7], off
	global_load_dwordx2 v[6:7], v[2:3], off offset:128
	v_fma_f32 v40, v38, s14, -v40
	v_fmac_f32_e32 v39, s15, v38
	s_waitcnt vmcnt(0)
	v_mul_f32_e32 v41, s11, v7
	v_mul_f32_e32 v7, s10, v7
	v_fma_f32 v38, v6, s10, -v41
	v_fmac_f32_e32 v7, s11, v6
	v_add_f32_e32 v6, v40, v38
	v_add_f32_e32 v7, v39, v7
	v_mul_f32_e32 v38, s15, v37
	v_mul_f32_e32 v37, s14, v37
	global_store_dwordx2 v[4:5], v[6:7], off offset:128
	global_load_dwordx2 v[6:7], v[2:3], off offset:256
	v_fma_f32 v38, v36, s14, -v38
	v_fmac_f32_e32 v37, s15, v36
	s_waitcnt vmcnt(0)
	v_mul_f32_e32 v39, s11, v7
	v_mul_f32_e32 v7, s10, v7
	v_fma_f32 v36, v6, s10, -v39
	v_fmac_f32_e32 v7, s11, v6
	v_add_f32_e32 v6, v38, v36
	v_add_f32_e32 v7, v37, v7
	global_store_dwordx2 v[4:5], v[6:7], off offset:256
	global_load_dwordx2 v[2:3], v[2:3], off offset:384
	v_mul_f32_e32 v6, s15, v35
	v_mul_f32_e32 v7, s14, v35
	v_fma_f32 v6, v34, s14, -v6
	v_fmac_f32_e32 v7, s15, v34
	s_waitcnt vmcnt(0)
	v_mul_f32_e32 v35, s11, v3
	v_mul_f32_e32 v3, s10, v3
	v_fma_f32 v34, v2, s10, -v35
	v_fmac_f32_e32 v3, s11, v2
	v_add_f32_e32 v2, v6, v34
	v_add_co_u32 v6, vcc_lo, v8, v0
	v_add_f32_e32 v3, v7, v3
	v_add_co_ci_u32_e64 v7, null, v9, v1, vcc_lo
	v_add_co_u32 v34, vcc_lo, v43, s2
	global_store_dwordx2 v[4:5], v[2:3], off offset:384
	global_load_dwordx2 v[2:3], v[6:7], off
	v_mul_f32_e32 v4, s15, v33
	v_mul_f32_e32 v5, s14, v33
	v_add_co_ci_u32_e64 v35, null, s3, v44, vcc_lo
	v_fma_f32 v4, v32, s14, -v4
	v_fmac_f32_e32 v5, s15, v32
	s_waitcnt vmcnt(0)
	v_mul_f32_e32 v32, s11, v3
	v_mul_f32_e32 v33, s10, v3
	v_fma_f32 v32, v2, s10, -v32
	v_fmac_f32_e32 v33, s11, v2
	v_add_co_u32 v2, vcc_lo, v34, v0
	v_add_co_ci_u32_e64 v3, null, v35, v1, vcc_lo
	v_add_f32_e32 v4, v4, v32
	v_add_f32_e32 v5, v5, v33
	v_mul_f32_e32 v32, s15, v31
	v_mul_f32_e32 v31, s14, v31
	v_add_co_u32 v8, vcc_lo, v8, s0
	global_store_dwordx2 v[2:3], v[4:5], off
	global_load_dwordx2 v[4:5], v[6:7], off offset:128
	v_fma_f32 v32, v30, s14, -v32
	v_fmac_f32_e32 v31, s15, v30
	v_add_co_ci_u32_e64 v9, null, s1, v9, vcc_lo
	s_waitcnt vmcnt(0)
	v_mul_f32_e32 v33, s11, v5
	v_mul_f32_e32 v5, s10, v5
	v_fma_f32 v30, v4, s10, -v33
	v_fmac_f32_e32 v5, s11, v4
	v_add_f32_e32 v4, v32, v30
	v_add_f32_e32 v5, v31, v5
	v_mul_f32_e32 v30, s15, v29
	v_mul_f32_e32 v29, s14, v29
	global_store_dwordx2 v[2:3], v[4:5], off offset:128
	global_load_dwordx2 v[4:5], v[6:7], off offset:256
	v_fma_f32 v30, v28, s14, -v30
	v_fmac_f32_e32 v29, s15, v28
	s_waitcnt vmcnt(0)
	v_mul_f32_e32 v31, s11, v5
	v_mul_f32_e32 v5, s10, v5
	v_fma_f32 v28, v4, s10, -v31
	v_fmac_f32_e32 v5, s11, v4
	v_add_f32_e32 v4, v30, v28
	v_add_f32_e32 v5, v29, v5
	global_store_dwordx2 v[2:3], v[4:5], off offset:256
	global_load_dwordx2 v[4:5], v[6:7], off offset:384
	v_mul_f32_e32 v6, s15, v27
	v_mul_f32_e32 v7, s14, v27
	v_fma_f32 v6, v26, s14, -v6
	v_fmac_f32_e32 v7, s15, v26
	s_waitcnt vmcnt(0)
	v_mul_f32_e32 v27, s11, v5
	v_mul_f32_e32 v5, s10, v5
	v_fma_f32 v26, v4, s10, -v27
	v_fmac_f32_e32 v5, s11, v4
	v_add_f32_e32 v4, v6, v26
	v_add_co_u32 v6, vcc_lo, v8, v0
	v_add_f32_e32 v5, v7, v5
	v_add_co_ci_u32_e64 v7, null, v9, v1, vcc_lo
	v_add_co_u32 v26, vcc_lo, v34, s2
	global_store_dwordx2 v[2:3], v[4:5], off offset:384
	global_load_dwordx2 v[2:3], v[6:7], off
	v_mul_f32_e32 v4, s15, v25
	v_mul_f32_e32 v5, s14, v25
	v_add_co_ci_u32_e64 v27, null, s3, v35, vcc_lo
	v_fma_f32 v4, v24, s14, -v4
	v_fmac_f32_e32 v5, s15, v24
	s_waitcnt vmcnt(0)
	v_mul_f32_e32 v24, s11, v3
	v_mul_f32_e32 v25, s10, v3
	v_fma_f32 v24, v2, s10, -v24
	v_fmac_f32_e32 v25, s11, v2
	v_add_co_u32 v2, vcc_lo, v26, v0
	v_add_co_ci_u32_e64 v3, null, v27, v1, vcc_lo
	v_add_f32_e32 v4, v4, v24
	v_add_f32_e32 v5, v5, v25
	v_mul_f32_e32 v24, s15, v23
	v_mul_f32_e32 v23, s14, v23
	v_add_co_u32 v8, vcc_lo, v8, s0
	global_store_dwordx2 v[2:3], v[4:5], off
	global_load_dwordx2 v[4:5], v[6:7], off offset:128
	v_fma_f32 v24, v22, s14, -v24
	v_fmac_f32_e32 v23, s15, v22
	v_add_co_ci_u32_e64 v9, null, s1, v9, vcc_lo
	s_waitcnt vmcnt(0)
	v_mul_f32_e32 v25, s11, v5
	v_mul_f32_e32 v5, s10, v5
	v_fma_f32 v22, v4, s10, -v25
	v_fmac_f32_e32 v5, s11, v4
	v_add_f32_e32 v4, v24, v22
	v_add_f32_e32 v5, v23, v5
	v_mul_f32_e32 v22, s15, v21
	v_mul_f32_e32 v21, s14, v21
	global_store_dwordx2 v[2:3], v[4:5], off offset:128
	global_load_dwordx2 v[4:5], v[6:7], off offset:256
	v_fma_f32 v22, v20, s14, -v22
	v_fmac_f32_e32 v21, s15, v20
	s_waitcnt vmcnt(0)
	v_mul_f32_e32 v23, s11, v5
	v_mul_f32_e32 v5, s10, v5
	v_fma_f32 v20, v4, s10, -v23
	v_fmac_f32_e32 v5, s11, v4
	v_add_f32_e32 v4, v22, v20
	v_add_f32_e32 v5, v21, v5
	global_store_dwordx2 v[2:3], v[4:5], off offset:256
	global_load_dwordx2 v[4:5], v[6:7], off offset:384
	v_mul_f32_e32 v6, s15, v19
	v_mul_f32_e32 v7, s14, v19
	v_fma_f32 v6, v18, s14, -v6
	v_fmac_f32_e32 v7, s15, v18
	s_waitcnt vmcnt(0)
	v_mul_f32_e32 v19, s11, v5
	v_mul_f32_e32 v5, s10, v5
	v_fma_f32 v18, v4, s10, -v19
	v_fmac_f32_e32 v5, s11, v4
	v_add_f32_e32 v4, v6, v18
	v_add_co_u32 v6, vcc_lo, v8, v0
	v_add_f32_e32 v5, v7, v5
	v_add_co_ci_u32_e64 v7, null, v9, v1, vcc_lo
	v_add_co_u32 v9, vcc_lo, v26, s2
	global_store_dwordx2 v[2:3], v[4:5], off offset:384
	global_load_dwordx2 v[2:3], v[6:7], off
	v_mul_f32_e32 v4, s15, v17
	v_mul_f32_e32 v5, s14, v17
	v_fma_f32 v4, v16, s14, -v4
	v_fmac_f32_e32 v5, s15, v16
	v_add_co_ci_u32_e64 v16, null, s3, v27, vcc_lo
	v_add_co_u32 v0, vcc_lo, v9, v0
	v_add_co_ci_u32_e64 v1, null, v16, v1, vcc_lo
	s_waitcnt vmcnt(0)
	v_mul_f32_e32 v8, s11, v3
	v_mul_f32_e32 v3, s10, v3
	v_fma_f32 v8, v2, s10, -v8
	v_fmac_f32_e32 v3, s11, v2
	v_add_f32_e32 v2, v4, v8
	v_add_f32_e32 v3, v5, v3
	v_mul_f32_e32 v4, s15, v15
	v_mul_f32_e32 v5, s14, v15
	global_store_dwordx2 v[0:1], v[2:3], off
	global_load_dwordx2 v[2:3], v[6:7], off offset:128
	v_fma_f32 v4, v14, s14, -v4
	v_fmac_f32_e32 v5, s15, v14
	s_waitcnt vmcnt(0)
	v_mul_f32_e32 v8, s11, v3
	v_mul_f32_e32 v3, s10, v3
	v_fma_f32 v8, v2, s10, -v8
	v_fmac_f32_e32 v3, s11, v2
	v_add_f32_e32 v2, v4, v8
	v_add_f32_e32 v3, v5, v3
	v_mul_f32_e32 v4, s15, v13
	v_mul_f32_e32 v5, s14, v13
	global_store_dwordx2 v[0:1], v[2:3], off offset:128
	global_load_dwordx2 v[2:3], v[6:7], off offset:256
	v_fma_f32 v4, v12, s14, -v4
	v_fmac_f32_e32 v5, s15, v12
	s_waitcnt vmcnt(0)
	v_mul_f32_e32 v8, s11, v3
	v_mul_f32_e32 v3, s10, v3
	v_fma_f32 v8, v2, s10, -v8
	v_fmac_f32_e32 v3, s11, v2
	v_add_f32_e32 v2, v4, v8
	v_add_f32_e32 v3, v5, v3
	v_mul_f32_e32 v4, s15, v10
	v_mul_f32_e32 v5, s14, v10
	global_store_dwordx2 v[0:1], v[2:3], off offset:256
	global_load_dwordx2 v[2:3], v[6:7], off offset:384
	v_fma_f32 v4, v11, s14, -v4
	v_fmac_f32_e32 v5, s15, v11
	s_waitcnt vmcnt(0)
	v_mul_f32_e32 v6, s11, v3
	v_mul_f32_e32 v3, s10, v3
	v_fma_f32 v6, v2, s10, -v6
	v_fmac_f32_e32 v3, s11, v2
	v_add_co_u32 v2, vcc_lo, 0x180, v0
	v_add_f32_e32 v4, v4, v6
	v_add_f32_e32 v6, v5, v3
	v_add_co_ci_u32_e64 v3, null, 0, v1, vcc_lo
	global_store_dword v[0:1], v4, off offset:384
.LBB508_7:
	global_store_dword v[2:3], v6, off offset:4
	s_endpgm
	.section	.rodata,"a",@progbits
	.p2align	6, 0x0
	.amdhsa_kernel _ZN12_GLOBAL__N_127rocblas_gemm_batched_kernelI19rocblas_complex_numIfELi16ELi16ELi64ELi64ELi4ELi64ELi4ELi4ELi64ELc78ELc67EKS2_S3_S2_EEvlllT_PT11_llS6_llS4_PT12_llPT13_lli
		.amdhsa_group_segment_fixed_size 4096
		.amdhsa_private_segment_fixed_size 0
		.amdhsa_kernarg_size 140
		.amdhsa_user_sgpr_count 6
		.amdhsa_user_sgpr_private_segment_buffer 1
		.amdhsa_user_sgpr_dispatch_ptr 0
		.amdhsa_user_sgpr_queue_ptr 0
		.amdhsa_user_sgpr_kernarg_segment_ptr 1
		.amdhsa_user_sgpr_dispatch_id 0
		.amdhsa_user_sgpr_flat_scratch_init 0
		.amdhsa_user_sgpr_private_segment_size 0
		.amdhsa_wavefront_size32 1
		.amdhsa_uses_dynamic_stack 0
		.amdhsa_system_sgpr_private_segment_wavefront_offset 0
		.amdhsa_system_sgpr_workgroup_id_x 1
		.amdhsa_system_sgpr_workgroup_id_y 1
		.amdhsa_system_sgpr_workgroup_id_z 1
		.amdhsa_system_sgpr_workgroup_info 0
		.amdhsa_system_vgpr_workitem_id 1
		.amdhsa_next_free_vgpr 188
		.amdhsa_next_free_sgpr 32
		.amdhsa_reserve_vcc 1
		.amdhsa_reserve_flat_scratch 0
		.amdhsa_float_round_mode_32 0
		.amdhsa_float_round_mode_16_64 0
		.amdhsa_float_denorm_mode_32 3
		.amdhsa_float_denorm_mode_16_64 3
		.amdhsa_dx10_clamp 1
		.amdhsa_ieee_mode 1
		.amdhsa_fp16_overflow 0
		.amdhsa_workgroup_processor_mode 1
		.amdhsa_memory_ordered 1
		.amdhsa_forward_progress 1
		.amdhsa_shared_vgpr_count 0
		.amdhsa_exception_fp_ieee_invalid_op 0
		.amdhsa_exception_fp_denorm_src 0
		.amdhsa_exception_fp_ieee_div_zero 0
		.amdhsa_exception_fp_ieee_overflow 0
		.amdhsa_exception_fp_ieee_underflow 0
		.amdhsa_exception_fp_ieee_inexact 0
		.amdhsa_exception_int_div_zero 0
	.end_amdhsa_kernel
	.section	.text._ZN12_GLOBAL__N_127rocblas_gemm_batched_kernelI19rocblas_complex_numIfELi16ELi16ELi64ELi64ELi4ELi64ELi4ELi4ELi64ELc78ELc67EKS2_S3_S2_EEvlllT_PT11_llS6_llS4_PT12_llPT13_lli,"axG",@progbits,_ZN12_GLOBAL__N_127rocblas_gemm_batched_kernelI19rocblas_complex_numIfELi16ELi16ELi64ELi64ELi4ELi64ELi4ELi4ELi64ELc78ELc67EKS2_S3_S2_EEvlllT_PT11_llS6_llS4_PT12_llPT13_lli,comdat
.Lfunc_end508:
	.size	_ZN12_GLOBAL__N_127rocblas_gemm_batched_kernelI19rocblas_complex_numIfELi16ELi16ELi64ELi64ELi4ELi64ELi4ELi4ELi64ELc78ELc67EKS2_S3_S2_EEvlllT_PT11_llS6_llS4_PT12_llPT13_lli, .Lfunc_end508-_ZN12_GLOBAL__N_127rocblas_gemm_batched_kernelI19rocblas_complex_numIfELi16ELi16ELi64ELi64ELi4ELi64ELi4ELi4ELi64ELc78ELc67EKS2_S3_S2_EEvlllT_PT11_llS6_llS4_PT12_llPT13_lli
                                        ; -- End function
	.set _ZN12_GLOBAL__N_127rocblas_gemm_batched_kernelI19rocblas_complex_numIfELi16ELi16ELi64ELi64ELi4ELi64ELi4ELi4ELi64ELc78ELc67EKS2_S3_S2_EEvlllT_PT11_llS6_llS4_PT12_llPT13_lli.num_vgpr, 188
	.set _ZN12_GLOBAL__N_127rocblas_gemm_batched_kernelI19rocblas_complex_numIfELi16ELi16ELi64ELi64ELi4ELi64ELi4ELi4ELi64ELc78ELc67EKS2_S3_S2_EEvlllT_PT11_llS6_llS4_PT12_llPT13_lli.num_agpr, 0
	.set _ZN12_GLOBAL__N_127rocblas_gemm_batched_kernelI19rocblas_complex_numIfELi16ELi16ELi64ELi64ELi4ELi64ELi4ELi4ELi64ELc78ELc67EKS2_S3_S2_EEvlllT_PT11_llS6_llS4_PT12_llPT13_lli.numbered_sgpr, 32
	.set _ZN12_GLOBAL__N_127rocblas_gemm_batched_kernelI19rocblas_complex_numIfELi16ELi16ELi64ELi64ELi4ELi64ELi4ELi4ELi64ELc78ELc67EKS2_S3_S2_EEvlllT_PT11_llS6_llS4_PT12_llPT13_lli.num_named_barrier, 0
	.set _ZN12_GLOBAL__N_127rocblas_gemm_batched_kernelI19rocblas_complex_numIfELi16ELi16ELi64ELi64ELi4ELi64ELi4ELi4ELi64ELc78ELc67EKS2_S3_S2_EEvlllT_PT11_llS6_llS4_PT12_llPT13_lli.private_seg_size, 0
	.set _ZN12_GLOBAL__N_127rocblas_gemm_batched_kernelI19rocblas_complex_numIfELi16ELi16ELi64ELi64ELi4ELi64ELi4ELi4ELi64ELc78ELc67EKS2_S3_S2_EEvlllT_PT11_llS6_llS4_PT12_llPT13_lli.uses_vcc, 1
	.set _ZN12_GLOBAL__N_127rocblas_gemm_batched_kernelI19rocblas_complex_numIfELi16ELi16ELi64ELi64ELi4ELi64ELi4ELi4ELi64ELc78ELc67EKS2_S3_S2_EEvlllT_PT11_llS6_llS4_PT12_llPT13_lli.uses_flat_scratch, 0
	.set _ZN12_GLOBAL__N_127rocblas_gemm_batched_kernelI19rocblas_complex_numIfELi16ELi16ELi64ELi64ELi4ELi64ELi4ELi4ELi64ELc78ELc67EKS2_S3_S2_EEvlllT_PT11_llS6_llS4_PT12_llPT13_lli.has_dyn_sized_stack, 0
	.set _ZN12_GLOBAL__N_127rocblas_gemm_batched_kernelI19rocblas_complex_numIfELi16ELi16ELi64ELi64ELi4ELi64ELi4ELi4ELi64ELc78ELc67EKS2_S3_S2_EEvlllT_PT11_llS6_llS4_PT12_llPT13_lli.has_recursion, 0
	.set _ZN12_GLOBAL__N_127rocblas_gemm_batched_kernelI19rocblas_complex_numIfELi16ELi16ELi64ELi64ELi4ELi64ELi4ELi4ELi64ELc78ELc67EKS2_S3_S2_EEvlllT_PT11_llS6_llS4_PT12_llPT13_lli.has_indirect_call, 0
	.section	.AMDGPU.csdata,"",@progbits
; Kernel info:
; codeLenInByte = 4908
; TotalNumSgprs: 34
; NumVgprs: 188
; ScratchSize: 0
; MemoryBound: 0
; FloatMode: 240
; IeeeMode: 1
; LDSByteSize: 4096 bytes/workgroup (compile time only)
; SGPRBlocks: 0
; VGPRBlocks: 23
; NumSGPRsForWavesPerEU: 34
; NumVGPRsForWavesPerEU: 188
; Occupancy: 5
; WaveLimiterHint : 1
; COMPUTE_PGM_RSRC2:SCRATCH_EN: 0
; COMPUTE_PGM_RSRC2:USER_SGPR: 6
; COMPUTE_PGM_RSRC2:TRAP_HANDLER: 0
; COMPUTE_PGM_RSRC2:TGID_X_EN: 1
; COMPUTE_PGM_RSRC2:TGID_Y_EN: 1
; COMPUTE_PGM_RSRC2:TGID_Z_EN: 1
; COMPUTE_PGM_RSRC2:TIDIG_COMP_CNT: 1
	.section	.text._ZN12_GLOBAL__N_127rocblas_gemm_batched_kernelI19rocblas_complex_numIfELi16ELi16ELi64ELi64ELi4ELi64ELi4ELi4ELi64ELc84ELc67EKS2_S3_S2_EEvlllT_PT11_llS6_llS4_PT12_llPT13_lli,"axG",@progbits,_ZN12_GLOBAL__N_127rocblas_gemm_batched_kernelI19rocblas_complex_numIfELi16ELi16ELi64ELi64ELi4ELi64ELi4ELi4ELi64ELc84ELc67EKS2_S3_S2_EEvlllT_PT11_llS6_llS4_PT12_llPT13_lli,comdat
	.globl	_ZN12_GLOBAL__N_127rocblas_gemm_batched_kernelI19rocblas_complex_numIfELi16ELi16ELi64ELi64ELi4ELi64ELi4ELi4ELi64ELc84ELc67EKS2_S3_S2_EEvlllT_PT11_llS6_llS4_PT12_llPT13_lli ; -- Begin function _ZN12_GLOBAL__N_127rocblas_gemm_batched_kernelI19rocblas_complex_numIfELi16ELi16ELi64ELi64ELi4ELi64ELi4ELi4ELi64ELc84ELc67EKS2_S3_S2_EEvlllT_PT11_llS6_llS4_PT12_llPT13_lli
	.p2align	8
	.type	_ZN12_GLOBAL__N_127rocblas_gemm_batched_kernelI19rocblas_complex_numIfELi16ELi16ELi64ELi64ELi4ELi64ELi4ELi4ELi64ELc84ELc67EKS2_S3_S2_EEvlllT_PT11_llS6_llS4_PT12_llPT13_lli,@function
_ZN12_GLOBAL__N_127rocblas_gemm_batched_kernelI19rocblas_complex_numIfELi16ELi16ELi64ELi64ELi4ELi64ELi4ELi4ELi64ELc84ELc67EKS2_S3_S2_EEvlllT_PT11_llS6_llS4_PT12_llPT13_lli: ; @_ZN12_GLOBAL__N_127rocblas_gemm_batched_kernelI19rocblas_complex_numIfELi16ELi16ELi64ELi64ELi4ELi64ELi4ELi4ELi64ELc84ELc67EKS2_S3_S2_EEvlllT_PT11_llS6_llS4_PT12_llPT13_lli
; %bb.0:
	s_clause 0x1
	s_load_dwordx16 s[12:27], s[4:5], 0x10
	s_load_dwordx2 s[10:11], s[4:5], 0x50
	s_mov_b32 s0, s7
	v_mov_b32_e32 v40, 0
	v_mov_b32_e32 v41, 0
	;; [unrolled: 1-line block ×17, first 2 shown]
	s_waitcnt lgkmcnt(0)
	v_cmp_lt_i64_e64 s2, s[12:13], 1
	v_mov_b32_e32 v25, 0
	v_mov_b32_e32 v22, 0
	v_mov_b32_e32 v23, 0
	v_mov_b32_e32 v20, 0
	v_mov_b32_e32 v21, 0
	v_mov_b32_e32 v18, 0
	v_mov_b32_e32 v19, 0
	v_mov_b32_e32 v16, 0
	v_mov_b32_e32 v17, 0
	v_mov_b32_e32 v14, 0
	v_mov_b32_e32 v15, 0
	v_mov_b32_e32 v12, 0
	v_mov_b32_e32 v13, 0
	v_mov_b32_e32 v11, 0
	v_mov_b32_e32 v10, 0
	s_ashr_i32 s7, s6, 31
	s_ashr_i32 s1, s0, 31
	s_lshl_b64 s[28:29], s[6:7], 6
	s_and_b32 vcc_lo, exec_lo, s2
	s_lshl_b64 s[30:31], s[0:1], 6
	s_cbranch_vccnz .LBB509_3
; %bb.1:
	v_lshl_add_u32 v6, v1, 4, v0
	v_and_b32_e32 v7, 3, v0
	s_mul_i32 s1, s21, s8
	s_mul_hi_u32 s2, s20, s8
	s_mul_hi_u32 s3, s26, s8
	v_lshrrev_b32_e32 v8, 2, v6
	v_and_b32_e32 v9, 63, v6
	v_lshlrev_b32_e32 v13, 3, v7
	v_lshrrev_b32_e32 v14, 6, v6
	s_add_i32 s1, s2, s1
	v_add_co_u32 v2, s0, v8, s30
	v_add_co_ci_u32_e64 v3, null, 0, s31, s0
	v_add_co_u32 v4, s0, s28, v9
	v_add_co_ci_u32_e64 v5, null, s29, 0, s0
	v_mad_u64_u32 v[2:3], null, s24, v7, v[2:3]
	v_mul_lo_u32 v11, s19, v4
	v_mul_lo_u32 v12, s18, v5
	v_mad_u64_u32 v[4:5], null, s18, v4, 0
	s_mul_i32 s0, s20, s8
	s_mul_i32 s2, s27, s8
	s_lshl_b64 s[0:1], s[0:1], 3
	s_add_i32 s3, s3, s2
	s_mul_i32 s2, s26, s8
	v_lshlrev_b32_e32 v9, 3, v9
	v_mad_u64_u32 v[6:7], null, s25, v7, v[3:4]
	v_add3_u32 v5, v5, v12, v11
	v_lshl_or_b32 v3, v8, 5, v13
	v_mov_b32_e32 v10, 0
	v_lshlrev_b32_e32 v42, 3, v0
	v_lshl_add_u32 v43, v1, 5, 0x800
	v_lshlrev_b64 v[4:5], 3, v[4:5]
	v_add_nc_u32_e32 v45, 0x800, v3
	v_mov_b32_e32 v3, v6
	v_lshlrev_b32_e32 v6, 3, v14
	v_lshl_or_b32 v44, v14, 9, v9
	v_mov_b32_e32 v11, 0
	v_add_co_u32 v4, vcc_lo, v4, s0
	v_lshlrev_b64 v[2:3], 3, v[2:3]
	v_add_co_ci_u32_e64 v5, null, s1, v5, vcc_lo
	s_lshl_b64 s[0:1], s[2:3], 3
	v_add_co_u32 v4, vcc_lo, v4, v6
	s_add_u32 s0, s22, s0
	v_add_co_ci_u32_e64 v5, null, 0, v5, vcc_lo
	s_addc_u32 s1, s23, s1
	v_add_co_u32 v6, vcc_lo, s0, v2
	v_add_co_ci_u32_e64 v7, null, s1, v3, vcc_lo
	v_add_co_u32 v2, vcc_lo, s16, v4
	v_add_co_ci_u32_e64 v3, null, s17, v5, vcc_lo
	;; [unrolled: 2-line block ×3, first 2 shown]
	v_mov_b32_e32 v13, 0
	v_mov_b32_e32 v12, 0
	;; [unrolled: 1-line block ×30, first 2 shown]
	s_lshl_b64 s[0:1], s[24:25], 5
	s_mov_b64 s[2:3], 0
.LBB509_2:                              ; =>This Inner Loop Header: Depth=1
	global_load_dwordx2 v[6:7], v[4:5], off offset:-4
	global_load_dwordx2 v[8:9], v[2:3], off
	s_add_u32 s2, s2, 4
	s_addc_u32 s3, s3, 0
	v_add_co_u32 v2, vcc_lo, v2, 32
	v_cmp_lt_i64_e64 s6, s[2:3], s[12:13]
	v_add_co_ci_u32_e64 v3, null, 0, v3, vcc_lo
	v_add_co_u32 v4, vcc_lo, v4, s0
	v_add_co_ci_u32_e64 v5, null, s1, v5, vcc_lo
	s_and_b32 vcc_lo, exec_lo, s6
	s_waitcnt vmcnt(1)
	v_xor_b32_e32 v7, 0x80000000, v7
	s_waitcnt vmcnt(0)
	ds_write_b64 v44, v[8:9]
	ds_write_b64 v45, v[6:7]
	s_waitcnt lgkmcnt(0)
	s_barrier
	buffer_gl0_inv
	ds_read_b128 v[6:9], v43
	ds_read2_b64 v[46:49], v42 offset1:16
	ds_read_b128 v[50:53], v43 offset:512
	ds_read_b128 v[54:57], v43 offset:16
	;; [unrolled: 1-line block ×7, first 2 shown]
	ds_read2_b64 v[78:81], v42 offset0:32 offset1:48
	ds_read2_b64 v[82:85], v42 offset0:64 offset1:80
	;; [unrolled: 1-line block ×7, first 2 shown]
	s_waitcnt lgkmcnt(0)
	s_barrier
	buffer_gl0_inv
	v_mul_f32_e32 v106, v7, v47
	v_mul_f32_e32 v107, v6, v47
	;; [unrolled: 1-line block ×64, first 2 shown]
	v_fma_f32 v106, v6, v46, -v106
	v_fmac_f32_e32 v107, v7, v46
	v_fma_f32 v108, v6, v48, -v108
	v_fmac_f32_e32 v109, v7, v48
	;; [unrolled: 2-line block ×16, first 2 shown]
	v_mul_f32_e32 v162, v55, v91
	v_mul_f32_e32 v163, v54, v91
	v_mul_f32_e32 v164, v55, v93
	v_mul_f32_e32 v165, v54, v93
	v_mul_f32_e32 v166, v59, v91
	v_mul_f32_e32 v167, v58, v91
	v_mul_f32_e32 v168, v59, v93
	v_mul_f32_e32 v169, v58, v93
	v_mul_f32_e32 v170, v67, v91
	v_mul_f32_e32 v171, v66, v91
	v_mul_f32_e32 v172, v67, v93
	v_mul_f32_e32 v173, v66, v93
	v_mul_f32_e32 v174, v75, v91
	v_mul_f32_e32 v91, v74, v91
	v_mul_f32_e32 v175, v75, v93
	v_mul_f32_e32 v93, v74, v93
	v_mul_f32_e32 v176, v55, v95
	v_mul_f32_e32 v177, v54, v95
	v_mul_f32_e32 v178, v55, v97
	v_mul_f32_e32 v179, v54, v97
	v_mul_f32_e32 v48, v59, v95
	v_mul_f32_e32 v119, v58, v95
	v_mul_f32_e32 v180, v59, v97
	v_mul_f32_e32 v181, v58, v97
	v_mul_f32_e32 v71, v67, v95
	v_mul_f32_e32 v78, v66, v95
	v_mul_f32_e32 v80, v67, v97
	v_mul_f32_e32 v122, v66, v97
	v_fma_f32 v124, v8, v82, -v134
	v_fmac_f32_e32 v135, v9, v82
	v_fma_f32 v126, v8, v84, -v136
	v_fmac_f32_e32 v137, v9, v84
	;; [unrolled: 2-line block ×4, first 2 shown]
	v_mul_f32_e32 v9, v75, v95
	v_mul_f32_e32 v95, v74, v95
	;; [unrolled: 1-line block ×4, first 2 shown]
	v_fma_f32 v132, v52, v82, -v142
	v_fmac_f32_e32 v143, v53, v82
	v_fma_f32 v133, v52, v84, -v144
	v_fmac_f32_e32 v145, v53, v84
	;; [unrolled: 2-line block ×4, first 2 shown]
	v_mul_f32_e32 v136, v56, v99
	v_mul_f32_e32 v140, v56, v101
	v_fma_f32 v142, v64, v82, -v150
	v_fmac_f32_e32 v151, v65, v82
	v_fma_f32 v144, v64, v84, -v152
	v_fmac_f32_e32 v153, v65, v84
	;; [unrolled: 2-line block ×4, first 2 shown]
	v_mul_f32_e32 v148, v56, v103
	v_mul_f32_e32 v152, v56, v105
	v_fma_f32 v154, v72, v82, -v158
	v_fmac_f32_e32 v83, v73, v82
	v_fma_f32 v82, v72, v84, -v159
	v_fmac_f32_e32 v85, v73, v84
	;; [unrolled: 2-line block ×4, first 2 shown]
	v_add_f32_e32 v40, v40, v106
	v_add_f32_e32 v41, v41, v107
	;; [unrolled: 1-line block ×32, first 2 shown]
	v_mul_f32_e32 v53, v57, v99
	v_mul_f32_e32 v138, v57, v101
	v_mul_f32_e32 v65, v57, v103
	v_mul_f32_e32 v150, v57, v105
	v_mul_f32_e32 v84, v61, v99
	v_mul_f32_e32 v156, v60, v99
	v_mul_f32_e32 v158, v61, v101
	v_mul_f32_e32 v159, v60, v101
	v_mul_f32_e32 v73, v61, v103
	v_mul_f32_e32 v86, v60, v103
	v_mul_f32_e32 v88, v61, v105
	v_mul_f32_e32 v161, v60, v105
	v_mul_f32_e32 v182, v69, v99
	v_mul_f32_e32 v183, v68, v99
	v_mul_f32_e32 v184, v69, v101
	v_mul_f32_e32 v185, v68, v101
	v_fma_f32 v162, v54, v90, -v162
	v_fmac_f32_e32 v163, v55, v90
	v_fma_f32 v164, v54, v92, -v164
	v_fmac_f32_e32 v165, v55, v92
	;; [unrolled: 2-line block ×8, first 2 shown]
	v_mul_f32_e32 v92, v69, v103
	v_mul_f32_e32 v175, v68, v103
	;; [unrolled: 1-line block ×4, first 2 shown]
	v_fma_f32 v176, v54, v94, -v176
	v_fmac_f32_e32 v177, v55, v94
	v_fma_f32 v54, v54, v96, -v178
	v_fmac_f32_e32 v179, v55, v96
	v_fma_f32 v48, v58, v94, -v48
	v_fmac_f32_e32 v119, v59, v94
	v_fma_f32 v55, v58, v96, -v180
	v_fmac_f32_e32 v181, v59, v96
	v_fma_f32 v58, v66, v94, -v71
	v_fmac_f32_e32 v78, v67, v94
	v_fma_f32 v59, v66, v96, -v80
	v_fmac_f32_e32 v122, v67, v96
	v_fma_f32 v9, v74, v94, -v9
	v_fmac_f32_e32 v95, v75, v94
	v_fma_f32 v66, v74, v96, -v130
	v_fmac_f32_e32 v97, v75, v96
	v_mul_f32_e32 v67, v77, v99
	v_mul_f32_e32 v71, v76, v99
	;; [unrolled: 1-line block ×4, first 2 shown]
	v_fmac_f32_e32 v136, v57, v98
	v_fmac_f32_e32 v140, v57, v100
	;; [unrolled: 1-line block ×4, first 2 shown]
	v_mul_f32_e32 v57, v77, v103
	v_mul_f32_e32 v94, v76, v103
	;; [unrolled: 1-line block ×4, first 2 shown]
	v_add_f32_e32 v29, v40, v124
	v_add_f32_e32 v35, v41, v135
	;; [unrolled: 1-line block ×32, first 2 shown]
	v_fma_f32 v53, v56, v98, -v53
	v_fma_f32 v80, v56, v100, -v138
	;; [unrolled: 1-line block ×5, first 2 shown]
	v_fmac_f32_e32 v156, v61, v98
	v_fma_f32 v101, v60, v100, -v158
	v_fmac_f32_e32 v159, v61, v100
	v_fma_f32 v73, v60, v102, -v73
	;; [unrolled: 2-line block ×11, first 2 shown]
	v_fmac_f32_e32 v99, v77, v104
	v_add_f32_e32 v29, v29, v162
	v_add_f32_e32 v34, v35, v163
	;; [unrolled: 1-line block ×64, first 2 shown]
	s_cbranch_vccnz .LBB509_2
.LBB509_3:
	s_clause 0x1
	s_load_dwordx4 s[16:19], s[4:5], 0x78
	s_load_dwordx8 s[0:7], s[4:5], 0x58
	s_waitcnt lgkmcnt(0)
	s_mul_i32 s9, s19, s8
	s_mul_hi_u32 s13, s18, s8
	s_mul_i32 s12, s18, s8
	s_add_i32 s13, s13, s9
	s_lshl_b64 s[12:13], s[12:13], 3
	s_add_u32 s9, s6, s12
	s_addc_u32 s12, s7, s13
	v_add_co_u32 v4, s7, s30, v1
	v_add_co_ci_u32_e64 v5, null, s31, 0, s7
	v_add_co_u32 v0, s7, s28, v0
	s_or_b32 s6, s10, s11
	v_add_co_ci_u32_e64 v1, null, s29, 0, s7
	s_bitset0_b32 s6, 31
	s_mov_b32 s13, 0
	s_cmp_lg_u32 s6, 0
	s_cbranch_scc1 .LBB509_5
; %bb.4:
	v_mul_lo_u32 v6, v5, s16
	v_mul_lo_u32 v8, v4, s17
	v_mad_u64_u32 v[2:3], null, v4, s16, 0
	v_mul_f32_e32 v42, s15, v41
	v_mul_f32_e32 v7, s14, v41
	;; [unrolled: 1-line block ×6, first 2 shown]
	v_add3_u32 v3, v3, v8, v6
	v_lshlrev_b64 v[8:9], 3, v[0:1]
	v_mul_f32_e32 v48, s15, v35
	v_mul_f32_e32 v47, s14, v35
	v_fma_f32 v6, v40, s14, -v42
	v_lshlrev_b64 v[2:3], 3, v[2:3]
	v_fmac_f32_e32 v7, s15, v40
	v_fma_f32 v42, v38, s14, -v44
	v_fmac_f32_e32 v43, s15, v38
	s_lshl_b64 s[6:7], s[16:17], 7
	v_fma_f32 v44, v36, s14, -v46
	v_add_co_u32 v49, vcc_lo, s9, v2
	v_add_co_ci_u32_e64 v50, null, s12, v3, vcc_lo
	v_fmac_f32_e32 v45, s15, v36
	v_add_co_u32 v2, vcc_lo, v49, v8
	v_add_co_ci_u32_e64 v3, null, v50, v9, vcc_lo
	v_fma_f32 v46, v34, s14, -v48
	v_fmac_f32_e32 v47, s15, v34
	v_add_co_u32 v48, vcc_lo, v49, s6
	global_store_dwordx2 v[2:3], v[6:7], off
	global_store_dwordx2 v[2:3], v[42:43], off offset:128
	global_store_dwordx2 v[2:3], v[44:45], off offset:256
	;; [unrolled: 1-line block ×3, first 2 shown]
	v_mul_f32_e32 v2, s15, v33
	v_mul_f32_e32 v3, s14, v33
	v_add_co_ci_u32_e64 v49, null, s7, v50, vcc_lo
	v_mul_f32_e32 v6, s15, v31
	v_mul_f32_e32 v7, s14, v31
	;; [unrolled: 1-line block ×4, first 2 shown]
	v_add_co_u32 v44, vcc_lo, v48, v8
	v_fma_f32 v2, v32, s14, -v2
	v_fmac_f32_e32 v3, s15, v32
	v_add_co_ci_u32_e64 v45, null, v49, v9, vcc_lo
	v_fma_f32 v6, v30, s14, -v6
	v_fmac_f32_e32 v7, s15, v30
	v_fma_f32 v42, v28, s14, -v42
	v_fmac_f32_e32 v43, s15, v28
	v_add_co_u32 v52, vcc_lo, v48, s6
	v_mul_f32_e32 v46, s15, v27
	v_mul_f32_e32 v47, s14, v27
	global_store_dwordx2 v[44:45], v[2:3], off
	global_store_dwordx2 v[44:45], v[6:7], off offset:128
	global_store_dwordx2 v[44:45], v[42:43], off offset:256
	v_mul_f32_e32 v2, s15, v25
	v_mul_f32_e32 v3, s14, v25
	v_add_co_ci_u32_e64 v53, null, s7, v49, vcc_lo
	v_mul_f32_e32 v42, s15, v23
	v_mul_f32_e32 v43, s14, v23
	;; [unrolled: 1-line block ×4, first 2 shown]
	v_add_co_u32 v6, vcc_lo, v52, v8
	v_mul_f32_e32 v50, s15, v19
	v_mul_f32_e32 v51, s14, v19
	v_fma_f32 v46, v26, s14, -v46
	v_fmac_f32_e32 v47, s15, v26
	v_fma_f32 v2, v24, s14, -v2
	v_fmac_f32_e32 v3, s15, v24
	v_add_co_ci_u32_e64 v7, null, v53, v9, vcc_lo
	v_fma_f32 v42, v22, s14, -v42
	v_fmac_f32_e32 v43, s15, v22
	v_fma_f32 v48, v20, s14, -v48
	v_fmac_f32_e32 v49, s15, v20
	;; [unrolled: 2-line block ×3, first 2 shown]
	global_store_dwordx2 v[44:45], v[46:47], off offset:384
	global_store_dwordx2 v[6:7], v[2:3], off
	global_store_dwordx2 v[6:7], v[42:43], off offset:128
	global_store_dwordx2 v[6:7], v[48:49], off offset:256
	;; [unrolled: 1-line block ×3, first 2 shown]
	v_mul_f32_e32 v2, s15, v17
	v_add_co_u32 v3, vcc_lo, v52, s6
	v_add_co_ci_u32_e64 v6, null, s7, v53, vcc_lo
	v_fma_f32 v42, v16, s14, -v2
	v_mul_f32_e32 v2, s15, v15
	v_add_co_u32 v7, vcc_lo, v3, v8
	v_mul_f32_e32 v43, s14, v17
	v_add_co_ci_u32_e64 v8, null, v6, v9, vcc_lo
	v_fma_f32 v44, v14, s14, -v2
	v_mul_f32_e32 v2, s15, v13
	v_mul_f32_e32 v3, s15, v10
	;; [unrolled: 1-line block ×5, first 2 shown]
	v_fma_f32 v46, v12, s14, -v2
	v_add_co_u32 v2, vcc_lo, 0x180, v7
	v_fmac_f32_e32 v43, s15, v16
	v_fma_f32 v9, v11, s14, -v3
	v_fmac_f32_e32 v6, s15, v11
	v_add_co_ci_u32_e64 v3, null, 0, v8, vcc_lo
	v_fmac_f32_e32 v45, s15, v14
	v_fmac_f32_e32 v47, s15, v12
	global_store_dwordx2 v[7:8], v[42:43], off
	global_store_dwordx2 v[7:8], v[44:45], off offset:128
	global_store_dwordx2 v[7:8], v[46:47], off offset:256
	global_store_dword v[7:8], v9, off offset:384
	s_andn2_b32 vcc_lo, exec_lo, s13
	s_cbranch_vccz .LBB509_6
	s_branch .LBB509_7
.LBB509_5:
                                        ; implicit-def: $vgpr6
                                        ; implicit-def: $vgpr2_vgpr3
.LBB509_6:
	v_mul_lo_u32 v6, v5, s2
	v_mul_lo_u32 v7, v4, s3
	v_mad_u64_u32 v[2:3], null, v4, s2, 0
	s_mul_i32 s5, s5, s8
	s_mul_hi_u32 s6, s4, s8
	s_mul_i32 s4, s4, s8
	s_add_i32 s5, s6, s5
	v_lshlrev_b64 v[0:1], 3, v[0:1]
	s_lshl_b64 s[4:5], s[4:5], 3
	v_add3_u32 v3, v3, v7, v6
	s_add_u32 s0, s0, s4
	s_addc_u32 s1, s1, s5
	v_mul_lo_u32 v42, v5, s16
	v_mul_lo_u32 v43, v4, s17
	v_lshlrev_b64 v[2:3], 3, v[2:3]
	v_mad_u64_u32 v[4:5], null, v4, s16, 0
	v_add_co_u32 v8, vcc_lo, s0, v2
	v_add_co_ci_u32_e64 v9, null, s1, v3, vcc_lo
	v_add3_u32 v5, v5, v43, v42
	v_add_co_u32 v2, vcc_lo, v8, v0
	v_add_co_ci_u32_e64 v3, null, v9, v1, vcc_lo
	v_mul_f32_e32 v42, s15, v41
	v_mul_f32_e32 v41, s14, v41
	v_lshlrev_b64 v[4:5], 3, v[4:5]
	global_load_dwordx2 v[6:7], v[2:3], off
	s_lshl_b64 s[0:1], s[2:3], 7
	v_fma_f32 v42, v40, s14, -v42
	v_fmac_f32_e32 v41, s15, v40
	s_lshl_b64 s[2:3], s[16:17], 7
	v_add_co_u32 v43, vcc_lo, s9, v4
	v_add_co_ci_u32_e64 v44, null, s12, v5, vcc_lo
	v_add_co_u32 v4, vcc_lo, v43, v0
	v_add_co_ci_u32_e64 v5, null, v44, v1, vcc_lo
	;; [unrolled: 2-line block ×3, first 2 shown]
	s_waitcnt vmcnt(0)
	v_mul_f32_e32 v40, s11, v7
	v_mul_f32_e32 v7, s10, v7
	v_fma_f32 v40, v6, s10, -v40
	v_fmac_f32_e32 v7, s11, v6
	v_add_f32_e32 v6, v42, v40
	v_add_f32_e32 v7, v41, v7
	v_mul_f32_e32 v40, s15, v39
	v_mul_f32_e32 v39, s14, v39
	global_store_dwordx2 v[4:5], v[6:7], off
	global_load_dwordx2 v[6:7], v[2:3], off offset:128
	v_fma_f32 v40, v38, s14, -v40
	v_fmac_f32_e32 v39, s15, v38
	s_waitcnt vmcnt(0)
	v_mul_f32_e32 v41, s11, v7
	v_mul_f32_e32 v7, s10, v7
	v_fma_f32 v38, v6, s10, -v41
	v_fmac_f32_e32 v7, s11, v6
	v_add_f32_e32 v6, v40, v38
	v_add_f32_e32 v7, v39, v7
	v_mul_f32_e32 v38, s15, v37
	v_mul_f32_e32 v37, s14, v37
	global_store_dwordx2 v[4:5], v[6:7], off offset:128
	global_load_dwordx2 v[6:7], v[2:3], off offset:256
	v_fma_f32 v38, v36, s14, -v38
	v_fmac_f32_e32 v37, s15, v36
	s_waitcnt vmcnt(0)
	v_mul_f32_e32 v39, s11, v7
	v_mul_f32_e32 v7, s10, v7
	v_fma_f32 v36, v6, s10, -v39
	v_fmac_f32_e32 v7, s11, v6
	v_add_f32_e32 v6, v38, v36
	v_add_f32_e32 v7, v37, v7
	global_store_dwordx2 v[4:5], v[6:7], off offset:256
	global_load_dwordx2 v[2:3], v[2:3], off offset:384
	v_mul_f32_e32 v6, s15, v35
	v_mul_f32_e32 v7, s14, v35
	v_fma_f32 v6, v34, s14, -v6
	v_fmac_f32_e32 v7, s15, v34
	s_waitcnt vmcnt(0)
	v_mul_f32_e32 v35, s11, v3
	v_mul_f32_e32 v3, s10, v3
	v_fma_f32 v34, v2, s10, -v35
	v_fmac_f32_e32 v3, s11, v2
	v_add_f32_e32 v2, v6, v34
	v_add_co_u32 v6, vcc_lo, v8, v0
	v_add_f32_e32 v3, v7, v3
	v_add_co_ci_u32_e64 v7, null, v9, v1, vcc_lo
	v_add_co_u32 v34, vcc_lo, v43, s2
	global_store_dwordx2 v[4:5], v[2:3], off offset:384
	global_load_dwordx2 v[2:3], v[6:7], off
	v_mul_f32_e32 v4, s15, v33
	v_mul_f32_e32 v5, s14, v33
	v_add_co_ci_u32_e64 v35, null, s3, v44, vcc_lo
	v_fma_f32 v4, v32, s14, -v4
	v_fmac_f32_e32 v5, s15, v32
	s_waitcnt vmcnt(0)
	v_mul_f32_e32 v32, s11, v3
	v_mul_f32_e32 v33, s10, v3
	v_fma_f32 v32, v2, s10, -v32
	v_fmac_f32_e32 v33, s11, v2
	v_add_co_u32 v2, vcc_lo, v34, v0
	v_add_co_ci_u32_e64 v3, null, v35, v1, vcc_lo
	v_add_f32_e32 v4, v4, v32
	v_add_f32_e32 v5, v5, v33
	v_mul_f32_e32 v32, s15, v31
	v_mul_f32_e32 v31, s14, v31
	v_add_co_u32 v8, vcc_lo, v8, s0
	global_store_dwordx2 v[2:3], v[4:5], off
	global_load_dwordx2 v[4:5], v[6:7], off offset:128
	v_fma_f32 v32, v30, s14, -v32
	v_fmac_f32_e32 v31, s15, v30
	v_add_co_ci_u32_e64 v9, null, s1, v9, vcc_lo
	s_waitcnt vmcnt(0)
	v_mul_f32_e32 v33, s11, v5
	v_mul_f32_e32 v5, s10, v5
	v_fma_f32 v30, v4, s10, -v33
	v_fmac_f32_e32 v5, s11, v4
	v_add_f32_e32 v4, v32, v30
	v_add_f32_e32 v5, v31, v5
	v_mul_f32_e32 v30, s15, v29
	v_mul_f32_e32 v29, s14, v29
	global_store_dwordx2 v[2:3], v[4:5], off offset:128
	global_load_dwordx2 v[4:5], v[6:7], off offset:256
	v_fma_f32 v30, v28, s14, -v30
	v_fmac_f32_e32 v29, s15, v28
	s_waitcnt vmcnt(0)
	v_mul_f32_e32 v31, s11, v5
	v_mul_f32_e32 v5, s10, v5
	v_fma_f32 v28, v4, s10, -v31
	v_fmac_f32_e32 v5, s11, v4
	v_add_f32_e32 v4, v30, v28
	v_add_f32_e32 v5, v29, v5
	global_store_dwordx2 v[2:3], v[4:5], off offset:256
	global_load_dwordx2 v[4:5], v[6:7], off offset:384
	v_mul_f32_e32 v6, s15, v27
	v_mul_f32_e32 v7, s14, v27
	v_fma_f32 v6, v26, s14, -v6
	v_fmac_f32_e32 v7, s15, v26
	s_waitcnt vmcnt(0)
	v_mul_f32_e32 v27, s11, v5
	v_mul_f32_e32 v5, s10, v5
	v_fma_f32 v26, v4, s10, -v27
	v_fmac_f32_e32 v5, s11, v4
	v_add_f32_e32 v4, v6, v26
	v_add_co_u32 v6, vcc_lo, v8, v0
	v_add_f32_e32 v5, v7, v5
	v_add_co_ci_u32_e64 v7, null, v9, v1, vcc_lo
	v_add_co_u32 v26, vcc_lo, v34, s2
	global_store_dwordx2 v[2:3], v[4:5], off offset:384
	global_load_dwordx2 v[2:3], v[6:7], off
	v_mul_f32_e32 v4, s15, v25
	v_mul_f32_e32 v5, s14, v25
	v_add_co_ci_u32_e64 v27, null, s3, v35, vcc_lo
	v_fma_f32 v4, v24, s14, -v4
	v_fmac_f32_e32 v5, s15, v24
	s_waitcnt vmcnt(0)
	v_mul_f32_e32 v24, s11, v3
	v_mul_f32_e32 v25, s10, v3
	v_fma_f32 v24, v2, s10, -v24
	v_fmac_f32_e32 v25, s11, v2
	v_add_co_u32 v2, vcc_lo, v26, v0
	v_add_co_ci_u32_e64 v3, null, v27, v1, vcc_lo
	v_add_f32_e32 v4, v4, v24
	v_add_f32_e32 v5, v5, v25
	v_mul_f32_e32 v24, s15, v23
	v_mul_f32_e32 v23, s14, v23
	v_add_co_u32 v8, vcc_lo, v8, s0
	global_store_dwordx2 v[2:3], v[4:5], off
	global_load_dwordx2 v[4:5], v[6:7], off offset:128
	v_fma_f32 v24, v22, s14, -v24
	v_fmac_f32_e32 v23, s15, v22
	v_add_co_ci_u32_e64 v9, null, s1, v9, vcc_lo
	s_waitcnt vmcnt(0)
	v_mul_f32_e32 v25, s11, v5
	v_mul_f32_e32 v5, s10, v5
	v_fma_f32 v22, v4, s10, -v25
	v_fmac_f32_e32 v5, s11, v4
	v_add_f32_e32 v4, v24, v22
	v_add_f32_e32 v5, v23, v5
	v_mul_f32_e32 v22, s15, v21
	v_mul_f32_e32 v21, s14, v21
	global_store_dwordx2 v[2:3], v[4:5], off offset:128
	global_load_dwordx2 v[4:5], v[6:7], off offset:256
	v_fma_f32 v22, v20, s14, -v22
	v_fmac_f32_e32 v21, s15, v20
	s_waitcnt vmcnt(0)
	v_mul_f32_e32 v23, s11, v5
	v_mul_f32_e32 v5, s10, v5
	v_fma_f32 v20, v4, s10, -v23
	v_fmac_f32_e32 v5, s11, v4
	v_add_f32_e32 v4, v22, v20
	v_add_f32_e32 v5, v21, v5
	global_store_dwordx2 v[2:3], v[4:5], off offset:256
	global_load_dwordx2 v[4:5], v[6:7], off offset:384
	v_mul_f32_e32 v6, s15, v19
	v_mul_f32_e32 v7, s14, v19
	v_fma_f32 v6, v18, s14, -v6
	v_fmac_f32_e32 v7, s15, v18
	s_waitcnt vmcnt(0)
	v_mul_f32_e32 v19, s11, v5
	v_mul_f32_e32 v5, s10, v5
	v_fma_f32 v18, v4, s10, -v19
	v_fmac_f32_e32 v5, s11, v4
	v_add_f32_e32 v4, v6, v18
	v_add_co_u32 v6, vcc_lo, v8, v0
	v_add_f32_e32 v5, v7, v5
	v_add_co_ci_u32_e64 v7, null, v9, v1, vcc_lo
	v_add_co_u32 v9, vcc_lo, v26, s2
	global_store_dwordx2 v[2:3], v[4:5], off offset:384
	global_load_dwordx2 v[2:3], v[6:7], off
	v_mul_f32_e32 v4, s15, v17
	v_mul_f32_e32 v5, s14, v17
	v_fma_f32 v4, v16, s14, -v4
	v_fmac_f32_e32 v5, s15, v16
	v_add_co_ci_u32_e64 v16, null, s3, v27, vcc_lo
	v_add_co_u32 v0, vcc_lo, v9, v0
	v_add_co_ci_u32_e64 v1, null, v16, v1, vcc_lo
	s_waitcnt vmcnt(0)
	v_mul_f32_e32 v8, s11, v3
	v_mul_f32_e32 v3, s10, v3
	v_fma_f32 v8, v2, s10, -v8
	v_fmac_f32_e32 v3, s11, v2
	v_add_f32_e32 v2, v4, v8
	v_add_f32_e32 v3, v5, v3
	v_mul_f32_e32 v4, s15, v15
	v_mul_f32_e32 v5, s14, v15
	global_store_dwordx2 v[0:1], v[2:3], off
	global_load_dwordx2 v[2:3], v[6:7], off offset:128
	v_fma_f32 v4, v14, s14, -v4
	v_fmac_f32_e32 v5, s15, v14
	s_waitcnt vmcnt(0)
	v_mul_f32_e32 v8, s11, v3
	v_mul_f32_e32 v3, s10, v3
	v_fma_f32 v8, v2, s10, -v8
	v_fmac_f32_e32 v3, s11, v2
	v_add_f32_e32 v2, v4, v8
	v_add_f32_e32 v3, v5, v3
	v_mul_f32_e32 v4, s15, v13
	v_mul_f32_e32 v5, s14, v13
	global_store_dwordx2 v[0:1], v[2:3], off offset:128
	global_load_dwordx2 v[2:3], v[6:7], off offset:256
	v_fma_f32 v4, v12, s14, -v4
	v_fmac_f32_e32 v5, s15, v12
	s_waitcnt vmcnt(0)
	v_mul_f32_e32 v8, s11, v3
	v_mul_f32_e32 v3, s10, v3
	v_fma_f32 v8, v2, s10, -v8
	v_fmac_f32_e32 v3, s11, v2
	v_add_f32_e32 v2, v4, v8
	v_add_f32_e32 v3, v5, v3
	v_mul_f32_e32 v4, s15, v10
	v_mul_f32_e32 v5, s14, v10
	global_store_dwordx2 v[0:1], v[2:3], off offset:256
	global_load_dwordx2 v[2:3], v[6:7], off offset:384
	v_fma_f32 v4, v11, s14, -v4
	v_fmac_f32_e32 v5, s15, v11
	s_waitcnt vmcnt(0)
	v_mul_f32_e32 v6, s11, v3
	v_mul_f32_e32 v3, s10, v3
	v_fma_f32 v6, v2, s10, -v6
	v_fmac_f32_e32 v3, s11, v2
	v_add_co_u32 v2, vcc_lo, 0x180, v0
	v_add_f32_e32 v4, v4, v6
	v_add_f32_e32 v6, v5, v3
	v_add_co_ci_u32_e64 v3, null, 0, v1, vcc_lo
	global_store_dword v[0:1], v4, off offset:384
.LBB509_7:
	global_store_dword v[2:3], v6, off offset:4
	s_endpgm
	.section	.rodata,"a",@progbits
	.p2align	6, 0x0
	.amdhsa_kernel _ZN12_GLOBAL__N_127rocblas_gemm_batched_kernelI19rocblas_complex_numIfELi16ELi16ELi64ELi64ELi4ELi64ELi4ELi4ELi64ELc84ELc67EKS2_S3_S2_EEvlllT_PT11_llS6_llS4_PT12_llPT13_lli
		.amdhsa_group_segment_fixed_size 4096
		.amdhsa_private_segment_fixed_size 0
		.amdhsa_kernarg_size 140
		.amdhsa_user_sgpr_count 6
		.amdhsa_user_sgpr_private_segment_buffer 1
		.amdhsa_user_sgpr_dispatch_ptr 0
		.amdhsa_user_sgpr_queue_ptr 0
		.amdhsa_user_sgpr_kernarg_segment_ptr 1
		.amdhsa_user_sgpr_dispatch_id 0
		.amdhsa_user_sgpr_flat_scratch_init 0
		.amdhsa_user_sgpr_private_segment_size 0
		.amdhsa_wavefront_size32 1
		.amdhsa_uses_dynamic_stack 0
		.amdhsa_system_sgpr_private_segment_wavefront_offset 0
		.amdhsa_system_sgpr_workgroup_id_x 1
		.amdhsa_system_sgpr_workgroup_id_y 1
		.amdhsa_system_sgpr_workgroup_id_z 1
		.amdhsa_system_sgpr_workgroup_info 0
		.amdhsa_system_vgpr_workitem_id 1
		.amdhsa_next_free_vgpr 188
		.amdhsa_next_free_sgpr 32
		.amdhsa_reserve_vcc 1
		.amdhsa_reserve_flat_scratch 0
		.amdhsa_float_round_mode_32 0
		.amdhsa_float_round_mode_16_64 0
		.amdhsa_float_denorm_mode_32 3
		.amdhsa_float_denorm_mode_16_64 3
		.amdhsa_dx10_clamp 1
		.amdhsa_ieee_mode 1
		.amdhsa_fp16_overflow 0
		.amdhsa_workgroup_processor_mode 1
		.amdhsa_memory_ordered 1
		.amdhsa_forward_progress 1
		.amdhsa_shared_vgpr_count 0
		.amdhsa_exception_fp_ieee_invalid_op 0
		.amdhsa_exception_fp_denorm_src 0
		.amdhsa_exception_fp_ieee_div_zero 0
		.amdhsa_exception_fp_ieee_overflow 0
		.amdhsa_exception_fp_ieee_underflow 0
		.amdhsa_exception_fp_ieee_inexact 0
		.amdhsa_exception_int_div_zero 0
	.end_amdhsa_kernel
	.section	.text._ZN12_GLOBAL__N_127rocblas_gemm_batched_kernelI19rocblas_complex_numIfELi16ELi16ELi64ELi64ELi4ELi64ELi4ELi4ELi64ELc84ELc67EKS2_S3_S2_EEvlllT_PT11_llS6_llS4_PT12_llPT13_lli,"axG",@progbits,_ZN12_GLOBAL__N_127rocblas_gemm_batched_kernelI19rocblas_complex_numIfELi16ELi16ELi64ELi64ELi4ELi64ELi4ELi4ELi64ELc84ELc67EKS2_S3_S2_EEvlllT_PT11_llS6_llS4_PT12_llPT13_lli,comdat
.Lfunc_end509:
	.size	_ZN12_GLOBAL__N_127rocblas_gemm_batched_kernelI19rocblas_complex_numIfELi16ELi16ELi64ELi64ELi4ELi64ELi4ELi4ELi64ELc84ELc67EKS2_S3_S2_EEvlllT_PT11_llS6_llS4_PT12_llPT13_lli, .Lfunc_end509-_ZN12_GLOBAL__N_127rocblas_gemm_batched_kernelI19rocblas_complex_numIfELi16ELi16ELi64ELi64ELi4ELi64ELi4ELi4ELi64ELc84ELc67EKS2_S3_S2_EEvlllT_PT11_llS6_llS4_PT12_llPT13_lli
                                        ; -- End function
	.set _ZN12_GLOBAL__N_127rocblas_gemm_batched_kernelI19rocblas_complex_numIfELi16ELi16ELi64ELi64ELi4ELi64ELi4ELi4ELi64ELc84ELc67EKS2_S3_S2_EEvlllT_PT11_llS6_llS4_PT12_llPT13_lli.num_vgpr, 188
	.set _ZN12_GLOBAL__N_127rocblas_gemm_batched_kernelI19rocblas_complex_numIfELi16ELi16ELi64ELi64ELi4ELi64ELi4ELi4ELi64ELc84ELc67EKS2_S3_S2_EEvlllT_PT11_llS6_llS4_PT12_llPT13_lli.num_agpr, 0
	.set _ZN12_GLOBAL__N_127rocblas_gemm_batched_kernelI19rocblas_complex_numIfELi16ELi16ELi64ELi64ELi4ELi64ELi4ELi4ELi64ELc84ELc67EKS2_S3_S2_EEvlllT_PT11_llS6_llS4_PT12_llPT13_lli.numbered_sgpr, 32
	.set _ZN12_GLOBAL__N_127rocblas_gemm_batched_kernelI19rocblas_complex_numIfELi16ELi16ELi64ELi64ELi4ELi64ELi4ELi4ELi64ELc84ELc67EKS2_S3_S2_EEvlllT_PT11_llS6_llS4_PT12_llPT13_lli.num_named_barrier, 0
	.set _ZN12_GLOBAL__N_127rocblas_gemm_batched_kernelI19rocblas_complex_numIfELi16ELi16ELi64ELi64ELi4ELi64ELi4ELi4ELi64ELc84ELc67EKS2_S3_S2_EEvlllT_PT11_llS6_llS4_PT12_llPT13_lli.private_seg_size, 0
	.set _ZN12_GLOBAL__N_127rocblas_gemm_batched_kernelI19rocblas_complex_numIfELi16ELi16ELi64ELi64ELi4ELi64ELi4ELi4ELi64ELc84ELc67EKS2_S3_S2_EEvlllT_PT11_llS6_llS4_PT12_llPT13_lli.uses_vcc, 1
	.set _ZN12_GLOBAL__N_127rocblas_gemm_batched_kernelI19rocblas_complex_numIfELi16ELi16ELi64ELi64ELi4ELi64ELi4ELi4ELi64ELc84ELc67EKS2_S3_S2_EEvlllT_PT11_llS6_llS4_PT12_llPT13_lli.uses_flat_scratch, 0
	.set _ZN12_GLOBAL__N_127rocblas_gemm_batched_kernelI19rocblas_complex_numIfELi16ELi16ELi64ELi64ELi4ELi64ELi4ELi4ELi64ELc84ELc67EKS2_S3_S2_EEvlllT_PT11_llS6_llS4_PT12_llPT13_lli.has_dyn_sized_stack, 0
	.set _ZN12_GLOBAL__N_127rocblas_gemm_batched_kernelI19rocblas_complex_numIfELi16ELi16ELi64ELi64ELi4ELi64ELi4ELi4ELi64ELc84ELc67EKS2_S3_S2_EEvlllT_PT11_llS6_llS4_PT12_llPT13_lli.has_recursion, 0
	.set _ZN12_GLOBAL__N_127rocblas_gemm_batched_kernelI19rocblas_complex_numIfELi16ELi16ELi64ELi64ELi4ELi64ELi4ELi4ELi64ELc84ELc67EKS2_S3_S2_EEvlllT_PT11_llS6_llS4_PT12_llPT13_lli.has_indirect_call, 0
	.section	.AMDGPU.csdata,"",@progbits
; Kernel info:
; codeLenInByte = 4948
; TotalNumSgprs: 34
; NumVgprs: 188
; ScratchSize: 0
; MemoryBound: 0
; FloatMode: 240
; IeeeMode: 1
; LDSByteSize: 4096 bytes/workgroup (compile time only)
; SGPRBlocks: 0
; VGPRBlocks: 23
; NumSGPRsForWavesPerEU: 34
; NumVGPRsForWavesPerEU: 188
; Occupancy: 5
; WaveLimiterHint : 1
; COMPUTE_PGM_RSRC2:SCRATCH_EN: 0
; COMPUTE_PGM_RSRC2:USER_SGPR: 6
; COMPUTE_PGM_RSRC2:TRAP_HANDLER: 0
; COMPUTE_PGM_RSRC2:TGID_X_EN: 1
; COMPUTE_PGM_RSRC2:TGID_Y_EN: 1
; COMPUTE_PGM_RSRC2:TGID_Z_EN: 1
; COMPUTE_PGM_RSRC2:TIDIG_COMP_CNT: 1
	.section	.text._ZN12_GLOBAL__N_127rocblas_gemm_batched_kernelI19rocblas_complex_numIfELi16ELi16ELi32ELi32ELi8ELi32ELi8ELi8ELi32ELc78ELc78EKS2_S3_S2_EEvlllT_PT11_llS6_llS4_PT12_llPT13_lli,"axG",@progbits,_ZN12_GLOBAL__N_127rocblas_gemm_batched_kernelI19rocblas_complex_numIfELi16ELi16ELi32ELi32ELi8ELi32ELi8ELi8ELi32ELc78ELc78EKS2_S3_S2_EEvlllT_PT11_llS6_llS4_PT12_llPT13_lli,comdat
	.globl	_ZN12_GLOBAL__N_127rocblas_gemm_batched_kernelI19rocblas_complex_numIfELi16ELi16ELi32ELi32ELi8ELi32ELi8ELi8ELi32ELc78ELc78EKS2_S3_S2_EEvlllT_PT11_llS6_llS4_PT12_llPT13_lli ; -- Begin function _ZN12_GLOBAL__N_127rocblas_gemm_batched_kernelI19rocblas_complex_numIfELi16ELi16ELi32ELi32ELi8ELi32ELi8ELi8ELi32ELc78ELc78EKS2_S3_S2_EEvlllT_PT11_llS6_llS4_PT12_llPT13_lli
	.p2align	8
	.type	_ZN12_GLOBAL__N_127rocblas_gemm_batched_kernelI19rocblas_complex_numIfELi16ELi16ELi32ELi32ELi8ELi32ELi8ELi8ELi32ELc78ELc78EKS2_S3_S2_EEvlllT_PT11_llS6_llS4_PT12_llPT13_lli,@function
_ZN12_GLOBAL__N_127rocblas_gemm_batched_kernelI19rocblas_complex_numIfELi16ELi16ELi32ELi32ELi8ELi32ELi8ELi8ELi32ELc78ELc78EKS2_S3_S2_EEvlllT_PT11_llS6_llS4_PT12_llPT13_lli: ; @_ZN12_GLOBAL__N_127rocblas_gemm_batched_kernelI19rocblas_complex_numIfELi16ELi16ELi32ELi32ELi8ELi32ELi8ELi8ELi32ELc78ELc78EKS2_S3_S2_EEvlllT_PT11_llS6_llS4_PT12_llPT13_lli
; %bb.0:
	s_clause 0x1
	s_load_dwordx16 s[12:27], s[4:5], 0x10
	s_load_dwordx2 s[10:11], s[4:5], 0x50
	s_mov_b32 s0, s7
	v_mov_b32_e32 v12, 0
	v_mov_b32_e32 v13, 0
	;; [unrolled: 1-line block ×8, first 2 shown]
	s_ashr_i32 s7, s6, 31
	s_ashr_i32 s1, s0, 31
	s_lshl_b64 s[28:29], s[6:7], 5
	s_lshl_b64 s[30:31], s[0:1], 5
	s_waitcnt lgkmcnt(0)
	v_cmp_lt_i64_e64 s2, s[12:13], 1
	s_and_b32 vcc_lo, exec_lo, s2
	s_cbranch_vccnz .LBB510_3
; %bb.1:
	v_lshl_add_u32 v2, v1, 4, v0
	v_and_b32_e32 v3, 7, v0
	s_mul_hi_u32 s1, s20, s8
	v_mov_b32_e32 v6, 0
	v_lshlrev_b32_e32 v14, 3, v0
	v_lshrrev_b32_e32 v4, 3, v2
	v_lshlrev_b32_e32 v10, 3, v3
	v_and_b32_e32 v9, 31, v2
	v_lshrrev_b32_e32 v7, 5, v2
	v_lshl_add_u32 v17, v1, 6, 0x800
	v_mov_b32_e32 v13, 0
	v_lshl_or_b32 v3, v4, 6, v10
	v_add_co_u32 v4, s0, v4, s30
	v_lshlrev_b32_e32 v2, 3, v9
	v_add_co_ci_u32_e64 v5, null, 0, s31, s0
	v_add_nc_u32_e32 v16, 0x800, v3
	v_mul_lo_u32 v11, s25, v4
	v_lshl_or_b32 v15, v7, 8, v2
	v_mad_u64_u32 v[2:3], null, s18, v7, s[28:29]
	v_mul_lo_u32 v12, s24, v5
	v_mad_u64_u32 v[4:5], null, s24, v4, 0
	s_mul_i32 s0, s21, s8
	s_add_i32 s1, s1, s0
	s_mul_i32 s0, s20, s8
	s_lshl_b64 s[0:1], s[0:1], 3
	v_mad_u64_u32 v[7:8], null, s19, v7, v[3:4]
	v_add3_u32 v5, v5, v12, v11
	s_add_u32 s2, s16, s0
	s_addc_u32 s3, s17, s1
	s_mul_i32 s0, s27, s8
	s_mul_hi_u32 s1, s26, s8
	v_lshlrev_b64 v[3:4], 3, v[4:5]
	v_add_co_u32 v8, vcc_lo, v2, v9
	s_add_i32 s1, s1, s0
	s_mul_i32 s0, s26, s8
	v_add_co_ci_u32_e64 v9, null, 0, v7, vcc_lo
	s_lshl_b64 s[0:1], s[0:1], 3
	v_mov_b32_e32 v11, 0
	v_add_co_u32 v5, vcc_lo, v3, s0
	v_add_co_ci_u32_e64 v4, null, s1, v4, vcc_lo
	v_lshlrev_b64 v[2:3], 3, v[8:9]
	v_add_co_u32 v5, vcc_lo, v5, v10
	v_add_co_ci_u32_e64 v7, null, 0, v4, vcc_lo
	v_mov_b32_e32 v9, 0
	v_add_co_u32 v2, vcc_lo, s2, v2
	v_add_co_ci_u32_e64 v3, null, s3, v3, vcc_lo
	v_add_co_u32 v4, vcc_lo, s22, v5
	v_add_co_ci_u32_e64 v5, null, s23, v7, vcc_lo
	v_mov_b32_e32 v7, 0
	v_mov_b32_e32 v8, 0
	;; [unrolled: 1-line block ×4, first 2 shown]
	s_lshl_b64 s[0:1], s[18:19], 6
	s_mov_b64 s[2:3], 0
.LBB510_2:                              ; =>This Inner Loop Header: Depth=1
	global_load_dwordx2 v[18:19], v[2:3], off
	global_load_dwordx2 v[20:21], v[4:5], off
	s_add_u32 s2, s2, 8
	s_addc_u32 s3, s3, 0
	v_add_co_u32 v2, vcc_lo, v2, s0
	v_cmp_lt_i64_e64 s6, s[2:3], s[12:13]
	v_add_co_ci_u32_e64 v3, null, s1, v3, vcc_lo
	v_add_co_u32 v4, vcc_lo, v4, 64
	v_add_co_ci_u32_e64 v5, null, 0, v5, vcc_lo
	s_and_b32 vcc_lo, exec_lo, s6
	s_waitcnt vmcnt(1)
	ds_write_b64 v15, v[18:19]
	s_waitcnt vmcnt(0)
	ds_write_b64 v16, v[20:21]
	s_waitcnt lgkmcnt(0)
	s_barrier
	buffer_gl0_inv
	ds_read_b128 v[18:21], v17
	ds_read2_b64 v[22:25], v14 offset1:16
	ds_read_b128 v[26:29], v17 offset:1024
	ds_read2_b64 v[30:33], v14 offset0:32 offset1:48
	ds_read_b128 v[34:37], v17 offset:16
	ds_read2_b64 v[38:41], v14 offset0:64 offset1:80
	;; [unrolled: 2-line block ×3, first 2 shown]
	ds_read2_b64 v[50:53], v14 offset0:128 offset1:144
	ds_read2_b64 v[54:57], v14 offset0:160 offset1:176
	ds_read_b128 v[58:61], v17 offset:32
	ds_read_b128 v[62:65], v17 offset:48
	ds_read2_b64 v[66:69], v14 offset0:192 offset1:208
	ds_read_b128 v[70:73], v17 offset:1056
	ds_read_b128 v[74:77], v17 offset:1072
	ds_read2_b64 v[78:81], v14 offset0:224 offset1:240
	s_waitcnt lgkmcnt(0)
	s_barrier
	buffer_gl0_inv
	v_mul_f32_e32 v82, v19, v23
	v_mul_f32_e32 v83, v18, v23
	;; [unrolled: 1-line block ×12, first 2 shown]
	v_fma_f32 v82, v18, v22, -v82
	v_fmac_f32_e32 v83, v19, v22
	v_fma_f32 v18, v18, v24, -v84
	v_fmac_f32_e32 v85, v19, v24
	;; [unrolled: 2-line block ×4, first 2 shown]
	v_mul_f32_e32 v24, v29, v31
	v_mul_f32_e32 v26, v28, v31
	;; [unrolled: 1-line block ×4, first 2 shown]
	v_fma_f32 v33, v20, v30, -v88
	v_fmac_f32_e32 v89, v21, v30
	v_fma_f32 v20, v20, v32, -v90
	v_fmac_f32_e32 v91, v21, v32
	v_mul_f32_e32 v21, v35, v39
	v_mul_f32_e32 v84, v34, v39
	v_mul_f32_e32 v86, v35, v41
	v_mul_f32_e32 v87, v34, v41
	v_fma_f32 v24, v28, v30, -v24
	v_fmac_f32_e32 v26, v29, v30
	v_fma_f32 v27, v28, v32, -v27
	v_fmac_f32_e32 v31, v29, v32
	v_mul_f32_e32 v28, v43, v39
	v_mul_f32_e32 v29, v42, v39
	v_mul_f32_e32 v30, v43, v41
	v_mul_f32_e32 v32, v42, v41
	v_add_f32_e32 v12, v12, v82
	v_add_f32_e32 v13, v13, v83
	v_add_f32_e32 v10, v10, v18
	v_add_f32_e32 v11, v11, v85
	v_add_f32_e32 v8, v8, v19
	v_add_f32_e32 v9, v9, v23
	v_add_f32_e32 v7, v7, v22
	v_add_f32_e32 v6, v6, v25
	v_mul_f32_e32 v39, v37, v47
	v_mul_f32_e32 v41, v36, v47
	v_mul_f32_e32 v88, v37, v49
	v_mul_f32_e32 v90, v36, v49
	v_fma_f32 v21, v34, v38, -v21
	v_fmac_f32_e32 v84, v35, v38
	v_fma_f32 v34, v34, v40, -v86
	v_fmac_f32_e32 v87, v35, v40
	v_fma_f32 v28, v42, v38, -v28
	v_fmac_f32_e32 v29, v43, v38
	v_fma_f32 v30, v42, v40, -v30
	v_fmac_f32_e32 v32, v43, v40
	v_mul_f32_e32 v35, v45, v47
	v_mul_f32_e32 v38, v44, v47
	v_mul_f32_e32 v40, v45, v49
	v_mul_f32_e32 v42, v44, v49
	v_add_f32_e32 v12, v12, v33
	v_add_f32_e32 v13, v13, v89
	v_add_f32_e32 v10, v10, v20
	v_add_f32_e32 v11, v11, v91
	v_add_f32_e32 v8, v8, v24
	v_add_f32_e32 v9, v9, v26
	v_add_f32_e32 v7, v7, v27
	v_add_f32_e32 v6, v6, v31
	v_fma_f32 v39, v36, v46, -v39
	v_fmac_f32_e32 v41, v37, v46
	v_fma_f32 v36, v36, v48, -v88
	v_fmac_f32_e32 v90, v37, v48
	v_mul_f32_e32 v37, v59, v51
	v_mul_f32_e32 v43, v58, v51
	v_mul_f32_e32 v47, v59, v53
	v_mul_f32_e32 v49, v58, v53
	v_fma_f32 v35, v44, v46, -v35
	v_fmac_f32_e32 v38, v45, v46
	v_fma_f32 v40, v44, v48, -v40
	v_fmac_f32_e32 v42, v45, v48
	v_mul_f32_e32 v44, v71, v51
	v_mul_f32_e32 v45, v70, v51
	v_mul_f32_e32 v46, v71, v53
	v_mul_f32_e32 v48, v70, v53
	v_add_f32_e32 v12, v12, v21
	v_add_f32_e32 v13, v13, v84
	v_add_f32_e32 v10, v10, v34
	v_add_f32_e32 v11, v11, v87
	v_add_f32_e32 v8, v8, v28
	v_add_f32_e32 v9, v9, v29
	v_add_f32_e32 v7, v7, v30
	v_add_f32_e32 v6, v6, v32
	v_mul_f32_e32 v51, v61, v55
	v_mul_f32_e32 v53, v60, v55
	v_mul_f32_e32 v86, v61, v57
	v_mul_f32_e32 v88, v60, v57
	v_fma_f32 v37, v58, v50, -v37
	v_fmac_f32_e32 v43, v59, v50
	v_fma_f32 v47, v58, v52, -v47
	v_fmac_f32_e32 v49, v59, v52
	v_fma_f32 v44, v70, v50, -v44
	v_fmac_f32_e32 v45, v71, v50
	v_fma_f32 v46, v70, v52, -v46
	v_fmac_f32_e32 v48, v71, v52
	v_mul_f32_e32 v50, v73, v55
	v_mul_f32_e32 v52, v72, v55
	v_mul_f32_e32 v55, v73, v57
	v_mul_f32_e32 v57, v72, v57
	v_add_f32_e32 v12, v12, v39
	v_add_f32_e32 v13, v13, v41
	v_add_f32_e32 v10, v10, v36
	v_add_f32_e32 v11, v11, v90
	v_add_f32_e32 v8, v8, v35
	v_add_f32_e32 v9, v9, v38
	v_add_f32_e32 v7, v7, v40
	v_add_f32_e32 v6, v6, v42
	;; [unrolled: 48-line block ×3, first 2 shown]
	v_fma_f32 v71, v64, v78, -v71
	v_fmac_f32_e32 v72, v65, v78
	v_fma_f32 v64, v64, v80, -v73
	v_fmac_f32_e32 v86, v65, v80
	;; [unrolled: 2-line block ×4, first 2 shown]
	v_add_f32_e32 v12, v12, v59
	v_add_f32_e32 v13, v13, v60
	;; [unrolled: 1-line block ×16, first 2 shown]
	s_cbranch_vccnz .LBB510_2
.LBB510_3:
	s_clause 0x1
	s_load_dwordx4 s[16:19], s[4:5], 0x78
	s_load_dwordx8 s[0:7], s[4:5], 0x58
	s_waitcnt lgkmcnt(0)
	s_mul_i32 s9, s19, s8
	s_mul_hi_u32 s13, s18, s8
	s_mul_i32 s12, s18, s8
	s_add_i32 s13, s13, s9
	s_lshl_b64 s[12:13], s[12:13], 3
	s_add_u32 s6, s6, s12
	v_add_co_u32 v4, s12, s30, v1
	v_add_co_ci_u32_e64 v5, null, s31, 0, s12
	v_add_co_u32 v0, s12, s28, v0
	s_addc_u32 s7, s7, s13
	s_or_b32 s9, s10, s11
	v_add_co_ci_u32_e64 v1, null, s29, 0, s12
	s_bitset0_b32 s9, 31
	s_cmp_lg_u32 s9, 0
	s_mov_b32 s9, 0
	s_cbranch_scc1 .LBB510_5
; %bb.4:
	v_mul_lo_u32 v14, v5, s16
	v_mul_lo_u32 v15, v4, s17
	v_mad_u64_u32 v[2:3], null, v4, s16, 0
	v_lshlrev_b64 v[17:18], 3, v[0:1]
	s_lshl_b64 s[12:13], s[16:17], 7
	v_mul_f32_e32 v19, s15, v13
	v_mul_f32_e32 v16, s14, v13
	v_mul_f32_e32 v20, s14, v11
	v_mul_f32_e32 v23, s15, v9
	v_add3_u32 v3, v3, v15, v14
	v_mul_f32_e32 v14, s15, v11
	v_fma_f32 v15, v12, s14, -v19
	v_mul_f32_e32 v24, s14, v9
	v_mul_f32_e32 v25, s15, v6
	v_lshlrev_b64 v[2:3], 3, v[2:3]
	v_fma_f32 v19, v10, s14, -v14
	v_mul_f32_e32 v14, s14, v6
	v_fmac_f32_e32 v16, s15, v12
	v_fmac_f32_e32 v20, s15, v10
	v_fma_f32 v23, v8, s14, -v23
	v_add_co_u32 v2, vcc_lo, s6, v2
	v_add_co_ci_u32_e64 v3, null, s7, v3, vcc_lo
	v_fmac_f32_e32 v14, s15, v7
	v_add_co_u32 v21, vcc_lo, v2, v17
	v_add_co_ci_u32_e64 v22, null, v3, v18, vcc_lo
	v_add_co_u32 v2, vcc_lo, v2, s12
	v_add_co_ci_u32_e64 v3, null, s13, v3, vcc_lo
	v_fmac_f32_e32 v24, s15, v8
	v_add_co_u32 v17, vcc_lo, v2, v17
	v_add_co_ci_u32_e64 v18, null, v3, v18, vcc_lo
	v_fma_f32 v25, v7, s14, -v25
	v_add_co_u32 v2, vcc_lo, 0x80, v17
	v_add_co_ci_u32_e64 v3, null, 0, v18, vcc_lo
	global_store_dwordx2 v[21:22], v[15:16], off
	global_store_dwordx2 v[21:22], v[19:20], off offset:128
	global_store_dwordx2 v[17:18], v[23:24], off
	global_store_dword v[17:18], v25, off offset:128
	s_andn2_b32 vcc_lo, exec_lo, s9
	s_cbranch_vccz .LBB510_6
	s_branch .LBB510_7
.LBB510_5:
                                        ; implicit-def: $vgpr14
                                        ; implicit-def: $vgpr2_vgpr3
.LBB510_6:
	v_mul_lo_u32 v14, v5, s2
	v_mul_lo_u32 v15, v4, s3
	v_mad_u64_u32 v[2:3], null, v4, s2, 0
	s_mul_i32 s5, s5, s8
	s_mul_hi_u32 s9, s4, s8
	s_mul_i32 s4, s4, s8
	s_add_i32 s5, s9, s5
	v_lshlrev_b64 v[0:1], 3, v[0:1]
	s_lshl_b64 s[4:5], s[4:5], 3
	v_add3_u32 v3, v3, v15, v14
	s_add_u32 s0, s0, s4
	s_addc_u32 s1, s1, s5
	v_mul_lo_u32 v18, v5, s16
	v_mul_lo_u32 v19, v4, s17
	v_lshlrev_b64 v[2:3], 3, v[2:3]
	v_mad_u64_u32 v[4:5], null, v4, s16, 0
	v_add_co_u32 v16, vcc_lo, s0, v2
	v_add_co_ci_u32_e64 v17, null, s1, v3, vcc_lo
	v_add3_u32 v5, v5, v19, v18
	v_add_co_u32 v2, vcc_lo, v16, v0
	v_add_co_ci_u32_e64 v3, null, v17, v1, vcc_lo
	v_mul_f32_e32 v18, s15, v13
	v_mul_f32_e32 v13, s14, v13
	v_lshlrev_b64 v[4:5], 3, v[4:5]
	global_load_dwordx2 v[14:15], v[2:3], off
	s_lshl_b64 s[0:1], s[2:3], 7
	v_fma_f32 v18, v12, s14, -v18
	v_fmac_f32_e32 v13, s15, v12
	v_add_co_u32 v19, vcc_lo, s6, v4
	v_add_co_ci_u32_e64 v20, null, s7, v5, vcc_lo
	v_add_co_u32 v4, vcc_lo, v19, v0
	v_add_co_ci_u32_e64 v5, null, v20, v1, vcc_lo
	s_waitcnt vmcnt(0)
	v_mul_f32_e32 v12, s11, v15
	v_mul_f32_e32 v15, s10, v15
	v_fma_f32 v12, v14, s10, -v12
	v_fmac_f32_e32 v15, s11, v14
	v_add_f32_e32 v12, v18, v12
	v_add_f32_e32 v13, v13, v15
	global_store_dwordx2 v[4:5], v[12:13], off
	global_load_dwordx2 v[2:3], v[2:3], off offset:128
	v_mul_f32_e32 v12, s15, v11
	v_mul_f32_e32 v11, s14, v11
	v_fma_f32 v12, v10, s14, -v12
	v_fmac_f32_e32 v11, s15, v10
	s_waitcnt vmcnt(0)
	v_mul_f32_e32 v13, s11, v3
	v_mul_f32_e32 v3, s10, v3
	v_fma_f32 v10, v2, s10, -v13
	v_add_co_u32 v13, vcc_lo, v16, s0
	v_fmac_f32_e32 v3, s11, v2
	v_add_co_ci_u32_e64 v14, null, s1, v17, vcc_lo
	v_add_f32_e32 v2, v12, v10
	v_add_co_u32 v10, vcc_lo, v13, v0
	v_add_f32_e32 v3, v11, v3
	v_add_co_ci_u32_e64 v11, null, v14, v1, vcc_lo
	s_lshl_b64 s[0:1], s[16:17], 7
	global_store_dwordx2 v[4:5], v[2:3], off offset:128
	global_load_dwordx2 v[2:3], v[10:11], off
	v_mul_f32_e32 v4, s15, v9
	v_mul_f32_e32 v5, s14, v9
	v_add_co_u32 v9, vcc_lo, v19, s0
	v_add_co_ci_u32_e64 v12, null, s1, v20, vcc_lo
	v_fma_f32 v4, v8, s14, -v4
	v_fmac_f32_e32 v5, s15, v8
	v_add_co_u32 v0, vcc_lo, v9, v0
	v_add_co_ci_u32_e64 v1, null, v12, v1, vcc_lo
	s_waitcnt vmcnt(0)
	v_mul_f32_e32 v8, s11, v3
	v_mul_f32_e32 v3, s10, v3
	v_fma_f32 v8, v2, s10, -v8
	v_fmac_f32_e32 v3, s11, v2
	v_add_f32_e32 v2, v4, v8
	v_add_f32_e32 v3, v5, v3
	v_mul_f32_e32 v4, s15, v6
	v_mul_f32_e32 v5, s14, v6
	global_store_dwordx2 v[0:1], v[2:3], off
	global_load_dwordx2 v[2:3], v[10:11], off offset:128
	v_fma_f32 v4, v7, s14, -v4
	v_fmac_f32_e32 v5, s15, v7
	s_waitcnt vmcnt(0)
	v_mul_f32_e32 v6, s11, v3
	v_mul_f32_e32 v3, s10, v3
	v_fma_f32 v6, v2, s10, -v6
	v_fmac_f32_e32 v3, s11, v2
	v_add_co_u32 v2, vcc_lo, 0x80, v0
	v_add_f32_e32 v4, v4, v6
	v_add_f32_e32 v14, v5, v3
	v_add_co_ci_u32_e64 v3, null, 0, v1, vcc_lo
	global_store_dword v[0:1], v4, off offset:128
.LBB510_7:
	global_store_dword v[2:3], v14, off offset:4
	s_endpgm
	.section	.rodata,"a",@progbits
	.p2align	6, 0x0
	.amdhsa_kernel _ZN12_GLOBAL__N_127rocblas_gemm_batched_kernelI19rocblas_complex_numIfELi16ELi16ELi32ELi32ELi8ELi32ELi8ELi8ELi32ELc78ELc78EKS2_S3_S2_EEvlllT_PT11_llS6_llS4_PT12_llPT13_lli
		.amdhsa_group_segment_fixed_size 4096
		.amdhsa_private_segment_fixed_size 0
		.amdhsa_kernarg_size 140
		.amdhsa_user_sgpr_count 6
		.amdhsa_user_sgpr_private_segment_buffer 1
		.amdhsa_user_sgpr_dispatch_ptr 0
		.amdhsa_user_sgpr_queue_ptr 0
		.amdhsa_user_sgpr_kernarg_segment_ptr 1
		.amdhsa_user_sgpr_dispatch_id 0
		.amdhsa_user_sgpr_flat_scratch_init 0
		.amdhsa_user_sgpr_private_segment_size 0
		.amdhsa_wavefront_size32 1
		.amdhsa_uses_dynamic_stack 0
		.amdhsa_system_sgpr_private_segment_wavefront_offset 0
		.amdhsa_system_sgpr_workgroup_id_x 1
		.amdhsa_system_sgpr_workgroup_id_y 1
		.amdhsa_system_sgpr_workgroup_id_z 1
		.amdhsa_system_sgpr_workgroup_info 0
		.amdhsa_system_vgpr_workitem_id 1
		.amdhsa_next_free_vgpr 92
		.amdhsa_next_free_sgpr 32
		.amdhsa_reserve_vcc 1
		.amdhsa_reserve_flat_scratch 0
		.amdhsa_float_round_mode_32 0
		.amdhsa_float_round_mode_16_64 0
		.amdhsa_float_denorm_mode_32 3
		.amdhsa_float_denorm_mode_16_64 3
		.amdhsa_dx10_clamp 1
		.amdhsa_ieee_mode 1
		.amdhsa_fp16_overflow 0
		.amdhsa_workgroup_processor_mode 1
		.amdhsa_memory_ordered 1
		.amdhsa_forward_progress 1
		.amdhsa_shared_vgpr_count 0
		.amdhsa_exception_fp_ieee_invalid_op 0
		.amdhsa_exception_fp_denorm_src 0
		.amdhsa_exception_fp_ieee_div_zero 0
		.amdhsa_exception_fp_ieee_overflow 0
		.amdhsa_exception_fp_ieee_underflow 0
		.amdhsa_exception_fp_ieee_inexact 0
		.amdhsa_exception_int_div_zero 0
	.end_amdhsa_kernel
	.section	.text._ZN12_GLOBAL__N_127rocblas_gemm_batched_kernelI19rocblas_complex_numIfELi16ELi16ELi32ELi32ELi8ELi32ELi8ELi8ELi32ELc78ELc78EKS2_S3_S2_EEvlllT_PT11_llS6_llS4_PT12_llPT13_lli,"axG",@progbits,_ZN12_GLOBAL__N_127rocblas_gemm_batched_kernelI19rocblas_complex_numIfELi16ELi16ELi32ELi32ELi8ELi32ELi8ELi8ELi32ELc78ELc78EKS2_S3_S2_EEvlllT_PT11_llS6_llS4_PT12_llPT13_lli,comdat
.Lfunc_end510:
	.size	_ZN12_GLOBAL__N_127rocblas_gemm_batched_kernelI19rocblas_complex_numIfELi16ELi16ELi32ELi32ELi8ELi32ELi8ELi8ELi32ELc78ELc78EKS2_S3_S2_EEvlllT_PT11_llS6_llS4_PT12_llPT13_lli, .Lfunc_end510-_ZN12_GLOBAL__N_127rocblas_gemm_batched_kernelI19rocblas_complex_numIfELi16ELi16ELi32ELi32ELi8ELi32ELi8ELi8ELi32ELc78ELc78EKS2_S3_S2_EEvlllT_PT11_llS6_llS4_PT12_llPT13_lli
                                        ; -- End function
	.set _ZN12_GLOBAL__N_127rocblas_gemm_batched_kernelI19rocblas_complex_numIfELi16ELi16ELi32ELi32ELi8ELi32ELi8ELi8ELi32ELc78ELc78EKS2_S3_S2_EEvlllT_PT11_llS6_llS4_PT12_llPT13_lli.num_vgpr, 92
	.set _ZN12_GLOBAL__N_127rocblas_gemm_batched_kernelI19rocblas_complex_numIfELi16ELi16ELi32ELi32ELi8ELi32ELi8ELi8ELi32ELc78ELc78EKS2_S3_S2_EEvlllT_PT11_llS6_llS4_PT12_llPT13_lli.num_agpr, 0
	.set _ZN12_GLOBAL__N_127rocblas_gemm_batched_kernelI19rocblas_complex_numIfELi16ELi16ELi32ELi32ELi8ELi32ELi8ELi8ELi32ELc78ELc78EKS2_S3_S2_EEvlllT_PT11_llS6_llS4_PT12_llPT13_lli.numbered_sgpr, 32
	.set _ZN12_GLOBAL__N_127rocblas_gemm_batched_kernelI19rocblas_complex_numIfELi16ELi16ELi32ELi32ELi8ELi32ELi8ELi8ELi32ELc78ELc78EKS2_S3_S2_EEvlllT_PT11_llS6_llS4_PT12_llPT13_lli.num_named_barrier, 0
	.set _ZN12_GLOBAL__N_127rocblas_gemm_batched_kernelI19rocblas_complex_numIfELi16ELi16ELi32ELi32ELi8ELi32ELi8ELi8ELi32ELc78ELc78EKS2_S3_S2_EEvlllT_PT11_llS6_llS4_PT12_llPT13_lli.private_seg_size, 0
	.set _ZN12_GLOBAL__N_127rocblas_gemm_batched_kernelI19rocblas_complex_numIfELi16ELi16ELi32ELi32ELi8ELi32ELi8ELi8ELi32ELc78ELc78EKS2_S3_S2_EEvlllT_PT11_llS6_llS4_PT12_llPT13_lli.uses_vcc, 1
	.set _ZN12_GLOBAL__N_127rocblas_gemm_batched_kernelI19rocblas_complex_numIfELi16ELi16ELi32ELi32ELi8ELi32ELi8ELi8ELi32ELc78ELc78EKS2_S3_S2_EEvlllT_PT11_llS6_llS4_PT12_llPT13_lli.uses_flat_scratch, 0
	.set _ZN12_GLOBAL__N_127rocblas_gemm_batched_kernelI19rocblas_complex_numIfELi16ELi16ELi32ELi32ELi8ELi32ELi8ELi8ELi32ELc78ELc78EKS2_S3_S2_EEvlllT_PT11_llS6_llS4_PT12_llPT13_lli.has_dyn_sized_stack, 0
	.set _ZN12_GLOBAL__N_127rocblas_gemm_batched_kernelI19rocblas_complex_numIfELi16ELi16ELi32ELi32ELi8ELi32ELi8ELi8ELi32ELc78ELc78EKS2_S3_S2_EEvlllT_PT11_llS6_llS4_PT12_llPT13_lli.has_recursion, 0
	.set _ZN12_GLOBAL__N_127rocblas_gemm_batched_kernelI19rocblas_complex_numIfELi16ELi16ELi32ELi32ELi8ELi32ELi8ELi8ELi32ELc78ELc78EKS2_S3_S2_EEvlllT_PT11_llS6_llS4_PT12_llPT13_lli.has_indirect_call, 0
	.section	.AMDGPU.csdata,"",@progbits
; Kernel info:
; codeLenInByte = 2484
; TotalNumSgprs: 34
; NumVgprs: 92
; ScratchSize: 0
; MemoryBound: 0
; FloatMode: 240
; IeeeMode: 1
; LDSByteSize: 4096 bytes/workgroup (compile time only)
; SGPRBlocks: 0
; VGPRBlocks: 11
; NumSGPRsForWavesPerEU: 34
; NumVGPRsForWavesPerEU: 92
; Occupancy: 10
; WaveLimiterHint : 1
; COMPUTE_PGM_RSRC2:SCRATCH_EN: 0
; COMPUTE_PGM_RSRC2:USER_SGPR: 6
; COMPUTE_PGM_RSRC2:TRAP_HANDLER: 0
; COMPUTE_PGM_RSRC2:TGID_X_EN: 1
; COMPUTE_PGM_RSRC2:TGID_Y_EN: 1
; COMPUTE_PGM_RSRC2:TGID_Z_EN: 1
; COMPUTE_PGM_RSRC2:TIDIG_COMP_CNT: 1
	.section	.text._ZN12_GLOBAL__N_127rocblas_gemm_batched_kernelI19rocblas_complex_numIfELi16ELi16ELi32ELi32ELi8ELi32ELi8ELi8ELi32ELc84ELc78EKS2_S3_S2_EEvlllT_PT11_llS6_llS4_PT12_llPT13_lli,"axG",@progbits,_ZN12_GLOBAL__N_127rocblas_gemm_batched_kernelI19rocblas_complex_numIfELi16ELi16ELi32ELi32ELi8ELi32ELi8ELi8ELi32ELc84ELc78EKS2_S3_S2_EEvlllT_PT11_llS6_llS4_PT12_llPT13_lli,comdat
	.globl	_ZN12_GLOBAL__N_127rocblas_gemm_batched_kernelI19rocblas_complex_numIfELi16ELi16ELi32ELi32ELi8ELi32ELi8ELi8ELi32ELc84ELc78EKS2_S3_S2_EEvlllT_PT11_llS6_llS4_PT12_llPT13_lli ; -- Begin function _ZN12_GLOBAL__N_127rocblas_gemm_batched_kernelI19rocblas_complex_numIfELi16ELi16ELi32ELi32ELi8ELi32ELi8ELi8ELi32ELc84ELc78EKS2_S3_S2_EEvlllT_PT11_llS6_llS4_PT12_llPT13_lli
	.p2align	8
	.type	_ZN12_GLOBAL__N_127rocblas_gemm_batched_kernelI19rocblas_complex_numIfELi16ELi16ELi32ELi32ELi8ELi32ELi8ELi8ELi32ELc84ELc78EKS2_S3_S2_EEvlllT_PT11_llS6_llS4_PT12_llPT13_lli,@function
_ZN12_GLOBAL__N_127rocblas_gemm_batched_kernelI19rocblas_complex_numIfELi16ELi16ELi32ELi32ELi8ELi32ELi8ELi8ELi32ELc84ELc78EKS2_S3_S2_EEvlllT_PT11_llS6_llS4_PT12_llPT13_lli: ; @_ZN12_GLOBAL__N_127rocblas_gemm_batched_kernelI19rocblas_complex_numIfELi16ELi16ELi32ELi32ELi8ELi32ELi8ELi8ELi32ELc84ELc78EKS2_S3_S2_EEvlllT_PT11_llS6_llS4_PT12_llPT13_lli
; %bb.0:
	s_clause 0x1
	s_load_dwordx16 s[12:27], s[4:5], 0x10
	s_load_dwordx2 s[10:11], s[4:5], 0x50
	s_mov_b32 s0, s7
	v_mov_b32_e32 v12, 0
	v_mov_b32_e32 v13, 0
	;; [unrolled: 1-line block ×8, first 2 shown]
	s_ashr_i32 s7, s6, 31
	s_ashr_i32 s1, s0, 31
	s_lshl_b64 s[28:29], s[6:7], 5
	s_lshl_b64 s[30:31], s[0:1], 5
	s_waitcnt lgkmcnt(0)
	v_cmp_lt_i64_e64 s2, s[12:13], 1
	s_and_b32 vcc_lo, exec_lo, s2
	s_cbranch_vccnz .LBB511_3
; %bb.1:
	v_lshl_add_u32 v2, v1, 4, v0
	v_and_b32_e32 v3, 7, v0
	s_mul_hi_u32 s1, s20, s8
	v_mov_b32_e32 v6, 0
	v_lshlrev_b32_e32 v16, 3, v0
	v_and_b32_e32 v4, 31, v2
	v_lshlrev_b32_e32 v7, 3, v3
	v_lshrrev_b32_e32 v5, 3, v2
	v_lshrrev_b32_e32 v9, 5, v2
	v_lshl_add_u32 v17, v1, 6, 0x800
	v_add_co_u32 v3, s0, s28, v4
	v_add_co_ci_u32_e64 v8, null, s29, 0, s0
	v_lshl_or_b32 v10, v5, 6, v7
	v_mul_lo_u32 v11, s19, v3
	v_mad_u64_u32 v[2:3], null, s18, v3, 0
	v_mul_lo_u32 v8, s18, v8
	v_add_co_u32 v5, s0, v5, s30
	v_lshlrev_b32_e32 v4, 3, v4
	v_add_co_ci_u32_e64 v12, null, 0, s31, s0
	v_add_nc_u32_e32 v15, 0x800, v10
	s_mul_i32 s0, s21, s8
	v_lshl_or_b32 v14, v9, 8, v4
	v_add3_u32 v3, v3, v8, v11
	v_mul_lo_u32 v8, s25, v5
	v_mul_lo_u32 v10, s24, v12
	v_mad_u64_u32 v[4:5], null, s24, v5, 0
	v_lshlrev_b64 v[2:3], 3, v[2:3]
	s_add_i32 s1, s1, s0
	s_mul_i32 s0, s20, s8
	v_mov_b32_e32 v11, 0
	s_lshl_b64 s[0:1], s[0:1], 3
	v_mov_b32_e32 v13, 0
	v_add3_u32 v5, v5, v10, v8
	v_add_co_u32 v8, vcc_lo, v2, s0
	v_add_co_ci_u32_e64 v10, null, s1, v3, vcc_lo
	s_mul_i32 s0, s27, s8
	s_mul_hi_u32 s1, s26, s8
	v_lshlrev_b64 v[2:3], 3, v[4:5]
	s_add_i32 s1, s1, s0
	s_mul_i32 s0, s26, s8
	v_lshlrev_b32_e32 v4, 3, v9
	s_lshl_b64 s[0:1], s[0:1], 3
	v_mov_b32_e32 v9, 0
	v_add_co_u32 v2, vcc_lo, v2, s0
	v_add_co_ci_u32_e64 v3, null, s1, v3, vcc_lo
	v_add_co_u32 v4, vcc_lo, v8, v4
	v_add_co_ci_u32_e64 v5, null, 0, v10, vcc_lo
	;; [unrolled: 2-line block ×5, first 2 shown]
	v_mov_b32_e32 v7, 0
	v_mov_b32_e32 v8, 0
	;; [unrolled: 1-line block ×4, first 2 shown]
	s_mov_b64 s[0:1], 0
.LBB511_2:                              ; =>This Inner Loop Header: Depth=1
	global_load_dwordx2 v[18:19], v[2:3], off
	global_load_dwordx2 v[20:21], v[4:5], off
	s_add_u32 s0, s0, 8
	s_addc_u32 s1, s1, 0
	v_add_co_u32 v2, vcc_lo, v2, 64
	v_cmp_lt_i64_e64 s2, s[0:1], s[12:13]
	v_add_co_ci_u32_e64 v3, null, 0, v3, vcc_lo
	v_add_co_u32 v4, vcc_lo, v4, 64
	v_add_co_ci_u32_e64 v5, null, 0, v5, vcc_lo
	s_and_b32 vcc_lo, exec_lo, s2
	s_waitcnt vmcnt(1)
	ds_write_b64 v14, v[18:19]
	s_waitcnt vmcnt(0)
	ds_write_b64 v15, v[20:21]
	s_waitcnt lgkmcnt(0)
	s_barrier
	buffer_gl0_inv
	ds_read_b128 v[18:21], v17
	ds_read2_b64 v[22:25], v16 offset1:16
	ds_read_b128 v[26:29], v17 offset:1024
	ds_read2_b64 v[30:33], v16 offset0:32 offset1:48
	ds_read_b128 v[34:37], v17 offset:16
	ds_read2_b64 v[38:41], v16 offset0:64 offset1:80
	;; [unrolled: 2-line block ×3, first 2 shown]
	ds_read2_b64 v[50:53], v16 offset0:128 offset1:144
	ds_read2_b64 v[54:57], v16 offset0:160 offset1:176
	ds_read_b128 v[58:61], v17 offset:32
	ds_read_b128 v[62:65], v17 offset:48
	ds_read2_b64 v[66:69], v16 offset0:192 offset1:208
	ds_read_b128 v[70:73], v17 offset:1056
	ds_read_b128 v[74:77], v17 offset:1072
	ds_read2_b64 v[78:81], v16 offset0:224 offset1:240
	s_waitcnt lgkmcnt(0)
	s_barrier
	buffer_gl0_inv
	v_mul_f32_e32 v82, v19, v23
	v_mul_f32_e32 v83, v18, v23
	v_mul_f32_e32 v84, v19, v25
	v_mul_f32_e32 v85, v18, v25
	v_mul_f32_e32 v86, v27, v23
	v_mul_f32_e32 v23, v26, v23
	v_mul_f32_e32 v87, v27, v25
	v_mul_f32_e32 v25, v26, v25
	v_mul_f32_e32 v88, v21, v31
	v_mul_f32_e32 v89, v20, v31
	v_mul_f32_e32 v90, v21, v33
	v_mul_f32_e32 v91, v20, v33
	v_fma_f32 v82, v18, v22, -v82
	v_fmac_f32_e32 v83, v19, v22
	v_fma_f32 v18, v18, v24, -v84
	v_fmac_f32_e32 v85, v19, v24
	;; [unrolled: 2-line block ×4, first 2 shown]
	v_mul_f32_e32 v24, v29, v31
	v_mul_f32_e32 v26, v28, v31
	;; [unrolled: 1-line block ×4, first 2 shown]
	v_fma_f32 v33, v20, v30, -v88
	v_fmac_f32_e32 v89, v21, v30
	v_fma_f32 v20, v20, v32, -v90
	v_fmac_f32_e32 v91, v21, v32
	v_mul_f32_e32 v21, v35, v39
	v_mul_f32_e32 v84, v34, v39
	v_mul_f32_e32 v86, v35, v41
	v_mul_f32_e32 v87, v34, v41
	v_fma_f32 v24, v28, v30, -v24
	v_fmac_f32_e32 v26, v29, v30
	v_fma_f32 v27, v28, v32, -v27
	v_fmac_f32_e32 v31, v29, v32
	v_mul_f32_e32 v28, v43, v39
	v_mul_f32_e32 v29, v42, v39
	v_mul_f32_e32 v30, v43, v41
	v_mul_f32_e32 v32, v42, v41
	v_add_f32_e32 v12, v12, v82
	v_add_f32_e32 v13, v13, v83
	v_add_f32_e32 v10, v10, v18
	v_add_f32_e32 v11, v11, v85
	v_add_f32_e32 v8, v8, v19
	v_add_f32_e32 v9, v9, v23
	v_add_f32_e32 v7, v7, v22
	v_add_f32_e32 v6, v6, v25
	v_mul_f32_e32 v39, v37, v47
	v_mul_f32_e32 v41, v36, v47
	v_mul_f32_e32 v88, v37, v49
	v_mul_f32_e32 v90, v36, v49
	v_fma_f32 v21, v34, v38, -v21
	v_fmac_f32_e32 v84, v35, v38
	v_fma_f32 v34, v34, v40, -v86
	v_fmac_f32_e32 v87, v35, v40
	v_fma_f32 v28, v42, v38, -v28
	v_fmac_f32_e32 v29, v43, v38
	v_fma_f32 v30, v42, v40, -v30
	v_fmac_f32_e32 v32, v43, v40
	v_mul_f32_e32 v35, v45, v47
	v_mul_f32_e32 v38, v44, v47
	v_mul_f32_e32 v40, v45, v49
	v_mul_f32_e32 v42, v44, v49
	v_add_f32_e32 v12, v12, v33
	v_add_f32_e32 v13, v13, v89
	v_add_f32_e32 v10, v10, v20
	v_add_f32_e32 v11, v11, v91
	v_add_f32_e32 v8, v8, v24
	v_add_f32_e32 v9, v9, v26
	v_add_f32_e32 v7, v7, v27
	v_add_f32_e32 v6, v6, v31
	v_fma_f32 v39, v36, v46, -v39
	v_fmac_f32_e32 v41, v37, v46
	v_fma_f32 v36, v36, v48, -v88
	v_fmac_f32_e32 v90, v37, v48
	v_mul_f32_e32 v37, v59, v51
	v_mul_f32_e32 v43, v58, v51
	v_mul_f32_e32 v47, v59, v53
	v_mul_f32_e32 v49, v58, v53
	v_fma_f32 v35, v44, v46, -v35
	v_fmac_f32_e32 v38, v45, v46
	v_fma_f32 v40, v44, v48, -v40
	v_fmac_f32_e32 v42, v45, v48
	v_mul_f32_e32 v44, v71, v51
	v_mul_f32_e32 v45, v70, v51
	v_mul_f32_e32 v46, v71, v53
	v_mul_f32_e32 v48, v70, v53
	v_add_f32_e32 v12, v12, v21
	v_add_f32_e32 v13, v13, v84
	v_add_f32_e32 v10, v10, v34
	v_add_f32_e32 v11, v11, v87
	v_add_f32_e32 v8, v8, v28
	v_add_f32_e32 v9, v9, v29
	v_add_f32_e32 v7, v7, v30
	v_add_f32_e32 v6, v6, v32
	v_mul_f32_e32 v51, v61, v55
	v_mul_f32_e32 v53, v60, v55
	v_mul_f32_e32 v86, v61, v57
	v_mul_f32_e32 v88, v60, v57
	v_fma_f32 v37, v58, v50, -v37
	v_fmac_f32_e32 v43, v59, v50
	v_fma_f32 v47, v58, v52, -v47
	v_fmac_f32_e32 v49, v59, v52
	v_fma_f32 v44, v70, v50, -v44
	v_fmac_f32_e32 v45, v71, v50
	v_fma_f32 v46, v70, v52, -v46
	v_fmac_f32_e32 v48, v71, v52
	v_mul_f32_e32 v50, v73, v55
	v_mul_f32_e32 v52, v72, v55
	v_mul_f32_e32 v55, v73, v57
	v_mul_f32_e32 v57, v72, v57
	v_add_f32_e32 v12, v12, v39
	v_add_f32_e32 v13, v13, v41
	v_add_f32_e32 v10, v10, v36
	v_add_f32_e32 v11, v11, v90
	v_add_f32_e32 v8, v8, v35
	v_add_f32_e32 v9, v9, v38
	v_add_f32_e32 v7, v7, v40
	v_add_f32_e32 v6, v6, v42
	;; [unrolled: 48-line block ×3, first 2 shown]
	v_fma_f32 v71, v64, v78, -v71
	v_fmac_f32_e32 v72, v65, v78
	v_fma_f32 v64, v64, v80, -v73
	v_fmac_f32_e32 v86, v65, v80
	;; [unrolled: 2-line block ×4, first 2 shown]
	v_add_f32_e32 v12, v12, v59
	v_add_f32_e32 v13, v13, v60
	;; [unrolled: 1-line block ×16, first 2 shown]
	s_cbranch_vccnz .LBB511_2
.LBB511_3:
	s_clause 0x1
	s_load_dwordx4 s[16:19], s[4:5], 0x78
	s_load_dwordx8 s[0:7], s[4:5], 0x58
	s_waitcnt lgkmcnt(0)
	s_mul_i32 s9, s19, s8
	s_mul_hi_u32 s13, s18, s8
	s_mul_i32 s12, s18, s8
	s_add_i32 s13, s13, s9
	s_lshl_b64 s[12:13], s[12:13], 3
	s_add_u32 s6, s6, s12
	v_add_co_u32 v4, s12, s30, v1
	v_add_co_ci_u32_e64 v5, null, s31, 0, s12
	v_add_co_u32 v0, s12, s28, v0
	s_addc_u32 s7, s7, s13
	s_or_b32 s9, s10, s11
	v_add_co_ci_u32_e64 v1, null, s29, 0, s12
	s_bitset0_b32 s9, 31
	s_cmp_lg_u32 s9, 0
	s_mov_b32 s9, 0
	s_cbranch_scc1 .LBB511_5
; %bb.4:
	v_mul_lo_u32 v14, v5, s16
	v_mul_lo_u32 v15, v4, s17
	v_mad_u64_u32 v[2:3], null, v4, s16, 0
	v_lshlrev_b64 v[17:18], 3, v[0:1]
	s_lshl_b64 s[12:13], s[16:17], 7
	v_mul_f32_e32 v19, s15, v13
	v_mul_f32_e32 v16, s14, v13
	;; [unrolled: 1-line block ×4, first 2 shown]
	v_add3_u32 v3, v3, v15, v14
	v_mul_f32_e32 v14, s15, v11
	v_fma_f32 v15, v12, s14, -v19
	v_mul_f32_e32 v24, s14, v9
	v_mul_f32_e32 v25, s15, v6
	v_lshlrev_b64 v[2:3], 3, v[2:3]
	v_fma_f32 v19, v10, s14, -v14
	v_mul_f32_e32 v14, s14, v6
	v_fmac_f32_e32 v16, s15, v12
	v_fmac_f32_e32 v20, s15, v10
	v_fma_f32 v23, v8, s14, -v23
	v_add_co_u32 v2, vcc_lo, s6, v2
	v_add_co_ci_u32_e64 v3, null, s7, v3, vcc_lo
	v_fmac_f32_e32 v14, s15, v7
	v_add_co_u32 v21, vcc_lo, v2, v17
	v_add_co_ci_u32_e64 v22, null, v3, v18, vcc_lo
	v_add_co_u32 v2, vcc_lo, v2, s12
	v_add_co_ci_u32_e64 v3, null, s13, v3, vcc_lo
	v_fmac_f32_e32 v24, s15, v8
	v_add_co_u32 v17, vcc_lo, v2, v17
	v_add_co_ci_u32_e64 v18, null, v3, v18, vcc_lo
	v_fma_f32 v25, v7, s14, -v25
	v_add_co_u32 v2, vcc_lo, 0x80, v17
	v_add_co_ci_u32_e64 v3, null, 0, v18, vcc_lo
	global_store_dwordx2 v[21:22], v[15:16], off
	global_store_dwordx2 v[21:22], v[19:20], off offset:128
	global_store_dwordx2 v[17:18], v[23:24], off
	global_store_dword v[17:18], v25, off offset:128
	s_andn2_b32 vcc_lo, exec_lo, s9
	s_cbranch_vccz .LBB511_6
	s_branch .LBB511_7
.LBB511_5:
                                        ; implicit-def: $vgpr14
                                        ; implicit-def: $vgpr2_vgpr3
.LBB511_6:
	v_mul_lo_u32 v14, v5, s2
	v_mul_lo_u32 v15, v4, s3
	v_mad_u64_u32 v[2:3], null, v4, s2, 0
	s_mul_i32 s5, s5, s8
	s_mul_hi_u32 s9, s4, s8
	s_mul_i32 s4, s4, s8
	s_add_i32 s5, s9, s5
	v_lshlrev_b64 v[0:1], 3, v[0:1]
	s_lshl_b64 s[4:5], s[4:5], 3
	v_add3_u32 v3, v3, v15, v14
	s_add_u32 s0, s0, s4
	s_addc_u32 s1, s1, s5
	v_mul_lo_u32 v18, v5, s16
	v_mul_lo_u32 v19, v4, s17
	v_lshlrev_b64 v[2:3], 3, v[2:3]
	v_mad_u64_u32 v[4:5], null, v4, s16, 0
	v_add_co_u32 v16, vcc_lo, s0, v2
	v_add_co_ci_u32_e64 v17, null, s1, v3, vcc_lo
	v_add3_u32 v5, v5, v19, v18
	v_add_co_u32 v2, vcc_lo, v16, v0
	v_add_co_ci_u32_e64 v3, null, v17, v1, vcc_lo
	v_mul_f32_e32 v18, s15, v13
	v_mul_f32_e32 v13, s14, v13
	v_lshlrev_b64 v[4:5], 3, v[4:5]
	global_load_dwordx2 v[14:15], v[2:3], off
	s_lshl_b64 s[0:1], s[2:3], 7
	v_fma_f32 v18, v12, s14, -v18
	v_fmac_f32_e32 v13, s15, v12
	v_add_co_u32 v19, vcc_lo, s6, v4
	v_add_co_ci_u32_e64 v20, null, s7, v5, vcc_lo
	v_add_co_u32 v4, vcc_lo, v19, v0
	v_add_co_ci_u32_e64 v5, null, v20, v1, vcc_lo
	s_waitcnt vmcnt(0)
	v_mul_f32_e32 v12, s11, v15
	v_mul_f32_e32 v15, s10, v15
	v_fma_f32 v12, v14, s10, -v12
	v_fmac_f32_e32 v15, s11, v14
	v_add_f32_e32 v12, v18, v12
	v_add_f32_e32 v13, v13, v15
	global_store_dwordx2 v[4:5], v[12:13], off
	global_load_dwordx2 v[2:3], v[2:3], off offset:128
	v_mul_f32_e32 v12, s15, v11
	v_mul_f32_e32 v11, s14, v11
	v_fma_f32 v12, v10, s14, -v12
	v_fmac_f32_e32 v11, s15, v10
	s_waitcnt vmcnt(0)
	v_mul_f32_e32 v13, s11, v3
	v_mul_f32_e32 v3, s10, v3
	v_fma_f32 v10, v2, s10, -v13
	v_add_co_u32 v13, vcc_lo, v16, s0
	v_fmac_f32_e32 v3, s11, v2
	v_add_co_ci_u32_e64 v14, null, s1, v17, vcc_lo
	v_add_f32_e32 v2, v12, v10
	v_add_co_u32 v10, vcc_lo, v13, v0
	v_add_f32_e32 v3, v11, v3
	v_add_co_ci_u32_e64 v11, null, v14, v1, vcc_lo
	s_lshl_b64 s[0:1], s[16:17], 7
	global_store_dwordx2 v[4:5], v[2:3], off offset:128
	global_load_dwordx2 v[2:3], v[10:11], off
	v_mul_f32_e32 v4, s15, v9
	v_mul_f32_e32 v5, s14, v9
	v_add_co_u32 v9, vcc_lo, v19, s0
	v_add_co_ci_u32_e64 v12, null, s1, v20, vcc_lo
	v_fma_f32 v4, v8, s14, -v4
	v_fmac_f32_e32 v5, s15, v8
	v_add_co_u32 v0, vcc_lo, v9, v0
	v_add_co_ci_u32_e64 v1, null, v12, v1, vcc_lo
	s_waitcnt vmcnt(0)
	v_mul_f32_e32 v8, s11, v3
	v_mul_f32_e32 v3, s10, v3
	v_fma_f32 v8, v2, s10, -v8
	v_fmac_f32_e32 v3, s11, v2
	v_add_f32_e32 v2, v4, v8
	v_add_f32_e32 v3, v5, v3
	v_mul_f32_e32 v4, s15, v6
	v_mul_f32_e32 v5, s14, v6
	global_store_dwordx2 v[0:1], v[2:3], off
	global_load_dwordx2 v[2:3], v[10:11], off offset:128
	v_fma_f32 v4, v7, s14, -v4
	v_fmac_f32_e32 v5, s15, v7
	s_waitcnt vmcnt(0)
	v_mul_f32_e32 v6, s11, v3
	v_mul_f32_e32 v3, s10, v3
	v_fma_f32 v6, v2, s10, -v6
	v_fmac_f32_e32 v3, s11, v2
	v_add_co_u32 v2, vcc_lo, 0x80, v0
	v_add_f32_e32 v4, v4, v6
	v_add_f32_e32 v14, v5, v3
	v_add_co_ci_u32_e64 v3, null, 0, v1, vcc_lo
	global_store_dword v[0:1], v4, off offset:128
.LBB511_7:
	global_store_dword v[2:3], v14, off offset:4
	s_endpgm
	.section	.rodata,"a",@progbits
	.p2align	6, 0x0
	.amdhsa_kernel _ZN12_GLOBAL__N_127rocblas_gemm_batched_kernelI19rocblas_complex_numIfELi16ELi16ELi32ELi32ELi8ELi32ELi8ELi8ELi32ELc84ELc78EKS2_S3_S2_EEvlllT_PT11_llS6_llS4_PT12_llPT13_lli
		.amdhsa_group_segment_fixed_size 4096
		.amdhsa_private_segment_fixed_size 0
		.amdhsa_kernarg_size 140
		.amdhsa_user_sgpr_count 6
		.amdhsa_user_sgpr_private_segment_buffer 1
		.amdhsa_user_sgpr_dispatch_ptr 0
		.amdhsa_user_sgpr_queue_ptr 0
		.amdhsa_user_sgpr_kernarg_segment_ptr 1
		.amdhsa_user_sgpr_dispatch_id 0
		.amdhsa_user_sgpr_flat_scratch_init 0
		.amdhsa_user_sgpr_private_segment_size 0
		.amdhsa_wavefront_size32 1
		.amdhsa_uses_dynamic_stack 0
		.amdhsa_system_sgpr_private_segment_wavefront_offset 0
		.amdhsa_system_sgpr_workgroup_id_x 1
		.amdhsa_system_sgpr_workgroup_id_y 1
		.amdhsa_system_sgpr_workgroup_id_z 1
		.amdhsa_system_sgpr_workgroup_info 0
		.amdhsa_system_vgpr_workitem_id 1
		.amdhsa_next_free_vgpr 92
		.amdhsa_next_free_sgpr 32
		.amdhsa_reserve_vcc 1
		.amdhsa_reserve_flat_scratch 0
		.amdhsa_float_round_mode_32 0
		.amdhsa_float_round_mode_16_64 0
		.amdhsa_float_denorm_mode_32 3
		.amdhsa_float_denorm_mode_16_64 3
		.amdhsa_dx10_clamp 1
		.amdhsa_ieee_mode 1
		.amdhsa_fp16_overflow 0
		.amdhsa_workgroup_processor_mode 1
		.amdhsa_memory_ordered 1
		.amdhsa_forward_progress 1
		.amdhsa_shared_vgpr_count 0
		.amdhsa_exception_fp_ieee_invalid_op 0
		.amdhsa_exception_fp_denorm_src 0
		.amdhsa_exception_fp_ieee_div_zero 0
		.amdhsa_exception_fp_ieee_overflow 0
		.amdhsa_exception_fp_ieee_underflow 0
		.amdhsa_exception_fp_ieee_inexact 0
		.amdhsa_exception_int_div_zero 0
	.end_amdhsa_kernel
	.section	.text._ZN12_GLOBAL__N_127rocblas_gemm_batched_kernelI19rocblas_complex_numIfELi16ELi16ELi32ELi32ELi8ELi32ELi8ELi8ELi32ELc84ELc78EKS2_S3_S2_EEvlllT_PT11_llS6_llS4_PT12_llPT13_lli,"axG",@progbits,_ZN12_GLOBAL__N_127rocblas_gemm_batched_kernelI19rocblas_complex_numIfELi16ELi16ELi32ELi32ELi8ELi32ELi8ELi8ELi32ELc84ELc78EKS2_S3_S2_EEvlllT_PT11_llS6_llS4_PT12_llPT13_lli,comdat
.Lfunc_end511:
	.size	_ZN12_GLOBAL__N_127rocblas_gemm_batched_kernelI19rocblas_complex_numIfELi16ELi16ELi32ELi32ELi8ELi32ELi8ELi8ELi32ELc84ELc78EKS2_S3_S2_EEvlllT_PT11_llS6_llS4_PT12_llPT13_lli, .Lfunc_end511-_ZN12_GLOBAL__N_127rocblas_gemm_batched_kernelI19rocblas_complex_numIfELi16ELi16ELi32ELi32ELi8ELi32ELi8ELi8ELi32ELc84ELc78EKS2_S3_S2_EEvlllT_PT11_llS6_llS4_PT12_llPT13_lli
                                        ; -- End function
	.set _ZN12_GLOBAL__N_127rocblas_gemm_batched_kernelI19rocblas_complex_numIfELi16ELi16ELi32ELi32ELi8ELi32ELi8ELi8ELi32ELc84ELc78EKS2_S3_S2_EEvlllT_PT11_llS6_llS4_PT12_llPT13_lli.num_vgpr, 92
	.set _ZN12_GLOBAL__N_127rocblas_gemm_batched_kernelI19rocblas_complex_numIfELi16ELi16ELi32ELi32ELi8ELi32ELi8ELi8ELi32ELc84ELc78EKS2_S3_S2_EEvlllT_PT11_llS6_llS4_PT12_llPT13_lli.num_agpr, 0
	.set _ZN12_GLOBAL__N_127rocblas_gemm_batched_kernelI19rocblas_complex_numIfELi16ELi16ELi32ELi32ELi8ELi32ELi8ELi8ELi32ELc84ELc78EKS2_S3_S2_EEvlllT_PT11_llS6_llS4_PT12_llPT13_lli.numbered_sgpr, 32
	.set _ZN12_GLOBAL__N_127rocblas_gemm_batched_kernelI19rocblas_complex_numIfELi16ELi16ELi32ELi32ELi8ELi32ELi8ELi8ELi32ELc84ELc78EKS2_S3_S2_EEvlllT_PT11_llS6_llS4_PT12_llPT13_lli.num_named_barrier, 0
	.set _ZN12_GLOBAL__N_127rocblas_gemm_batched_kernelI19rocblas_complex_numIfELi16ELi16ELi32ELi32ELi8ELi32ELi8ELi8ELi32ELc84ELc78EKS2_S3_S2_EEvlllT_PT11_llS6_llS4_PT12_llPT13_lli.private_seg_size, 0
	.set _ZN12_GLOBAL__N_127rocblas_gemm_batched_kernelI19rocblas_complex_numIfELi16ELi16ELi32ELi32ELi8ELi32ELi8ELi8ELi32ELc84ELc78EKS2_S3_S2_EEvlllT_PT11_llS6_llS4_PT12_llPT13_lli.uses_vcc, 1
	.set _ZN12_GLOBAL__N_127rocblas_gemm_batched_kernelI19rocblas_complex_numIfELi16ELi16ELi32ELi32ELi8ELi32ELi8ELi8ELi32ELc84ELc78EKS2_S3_S2_EEvlllT_PT11_llS6_llS4_PT12_llPT13_lli.uses_flat_scratch, 0
	.set _ZN12_GLOBAL__N_127rocblas_gemm_batched_kernelI19rocblas_complex_numIfELi16ELi16ELi32ELi32ELi8ELi32ELi8ELi8ELi32ELc84ELc78EKS2_S3_S2_EEvlllT_PT11_llS6_llS4_PT12_llPT13_lli.has_dyn_sized_stack, 0
	.set _ZN12_GLOBAL__N_127rocblas_gemm_batched_kernelI19rocblas_complex_numIfELi16ELi16ELi32ELi32ELi8ELi32ELi8ELi8ELi32ELc84ELc78EKS2_S3_S2_EEvlllT_PT11_llS6_llS4_PT12_llPT13_lli.has_recursion, 0
	.set _ZN12_GLOBAL__N_127rocblas_gemm_batched_kernelI19rocblas_complex_numIfELi16ELi16ELi32ELi32ELi8ELi32ELi8ELi8ELi32ELc84ELc78EKS2_S3_S2_EEvlllT_PT11_llS6_llS4_PT12_llPT13_lli.has_indirect_call, 0
	.section	.AMDGPU.csdata,"",@progbits
; Kernel info:
; codeLenInByte = 2524
; TotalNumSgprs: 34
; NumVgprs: 92
; ScratchSize: 0
; MemoryBound: 0
; FloatMode: 240
; IeeeMode: 1
; LDSByteSize: 4096 bytes/workgroup (compile time only)
; SGPRBlocks: 0
; VGPRBlocks: 11
; NumSGPRsForWavesPerEU: 34
; NumVGPRsForWavesPerEU: 92
; Occupancy: 10
; WaveLimiterHint : 1
; COMPUTE_PGM_RSRC2:SCRATCH_EN: 0
; COMPUTE_PGM_RSRC2:USER_SGPR: 6
; COMPUTE_PGM_RSRC2:TRAP_HANDLER: 0
; COMPUTE_PGM_RSRC2:TGID_X_EN: 1
; COMPUTE_PGM_RSRC2:TGID_Y_EN: 1
; COMPUTE_PGM_RSRC2:TGID_Z_EN: 1
; COMPUTE_PGM_RSRC2:TIDIG_COMP_CNT: 1
	.section	.text._ZN12_GLOBAL__N_127rocblas_gemm_batched_kernelI19rocblas_complex_numIfELi16ELi16ELi32ELi32ELi8ELi32ELi8ELi8ELi32ELc78ELc84EKS2_S3_S2_EEvlllT_PT11_llS6_llS4_PT12_llPT13_lli,"axG",@progbits,_ZN12_GLOBAL__N_127rocblas_gemm_batched_kernelI19rocblas_complex_numIfELi16ELi16ELi32ELi32ELi8ELi32ELi8ELi8ELi32ELc78ELc84EKS2_S3_S2_EEvlllT_PT11_llS6_llS4_PT12_llPT13_lli,comdat
	.globl	_ZN12_GLOBAL__N_127rocblas_gemm_batched_kernelI19rocblas_complex_numIfELi16ELi16ELi32ELi32ELi8ELi32ELi8ELi8ELi32ELc78ELc84EKS2_S3_S2_EEvlllT_PT11_llS6_llS4_PT12_llPT13_lli ; -- Begin function _ZN12_GLOBAL__N_127rocblas_gemm_batched_kernelI19rocblas_complex_numIfELi16ELi16ELi32ELi32ELi8ELi32ELi8ELi8ELi32ELc78ELc84EKS2_S3_S2_EEvlllT_PT11_llS6_llS4_PT12_llPT13_lli
	.p2align	8
	.type	_ZN12_GLOBAL__N_127rocblas_gemm_batched_kernelI19rocblas_complex_numIfELi16ELi16ELi32ELi32ELi8ELi32ELi8ELi8ELi32ELc78ELc84EKS2_S3_S2_EEvlllT_PT11_llS6_llS4_PT12_llPT13_lli,@function
_ZN12_GLOBAL__N_127rocblas_gemm_batched_kernelI19rocblas_complex_numIfELi16ELi16ELi32ELi32ELi8ELi32ELi8ELi8ELi32ELc78ELc84EKS2_S3_S2_EEvlllT_PT11_llS6_llS4_PT12_llPT13_lli: ; @_ZN12_GLOBAL__N_127rocblas_gemm_batched_kernelI19rocblas_complex_numIfELi16ELi16ELi32ELi32ELi8ELi32ELi8ELi8ELi32ELc78ELc84EKS2_S3_S2_EEvlllT_PT11_llS6_llS4_PT12_llPT13_lli
; %bb.0:
	s_clause 0x1
	s_load_dwordx16 s[12:27], s[4:5], 0x10
	s_load_dwordx2 s[10:11], s[4:5], 0x50
	s_mov_b32 s0, s7
	v_mov_b32_e32 v12, 0
	v_mov_b32_e32 v13, 0
	;; [unrolled: 1-line block ×8, first 2 shown]
	s_ashr_i32 s7, s6, 31
	s_ashr_i32 s1, s0, 31
	s_lshl_b64 s[28:29], s[6:7], 5
	s_lshl_b64 s[30:31], s[0:1], 5
	s_waitcnt lgkmcnt(0)
	v_cmp_lt_i64_e64 s2, s[12:13], 1
	s_and_b32 vcc_lo, exec_lo, s2
	s_cbranch_vccnz .LBB512_3
; %bb.1:
	v_lshl_add_u32 v9, v1, 4, v0
	v_and_b32_e32 v11, 7, v0
	s_mul_i32 s1, s21, s8
	s_mul_hi_u32 s2, s20, s8
	s_mul_hi_u32 s3, s26, s8
	v_lshrrev_b32_e32 v10, 3, v9
	v_lshrrev_b32_e32 v12, 5, v9
	s_add_i32 s1, s2, s1
	v_lshlrev_b32_e32 v13, 3, v11
	s_mul_i32 s2, s27, s8
	v_add_co_u32 v2, s0, v10, s30
	v_add_co_ci_u32_e64 v3, null, 0, s31, s0
	v_mad_u64_u32 v[4:5], null, s18, v12, s[28:29]
	s_mul_i32 s0, s20, s8
	v_mad_u64_u32 v[7:8], null, s24, v11, v[2:3]
	s_lshl_b64 s[0:1], s[0:1], 3
	v_lshl_or_b32 v10, v10, 6, v13
	s_add_u32 s0, s16, s0
	v_mov_b32_e32 v2, v5
	v_and_b32_e32 v5, 31, v9
	s_addc_u32 s1, s17, s1
	v_mov_b32_e32 v3, v8
	v_mov_b32_e32 v6, 0
	v_lshlrev_b32_e32 v14, 3, v0
	v_lshl_add_u32 v15, v1, 6, 0x800
	v_add_nc_u32_e32 v17, 0x800, v10
	v_mad_u64_u32 v[8:9], null, s19, v12, v[2:3]
	v_mad_u64_u32 v[2:3], null, s25, v11, v[3:4]
	v_add_co_u32 v3, vcc_lo, v4, v5
	v_lshlrev_b32_e32 v9, 3, v5
	v_mov_b32_e32 v11, 0
	v_add_co_ci_u32_e64 v4, null, 0, v8, vcc_lo
	v_mov_b32_e32 v8, v2
	v_lshl_or_b32 v16, v12, 8, v9
	v_mov_b32_e32 v9, 0
	v_lshlrev_b64 v[2:3], 3, v[3:4]
	v_mov_b32_e32 v10, 0
	v_lshlrev_b64 v[4:5], 3, v[7:8]
	v_mov_b32_e32 v7, 0
	v_mov_b32_e32 v8, 0
	;; [unrolled: 1-line block ×3, first 2 shown]
	v_add_co_u32 v2, vcc_lo, s0, v2
	v_add_co_ci_u32_e64 v3, null, s1, v3, vcc_lo
	s_add_i32 s1, s3, s2
	s_mul_i32 s0, s26, s8
	v_mov_b32_e32 v12, 0
	s_lshl_b64 s[2:3], s[0:1], 3
	s_lshl_b64 s[0:1], s[18:19], 6
	s_add_u32 s2, s22, s2
	s_addc_u32 s3, s23, s3
	v_add_co_u32 v4, vcc_lo, s2, v4
	v_add_co_ci_u32_e64 v5, null, s3, v5, vcc_lo
	s_lshl_b64 s[2:3], s[24:25], 6
	s_mov_b64 s[6:7], 0
.LBB512_2:                              ; =>This Inner Loop Header: Depth=1
	global_load_dwordx2 v[18:19], v[2:3], off
	global_load_dwordx2 v[20:21], v[4:5], off
	s_add_u32 s6, s6, 8
	s_addc_u32 s7, s7, 0
	v_add_co_u32 v2, vcc_lo, v2, s0
	v_cmp_lt_i64_e64 s9, s[6:7], s[12:13]
	v_add_co_ci_u32_e64 v3, null, s1, v3, vcc_lo
	v_add_co_u32 v4, vcc_lo, v4, s2
	v_add_co_ci_u32_e64 v5, null, s3, v5, vcc_lo
	s_and_b32 vcc_lo, exec_lo, s9
	s_waitcnt vmcnt(1)
	ds_write_b64 v16, v[18:19]
	s_waitcnt vmcnt(0)
	ds_write_b64 v17, v[20:21]
	s_waitcnt lgkmcnt(0)
	s_barrier
	buffer_gl0_inv
	ds_read_b128 v[18:21], v15
	ds_read2_b64 v[22:25], v14 offset1:16
	ds_read_b128 v[26:29], v15 offset:1024
	ds_read2_b64 v[30:33], v14 offset0:32 offset1:48
	ds_read_b128 v[34:37], v15 offset:16
	ds_read2_b64 v[38:41], v14 offset0:64 offset1:80
	ds_read_b128 v[42:45], v15 offset:1040
	ds_read2_b64 v[46:49], v14 offset0:96 offset1:112
	ds_read2_b64 v[50:53], v14 offset0:128 offset1:144
	ds_read2_b64 v[54:57], v14 offset0:160 offset1:176
	ds_read_b128 v[58:61], v15 offset:32
	ds_read_b128 v[62:65], v15 offset:48
	ds_read2_b64 v[66:69], v14 offset0:192 offset1:208
	ds_read_b128 v[70:73], v15 offset:1056
	ds_read_b128 v[74:77], v15 offset:1072
	ds_read2_b64 v[78:81], v14 offset0:224 offset1:240
	s_waitcnt lgkmcnt(0)
	s_barrier
	buffer_gl0_inv
	v_mul_f32_e32 v82, v19, v23
	v_mul_f32_e32 v83, v18, v23
	;; [unrolled: 1-line block ×12, first 2 shown]
	v_fma_f32 v82, v18, v22, -v82
	v_fmac_f32_e32 v83, v19, v22
	v_fma_f32 v18, v18, v24, -v84
	v_fmac_f32_e32 v85, v19, v24
	;; [unrolled: 2-line block ×4, first 2 shown]
	v_mul_f32_e32 v24, v29, v31
	v_mul_f32_e32 v26, v28, v31
	v_mul_f32_e32 v27, v29, v33
	v_mul_f32_e32 v31, v28, v33
	v_fma_f32 v33, v20, v30, -v88
	v_fmac_f32_e32 v89, v21, v30
	v_fma_f32 v20, v20, v32, -v90
	v_fmac_f32_e32 v91, v21, v32
	v_mul_f32_e32 v21, v35, v39
	v_mul_f32_e32 v84, v34, v39
	v_mul_f32_e32 v86, v35, v41
	v_mul_f32_e32 v87, v34, v41
	v_fma_f32 v24, v28, v30, -v24
	v_fmac_f32_e32 v26, v29, v30
	v_fma_f32 v27, v28, v32, -v27
	v_fmac_f32_e32 v31, v29, v32
	v_mul_f32_e32 v28, v43, v39
	v_mul_f32_e32 v29, v42, v39
	v_mul_f32_e32 v30, v43, v41
	v_mul_f32_e32 v32, v42, v41
	v_add_f32_e32 v12, v12, v82
	v_add_f32_e32 v13, v13, v83
	v_add_f32_e32 v10, v10, v18
	v_add_f32_e32 v11, v11, v85
	v_add_f32_e32 v8, v8, v19
	v_add_f32_e32 v9, v9, v23
	v_add_f32_e32 v7, v7, v22
	v_add_f32_e32 v6, v6, v25
	v_mul_f32_e32 v39, v37, v47
	v_mul_f32_e32 v41, v36, v47
	v_mul_f32_e32 v88, v37, v49
	v_mul_f32_e32 v90, v36, v49
	v_fma_f32 v21, v34, v38, -v21
	v_fmac_f32_e32 v84, v35, v38
	v_fma_f32 v34, v34, v40, -v86
	v_fmac_f32_e32 v87, v35, v40
	v_fma_f32 v28, v42, v38, -v28
	v_fmac_f32_e32 v29, v43, v38
	v_fma_f32 v30, v42, v40, -v30
	v_fmac_f32_e32 v32, v43, v40
	v_mul_f32_e32 v35, v45, v47
	v_mul_f32_e32 v38, v44, v47
	v_mul_f32_e32 v40, v45, v49
	v_mul_f32_e32 v42, v44, v49
	v_add_f32_e32 v12, v12, v33
	v_add_f32_e32 v13, v13, v89
	v_add_f32_e32 v10, v10, v20
	v_add_f32_e32 v11, v11, v91
	v_add_f32_e32 v8, v8, v24
	v_add_f32_e32 v9, v9, v26
	v_add_f32_e32 v7, v7, v27
	v_add_f32_e32 v6, v6, v31
	v_fma_f32 v39, v36, v46, -v39
	v_fmac_f32_e32 v41, v37, v46
	v_fma_f32 v36, v36, v48, -v88
	v_fmac_f32_e32 v90, v37, v48
	v_mul_f32_e32 v37, v59, v51
	v_mul_f32_e32 v43, v58, v51
	v_mul_f32_e32 v47, v59, v53
	v_mul_f32_e32 v49, v58, v53
	v_fma_f32 v35, v44, v46, -v35
	v_fmac_f32_e32 v38, v45, v46
	v_fma_f32 v40, v44, v48, -v40
	v_fmac_f32_e32 v42, v45, v48
	v_mul_f32_e32 v44, v71, v51
	v_mul_f32_e32 v45, v70, v51
	v_mul_f32_e32 v46, v71, v53
	v_mul_f32_e32 v48, v70, v53
	v_add_f32_e32 v12, v12, v21
	v_add_f32_e32 v13, v13, v84
	v_add_f32_e32 v10, v10, v34
	v_add_f32_e32 v11, v11, v87
	v_add_f32_e32 v8, v8, v28
	v_add_f32_e32 v9, v9, v29
	v_add_f32_e32 v7, v7, v30
	v_add_f32_e32 v6, v6, v32
	v_mul_f32_e32 v51, v61, v55
	v_mul_f32_e32 v53, v60, v55
	v_mul_f32_e32 v86, v61, v57
	v_mul_f32_e32 v88, v60, v57
	v_fma_f32 v37, v58, v50, -v37
	v_fmac_f32_e32 v43, v59, v50
	v_fma_f32 v47, v58, v52, -v47
	v_fmac_f32_e32 v49, v59, v52
	v_fma_f32 v44, v70, v50, -v44
	v_fmac_f32_e32 v45, v71, v50
	v_fma_f32 v46, v70, v52, -v46
	v_fmac_f32_e32 v48, v71, v52
	v_mul_f32_e32 v50, v73, v55
	v_mul_f32_e32 v52, v72, v55
	v_mul_f32_e32 v55, v73, v57
	v_mul_f32_e32 v57, v72, v57
	v_add_f32_e32 v12, v12, v39
	v_add_f32_e32 v13, v13, v41
	v_add_f32_e32 v10, v10, v36
	v_add_f32_e32 v11, v11, v90
	v_add_f32_e32 v8, v8, v35
	v_add_f32_e32 v9, v9, v38
	v_add_f32_e32 v7, v7, v40
	v_add_f32_e32 v6, v6, v42
	v_fma_f32 v51, v60, v54, -v51
	v_fmac_f32_e32 v53, v61, v54
	v_fma_f32 v58, v60, v56, -v86
	v_fmac_f32_e32 v88, v61, v56
	v_mul_f32_e32 v59, v63, v67
	v_mul_f32_e32 v60, v62, v67
	v_mul_f32_e32 v61, v63, v69
	v_mul_f32_e32 v70, v62, v69
	v_fma_f32 v50, v72, v54, -v50
	v_fmac_f32_e32 v52, v73, v54
	v_fma_f32 v54, v72, v56, -v55
	v_fmac_f32_e32 v57, v73, v56
	v_mul_f32_e32 v55, v75, v67
	v_mul_f32_e32 v56, v74, v67
	v_mul_f32_e32 v67, v75, v69
	v_mul_f32_e32 v69, v74, v69
	v_add_f32_e32 v12, v12, v37
	v_add_f32_e32 v13, v13, v43
	v_add_f32_e32 v10, v10, v47
	v_add_f32_e32 v11, v11, v49
	v_add_f32_e32 v8, v8, v44
	v_add_f32_e32 v9, v9, v45
	v_add_f32_e32 v7, v7, v46
	v_add_f32_e32 v6, v6, v48
	v_mul_f32_e32 v71, v65, v79
	v_mul_f32_e32 v72, v64, v79
	v_mul_f32_e32 v73, v65, v81
	v_mul_f32_e32 v86, v64, v81
	v_fma_f32 v59, v62, v66, -v59
	v_fmac_f32_e32 v60, v63, v66
	v_fma_f32 v61, v62, v68, -v61
	v_fmac_f32_e32 v70, v63, v68
	v_fma_f32 v55, v74, v66, -v55
	v_fmac_f32_e32 v56, v75, v66
	v_fma_f32 v62, v74, v68, -v67
	v_fmac_f32_e32 v69, v75, v68
	v_mul_f32_e32 v63, v77, v79
	v_mul_f32_e32 v66, v76, v79
	v_mul_f32_e32 v67, v77, v81
	v_mul_f32_e32 v68, v76, v81
	v_add_f32_e32 v12, v12, v51
	v_add_f32_e32 v13, v13, v53
	v_add_f32_e32 v10, v10, v58
	v_add_f32_e32 v11, v11, v88
	v_add_f32_e32 v8, v8, v50
	v_add_f32_e32 v9, v9, v52
	v_add_f32_e32 v7, v7, v54
	v_add_f32_e32 v6, v6, v57
	v_fma_f32 v71, v64, v78, -v71
	v_fmac_f32_e32 v72, v65, v78
	v_fma_f32 v64, v64, v80, -v73
	v_fmac_f32_e32 v86, v65, v80
	v_fma_f32 v63, v76, v78, -v63
	v_fmac_f32_e32 v66, v77, v78
	v_fma_f32 v65, v76, v80, -v67
	v_fmac_f32_e32 v68, v77, v80
	v_add_f32_e32 v12, v12, v59
	v_add_f32_e32 v13, v13, v60
	;; [unrolled: 1-line block ×16, first 2 shown]
	s_cbranch_vccnz .LBB512_2
.LBB512_3:
	s_clause 0x1
	s_load_dwordx4 s[16:19], s[4:5], 0x78
	s_load_dwordx8 s[0:7], s[4:5], 0x58
	s_waitcnt lgkmcnt(0)
	s_mul_i32 s9, s19, s8
	s_mul_hi_u32 s13, s18, s8
	s_mul_i32 s12, s18, s8
	s_add_i32 s13, s13, s9
	s_lshl_b64 s[12:13], s[12:13], 3
	s_add_u32 s6, s6, s12
	v_add_co_u32 v4, s12, s30, v1
	v_add_co_ci_u32_e64 v5, null, s31, 0, s12
	v_add_co_u32 v0, s12, s28, v0
	s_addc_u32 s7, s7, s13
	s_or_b32 s9, s10, s11
	v_add_co_ci_u32_e64 v1, null, s29, 0, s12
	s_bitset0_b32 s9, 31
	s_cmp_lg_u32 s9, 0
	s_mov_b32 s9, 0
	s_cbranch_scc1 .LBB512_5
; %bb.4:
	v_mul_lo_u32 v14, v5, s16
	v_mul_lo_u32 v15, v4, s17
	v_mad_u64_u32 v[2:3], null, v4, s16, 0
	v_lshlrev_b64 v[17:18], 3, v[0:1]
	s_lshl_b64 s[12:13], s[16:17], 7
	v_mul_f32_e32 v19, s15, v13
	v_mul_f32_e32 v16, s14, v13
	;; [unrolled: 1-line block ×4, first 2 shown]
	v_add3_u32 v3, v3, v15, v14
	v_mul_f32_e32 v14, s15, v11
	v_fma_f32 v15, v12, s14, -v19
	v_mul_f32_e32 v24, s14, v9
	v_mul_f32_e32 v25, s15, v6
	v_lshlrev_b64 v[2:3], 3, v[2:3]
	v_fma_f32 v19, v10, s14, -v14
	v_mul_f32_e32 v14, s14, v6
	v_fmac_f32_e32 v16, s15, v12
	v_fmac_f32_e32 v20, s15, v10
	v_fma_f32 v23, v8, s14, -v23
	v_add_co_u32 v2, vcc_lo, s6, v2
	v_add_co_ci_u32_e64 v3, null, s7, v3, vcc_lo
	v_fmac_f32_e32 v14, s15, v7
	v_add_co_u32 v21, vcc_lo, v2, v17
	v_add_co_ci_u32_e64 v22, null, v3, v18, vcc_lo
	v_add_co_u32 v2, vcc_lo, v2, s12
	v_add_co_ci_u32_e64 v3, null, s13, v3, vcc_lo
	v_fmac_f32_e32 v24, s15, v8
	v_add_co_u32 v17, vcc_lo, v2, v17
	v_add_co_ci_u32_e64 v18, null, v3, v18, vcc_lo
	v_fma_f32 v25, v7, s14, -v25
	v_add_co_u32 v2, vcc_lo, 0x80, v17
	v_add_co_ci_u32_e64 v3, null, 0, v18, vcc_lo
	global_store_dwordx2 v[21:22], v[15:16], off
	global_store_dwordx2 v[21:22], v[19:20], off offset:128
	global_store_dwordx2 v[17:18], v[23:24], off
	global_store_dword v[17:18], v25, off offset:128
	s_andn2_b32 vcc_lo, exec_lo, s9
	s_cbranch_vccz .LBB512_6
	s_branch .LBB512_7
.LBB512_5:
                                        ; implicit-def: $vgpr14
                                        ; implicit-def: $vgpr2_vgpr3
.LBB512_6:
	v_mul_lo_u32 v14, v5, s2
	v_mul_lo_u32 v15, v4, s3
	v_mad_u64_u32 v[2:3], null, v4, s2, 0
	s_mul_i32 s5, s5, s8
	s_mul_hi_u32 s9, s4, s8
	s_mul_i32 s4, s4, s8
	s_add_i32 s5, s9, s5
	v_lshlrev_b64 v[0:1], 3, v[0:1]
	s_lshl_b64 s[4:5], s[4:5], 3
	v_add3_u32 v3, v3, v15, v14
	s_add_u32 s0, s0, s4
	s_addc_u32 s1, s1, s5
	v_mul_lo_u32 v18, v5, s16
	v_mul_lo_u32 v19, v4, s17
	v_lshlrev_b64 v[2:3], 3, v[2:3]
	v_mad_u64_u32 v[4:5], null, v4, s16, 0
	v_add_co_u32 v16, vcc_lo, s0, v2
	v_add_co_ci_u32_e64 v17, null, s1, v3, vcc_lo
	v_add3_u32 v5, v5, v19, v18
	v_add_co_u32 v2, vcc_lo, v16, v0
	v_add_co_ci_u32_e64 v3, null, v17, v1, vcc_lo
	v_mul_f32_e32 v18, s15, v13
	v_mul_f32_e32 v13, s14, v13
	v_lshlrev_b64 v[4:5], 3, v[4:5]
	global_load_dwordx2 v[14:15], v[2:3], off
	s_lshl_b64 s[0:1], s[2:3], 7
	v_fma_f32 v18, v12, s14, -v18
	v_fmac_f32_e32 v13, s15, v12
	v_add_co_u32 v19, vcc_lo, s6, v4
	v_add_co_ci_u32_e64 v20, null, s7, v5, vcc_lo
	v_add_co_u32 v4, vcc_lo, v19, v0
	v_add_co_ci_u32_e64 v5, null, v20, v1, vcc_lo
	s_waitcnt vmcnt(0)
	v_mul_f32_e32 v12, s11, v15
	v_mul_f32_e32 v15, s10, v15
	v_fma_f32 v12, v14, s10, -v12
	v_fmac_f32_e32 v15, s11, v14
	v_add_f32_e32 v12, v18, v12
	v_add_f32_e32 v13, v13, v15
	global_store_dwordx2 v[4:5], v[12:13], off
	global_load_dwordx2 v[2:3], v[2:3], off offset:128
	v_mul_f32_e32 v12, s15, v11
	v_mul_f32_e32 v11, s14, v11
	v_fma_f32 v12, v10, s14, -v12
	v_fmac_f32_e32 v11, s15, v10
	s_waitcnt vmcnt(0)
	v_mul_f32_e32 v13, s11, v3
	v_mul_f32_e32 v3, s10, v3
	v_fma_f32 v10, v2, s10, -v13
	v_add_co_u32 v13, vcc_lo, v16, s0
	v_fmac_f32_e32 v3, s11, v2
	v_add_co_ci_u32_e64 v14, null, s1, v17, vcc_lo
	v_add_f32_e32 v2, v12, v10
	v_add_co_u32 v10, vcc_lo, v13, v0
	v_add_f32_e32 v3, v11, v3
	v_add_co_ci_u32_e64 v11, null, v14, v1, vcc_lo
	s_lshl_b64 s[0:1], s[16:17], 7
	global_store_dwordx2 v[4:5], v[2:3], off offset:128
	global_load_dwordx2 v[2:3], v[10:11], off
	v_mul_f32_e32 v4, s15, v9
	v_mul_f32_e32 v5, s14, v9
	v_add_co_u32 v9, vcc_lo, v19, s0
	v_add_co_ci_u32_e64 v12, null, s1, v20, vcc_lo
	v_fma_f32 v4, v8, s14, -v4
	v_fmac_f32_e32 v5, s15, v8
	v_add_co_u32 v0, vcc_lo, v9, v0
	v_add_co_ci_u32_e64 v1, null, v12, v1, vcc_lo
	s_waitcnt vmcnt(0)
	v_mul_f32_e32 v8, s11, v3
	v_mul_f32_e32 v3, s10, v3
	v_fma_f32 v8, v2, s10, -v8
	v_fmac_f32_e32 v3, s11, v2
	v_add_f32_e32 v2, v4, v8
	v_add_f32_e32 v3, v5, v3
	v_mul_f32_e32 v4, s15, v6
	v_mul_f32_e32 v5, s14, v6
	global_store_dwordx2 v[0:1], v[2:3], off
	global_load_dwordx2 v[2:3], v[10:11], off offset:128
	v_fma_f32 v4, v7, s14, -v4
	v_fmac_f32_e32 v5, s15, v7
	s_waitcnt vmcnt(0)
	v_mul_f32_e32 v6, s11, v3
	v_mul_f32_e32 v3, s10, v3
	v_fma_f32 v6, v2, s10, -v6
	v_fmac_f32_e32 v3, s11, v2
	v_add_co_u32 v2, vcc_lo, 0x80, v0
	v_add_f32_e32 v4, v4, v6
	v_add_f32_e32 v14, v5, v3
	v_add_co_ci_u32_e64 v3, null, 0, v1, vcc_lo
	global_store_dword v[0:1], v4, off offset:128
.LBB512_7:
	global_store_dword v[2:3], v14, off offset:4
	s_endpgm
	.section	.rodata,"a",@progbits
	.p2align	6, 0x0
	.amdhsa_kernel _ZN12_GLOBAL__N_127rocblas_gemm_batched_kernelI19rocblas_complex_numIfELi16ELi16ELi32ELi32ELi8ELi32ELi8ELi8ELi32ELc78ELc84EKS2_S3_S2_EEvlllT_PT11_llS6_llS4_PT12_llPT13_lli
		.amdhsa_group_segment_fixed_size 4096
		.amdhsa_private_segment_fixed_size 0
		.amdhsa_kernarg_size 140
		.amdhsa_user_sgpr_count 6
		.amdhsa_user_sgpr_private_segment_buffer 1
		.amdhsa_user_sgpr_dispatch_ptr 0
		.amdhsa_user_sgpr_queue_ptr 0
		.amdhsa_user_sgpr_kernarg_segment_ptr 1
		.amdhsa_user_sgpr_dispatch_id 0
		.amdhsa_user_sgpr_flat_scratch_init 0
		.amdhsa_user_sgpr_private_segment_size 0
		.amdhsa_wavefront_size32 1
		.amdhsa_uses_dynamic_stack 0
		.amdhsa_system_sgpr_private_segment_wavefront_offset 0
		.amdhsa_system_sgpr_workgroup_id_x 1
		.amdhsa_system_sgpr_workgroup_id_y 1
		.amdhsa_system_sgpr_workgroup_id_z 1
		.amdhsa_system_sgpr_workgroup_info 0
		.amdhsa_system_vgpr_workitem_id 1
		.amdhsa_next_free_vgpr 92
		.amdhsa_next_free_sgpr 32
		.amdhsa_reserve_vcc 1
		.amdhsa_reserve_flat_scratch 0
		.amdhsa_float_round_mode_32 0
		.amdhsa_float_round_mode_16_64 0
		.amdhsa_float_denorm_mode_32 3
		.amdhsa_float_denorm_mode_16_64 3
		.amdhsa_dx10_clamp 1
		.amdhsa_ieee_mode 1
		.amdhsa_fp16_overflow 0
		.amdhsa_workgroup_processor_mode 1
		.amdhsa_memory_ordered 1
		.amdhsa_forward_progress 1
		.amdhsa_shared_vgpr_count 0
		.amdhsa_exception_fp_ieee_invalid_op 0
		.amdhsa_exception_fp_denorm_src 0
		.amdhsa_exception_fp_ieee_div_zero 0
		.amdhsa_exception_fp_ieee_overflow 0
		.amdhsa_exception_fp_ieee_underflow 0
		.amdhsa_exception_fp_ieee_inexact 0
		.amdhsa_exception_int_div_zero 0
	.end_amdhsa_kernel
	.section	.text._ZN12_GLOBAL__N_127rocblas_gemm_batched_kernelI19rocblas_complex_numIfELi16ELi16ELi32ELi32ELi8ELi32ELi8ELi8ELi32ELc78ELc84EKS2_S3_S2_EEvlllT_PT11_llS6_llS4_PT12_llPT13_lli,"axG",@progbits,_ZN12_GLOBAL__N_127rocblas_gemm_batched_kernelI19rocblas_complex_numIfELi16ELi16ELi32ELi32ELi8ELi32ELi8ELi8ELi32ELc78ELc84EKS2_S3_S2_EEvlllT_PT11_llS6_llS4_PT12_llPT13_lli,comdat
.Lfunc_end512:
	.size	_ZN12_GLOBAL__N_127rocblas_gemm_batched_kernelI19rocblas_complex_numIfELi16ELi16ELi32ELi32ELi8ELi32ELi8ELi8ELi32ELc78ELc84EKS2_S3_S2_EEvlllT_PT11_llS6_llS4_PT12_llPT13_lli, .Lfunc_end512-_ZN12_GLOBAL__N_127rocblas_gemm_batched_kernelI19rocblas_complex_numIfELi16ELi16ELi32ELi32ELi8ELi32ELi8ELi8ELi32ELc78ELc84EKS2_S3_S2_EEvlllT_PT11_llS6_llS4_PT12_llPT13_lli
                                        ; -- End function
	.set _ZN12_GLOBAL__N_127rocblas_gemm_batched_kernelI19rocblas_complex_numIfELi16ELi16ELi32ELi32ELi8ELi32ELi8ELi8ELi32ELc78ELc84EKS2_S3_S2_EEvlllT_PT11_llS6_llS4_PT12_llPT13_lli.num_vgpr, 92
	.set _ZN12_GLOBAL__N_127rocblas_gemm_batched_kernelI19rocblas_complex_numIfELi16ELi16ELi32ELi32ELi8ELi32ELi8ELi8ELi32ELc78ELc84EKS2_S3_S2_EEvlllT_PT11_llS6_llS4_PT12_llPT13_lli.num_agpr, 0
	.set _ZN12_GLOBAL__N_127rocblas_gemm_batched_kernelI19rocblas_complex_numIfELi16ELi16ELi32ELi32ELi8ELi32ELi8ELi8ELi32ELc78ELc84EKS2_S3_S2_EEvlllT_PT11_llS6_llS4_PT12_llPT13_lli.numbered_sgpr, 32
	.set _ZN12_GLOBAL__N_127rocblas_gemm_batched_kernelI19rocblas_complex_numIfELi16ELi16ELi32ELi32ELi8ELi32ELi8ELi8ELi32ELc78ELc84EKS2_S3_S2_EEvlllT_PT11_llS6_llS4_PT12_llPT13_lli.num_named_barrier, 0
	.set _ZN12_GLOBAL__N_127rocblas_gemm_batched_kernelI19rocblas_complex_numIfELi16ELi16ELi32ELi32ELi8ELi32ELi8ELi8ELi32ELc78ELc84EKS2_S3_S2_EEvlllT_PT11_llS6_llS4_PT12_llPT13_lli.private_seg_size, 0
	.set _ZN12_GLOBAL__N_127rocblas_gemm_batched_kernelI19rocblas_complex_numIfELi16ELi16ELi32ELi32ELi8ELi32ELi8ELi8ELi32ELc78ELc84EKS2_S3_S2_EEvlllT_PT11_llS6_llS4_PT12_llPT13_lli.uses_vcc, 1
	.set _ZN12_GLOBAL__N_127rocblas_gemm_batched_kernelI19rocblas_complex_numIfELi16ELi16ELi32ELi32ELi8ELi32ELi8ELi8ELi32ELc78ELc84EKS2_S3_S2_EEvlllT_PT11_llS6_llS4_PT12_llPT13_lli.uses_flat_scratch, 0
	.set _ZN12_GLOBAL__N_127rocblas_gemm_batched_kernelI19rocblas_complex_numIfELi16ELi16ELi32ELi32ELi8ELi32ELi8ELi8ELi32ELc78ELc84EKS2_S3_S2_EEvlllT_PT11_llS6_llS4_PT12_llPT13_lli.has_dyn_sized_stack, 0
	.set _ZN12_GLOBAL__N_127rocblas_gemm_batched_kernelI19rocblas_complex_numIfELi16ELi16ELi32ELi32ELi8ELi32ELi8ELi8ELi32ELc78ELc84EKS2_S3_S2_EEvlllT_PT11_llS6_llS4_PT12_llPT13_lli.has_recursion, 0
	.set _ZN12_GLOBAL__N_127rocblas_gemm_batched_kernelI19rocblas_complex_numIfELi16ELi16ELi32ELi32ELi8ELi32ELi8ELi8ELi32ELc78ELc84EKS2_S3_S2_EEvlllT_PT11_llS6_llS4_PT12_llPT13_lli.has_indirect_call, 0
	.section	.AMDGPU.csdata,"",@progbits
; Kernel info:
; codeLenInByte = 2460
; TotalNumSgprs: 34
; NumVgprs: 92
; ScratchSize: 0
; MemoryBound: 0
; FloatMode: 240
; IeeeMode: 1
; LDSByteSize: 4096 bytes/workgroup (compile time only)
; SGPRBlocks: 0
; VGPRBlocks: 11
; NumSGPRsForWavesPerEU: 34
; NumVGPRsForWavesPerEU: 92
; Occupancy: 10
; WaveLimiterHint : 1
; COMPUTE_PGM_RSRC2:SCRATCH_EN: 0
; COMPUTE_PGM_RSRC2:USER_SGPR: 6
; COMPUTE_PGM_RSRC2:TRAP_HANDLER: 0
; COMPUTE_PGM_RSRC2:TGID_X_EN: 1
; COMPUTE_PGM_RSRC2:TGID_Y_EN: 1
; COMPUTE_PGM_RSRC2:TGID_Z_EN: 1
; COMPUTE_PGM_RSRC2:TIDIG_COMP_CNT: 1
	.section	.text._ZN12_GLOBAL__N_127rocblas_gemm_batched_kernelI19rocblas_complex_numIfELi16ELi16ELi32ELi32ELi8ELi32ELi8ELi8ELi32ELc84ELc84EKS2_S3_S2_EEvlllT_PT11_llS6_llS4_PT12_llPT13_lli,"axG",@progbits,_ZN12_GLOBAL__N_127rocblas_gemm_batched_kernelI19rocblas_complex_numIfELi16ELi16ELi32ELi32ELi8ELi32ELi8ELi8ELi32ELc84ELc84EKS2_S3_S2_EEvlllT_PT11_llS6_llS4_PT12_llPT13_lli,comdat
	.globl	_ZN12_GLOBAL__N_127rocblas_gemm_batched_kernelI19rocblas_complex_numIfELi16ELi16ELi32ELi32ELi8ELi32ELi8ELi8ELi32ELc84ELc84EKS2_S3_S2_EEvlllT_PT11_llS6_llS4_PT12_llPT13_lli ; -- Begin function _ZN12_GLOBAL__N_127rocblas_gemm_batched_kernelI19rocblas_complex_numIfELi16ELi16ELi32ELi32ELi8ELi32ELi8ELi8ELi32ELc84ELc84EKS2_S3_S2_EEvlllT_PT11_llS6_llS4_PT12_llPT13_lli
	.p2align	8
	.type	_ZN12_GLOBAL__N_127rocblas_gemm_batched_kernelI19rocblas_complex_numIfELi16ELi16ELi32ELi32ELi8ELi32ELi8ELi8ELi32ELc84ELc84EKS2_S3_S2_EEvlllT_PT11_llS6_llS4_PT12_llPT13_lli,@function
_ZN12_GLOBAL__N_127rocblas_gemm_batched_kernelI19rocblas_complex_numIfELi16ELi16ELi32ELi32ELi8ELi32ELi8ELi8ELi32ELc84ELc84EKS2_S3_S2_EEvlllT_PT11_llS6_llS4_PT12_llPT13_lli: ; @_ZN12_GLOBAL__N_127rocblas_gemm_batched_kernelI19rocblas_complex_numIfELi16ELi16ELi32ELi32ELi8ELi32ELi8ELi8ELi32ELc84ELc84EKS2_S3_S2_EEvlllT_PT11_llS6_llS4_PT12_llPT13_lli
; %bb.0:
	s_clause 0x1
	s_load_dwordx16 s[12:27], s[4:5], 0x10
	s_load_dwordx2 s[10:11], s[4:5], 0x50
	s_mov_b32 s0, s7
	v_mov_b32_e32 v12, 0
	v_mov_b32_e32 v13, 0
	;; [unrolled: 1-line block ×8, first 2 shown]
	s_ashr_i32 s7, s6, 31
	s_ashr_i32 s1, s0, 31
	s_lshl_b64 s[28:29], s[6:7], 5
	s_lshl_b64 s[30:31], s[0:1], 5
	s_waitcnt lgkmcnt(0)
	v_cmp_lt_i64_e64 s2, s[12:13], 1
	s_and_b32 vcc_lo, exec_lo, s2
	s_cbranch_vccnz .LBB513_3
; %bb.1:
	v_lshl_add_u32 v7, v1, 4, v0
	v_and_b32_e32 v8, 7, v0
	s_mul_i32 s1, s21, s8
	s_mul_hi_u32 s2, s20, s8
	s_mul_hi_u32 s3, s26, s8
	v_lshrrev_b32_e32 v9, 3, v7
	v_and_b32_e32 v10, 31, v7
	v_lshlrev_b32_e32 v13, 3, v8
	v_lshrrev_b32_e32 v18, 5, v7
	s_add_i32 s1, s2, s1
	v_add_co_u32 v2, s0, v9, s30
	v_add_co_ci_u32_e64 v3, null, 0, s31, s0
	v_add_co_u32 v4, s0, s28, v10
	v_add_co_ci_u32_e64 v5, null, s29, 0, s0
	v_mad_u64_u32 v[2:3], null, s24, v8, v[2:3]
	v_mul_lo_u32 v11, s19, v4
	v_mul_lo_u32 v12, s18, v5
	v_mad_u64_u32 v[4:5], null, s18, v4, 0
	s_mul_i32 s0, s20, s8
	s_mul_i32 s2, s27, s8
	s_lshl_b64 s[0:1], s[0:1], 3
	v_lshlrev_b32_e32 v10, 3, v10
	v_mov_b32_e32 v6, 0
	v_lshlrev_b32_e32 v14, 3, v0
	v_add3_u32 v5, v5, v12, v11
	v_mad_u64_u32 v[7:8], null, s25, v8, v[3:4]
	v_lshl_or_b32 v3, v9, 6, v13
	v_lshl_add_u32 v15, v1, 6, 0x800
	v_lshlrev_b64 v[4:5], 3, v[4:5]
	v_lshl_or_b32 v16, v18, 8, v10
	v_mov_b32_e32 v9, 0
	v_add_nc_u32_e32 v17, 0x800, v3
	v_mov_b32_e32 v3, v7
	v_lshlrev_b32_e32 v7, 3, v18
	v_add_co_u32 v4, vcc_lo, v4, s0
	v_add_co_ci_u32_e64 v5, null, s1, v5, vcc_lo
	s_add_i32 s1, s3, s2
	v_add_co_u32 v7, vcc_lo, v4, v7
	s_mul_i32 s0, s26, s8
	v_add_co_ci_u32_e64 v8, null, 0, v5, vcc_lo
	v_lshlrev_b64 v[4:5], 3, v[2:3]
	s_lshl_b64 s[0:1], s[0:1], 3
	v_add_co_u32 v2, vcc_lo, s16, v7
	s_add_u32 s0, s22, s0
	v_add_co_ci_u32_e64 v3, null, s17, v8, vcc_lo
	s_addc_u32 s1, s23, s1
	v_add_co_u32 v4, vcc_lo, s0, v4
	v_add_co_ci_u32_e64 v5, null, s1, v5, vcc_lo
	v_mov_b32_e32 v7, 0
	v_mov_b32_e32 v8, 0
	;; [unrolled: 1-line block ×6, first 2 shown]
	s_lshl_b64 s[0:1], s[24:25], 6
	s_mov_b64 s[2:3], 0
.LBB513_2:                              ; =>This Inner Loop Header: Depth=1
	global_load_dwordx2 v[18:19], v[2:3], off
	global_load_dwordx2 v[20:21], v[4:5], off
	s_add_u32 s2, s2, 8
	s_addc_u32 s3, s3, 0
	v_add_co_u32 v2, vcc_lo, v2, 64
	v_cmp_lt_i64_e64 s6, s[2:3], s[12:13]
	v_add_co_ci_u32_e64 v3, null, 0, v3, vcc_lo
	v_add_co_u32 v4, vcc_lo, v4, s0
	v_add_co_ci_u32_e64 v5, null, s1, v5, vcc_lo
	s_and_b32 vcc_lo, exec_lo, s6
	s_waitcnt vmcnt(1)
	ds_write_b64 v16, v[18:19]
	s_waitcnt vmcnt(0)
	ds_write_b64 v17, v[20:21]
	s_waitcnt lgkmcnt(0)
	s_barrier
	buffer_gl0_inv
	ds_read_b128 v[18:21], v15
	ds_read2_b64 v[22:25], v14 offset1:16
	ds_read_b128 v[26:29], v15 offset:1024
	ds_read2_b64 v[30:33], v14 offset0:32 offset1:48
	ds_read_b128 v[34:37], v15 offset:16
	ds_read2_b64 v[38:41], v14 offset0:64 offset1:80
	;; [unrolled: 2-line block ×3, first 2 shown]
	ds_read2_b64 v[50:53], v14 offset0:128 offset1:144
	ds_read2_b64 v[54:57], v14 offset0:160 offset1:176
	ds_read_b128 v[58:61], v15 offset:32
	ds_read_b128 v[62:65], v15 offset:48
	ds_read2_b64 v[66:69], v14 offset0:192 offset1:208
	ds_read_b128 v[70:73], v15 offset:1056
	ds_read_b128 v[74:77], v15 offset:1072
	ds_read2_b64 v[78:81], v14 offset0:224 offset1:240
	s_waitcnt lgkmcnt(0)
	s_barrier
	buffer_gl0_inv
	v_mul_f32_e32 v82, v19, v23
	v_mul_f32_e32 v83, v18, v23
	;; [unrolled: 1-line block ×12, first 2 shown]
	v_fma_f32 v82, v18, v22, -v82
	v_fmac_f32_e32 v83, v19, v22
	v_fma_f32 v18, v18, v24, -v84
	v_fmac_f32_e32 v85, v19, v24
	;; [unrolled: 2-line block ×4, first 2 shown]
	v_mul_f32_e32 v24, v29, v31
	v_mul_f32_e32 v26, v28, v31
	v_mul_f32_e32 v27, v29, v33
	v_mul_f32_e32 v31, v28, v33
	v_fma_f32 v33, v20, v30, -v88
	v_fmac_f32_e32 v89, v21, v30
	v_fma_f32 v20, v20, v32, -v90
	v_fmac_f32_e32 v91, v21, v32
	v_mul_f32_e32 v21, v35, v39
	v_mul_f32_e32 v84, v34, v39
	v_mul_f32_e32 v86, v35, v41
	v_mul_f32_e32 v87, v34, v41
	v_fma_f32 v24, v28, v30, -v24
	v_fmac_f32_e32 v26, v29, v30
	v_fma_f32 v27, v28, v32, -v27
	v_fmac_f32_e32 v31, v29, v32
	v_mul_f32_e32 v28, v43, v39
	v_mul_f32_e32 v29, v42, v39
	v_mul_f32_e32 v30, v43, v41
	v_mul_f32_e32 v32, v42, v41
	v_add_f32_e32 v12, v12, v82
	v_add_f32_e32 v13, v13, v83
	v_add_f32_e32 v10, v10, v18
	v_add_f32_e32 v11, v11, v85
	v_add_f32_e32 v8, v8, v19
	v_add_f32_e32 v9, v9, v23
	v_add_f32_e32 v7, v7, v22
	v_add_f32_e32 v6, v6, v25
	v_mul_f32_e32 v39, v37, v47
	v_mul_f32_e32 v41, v36, v47
	v_mul_f32_e32 v88, v37, v49
	v_mul_f32_e32 v90, v36, v49
	v_fma_f32 v21, v34, v38, -v21
	v_fmac_f32_e32 v84, v35, v38
	v_fma_f32 v34, v34, v40, -v86
	v_fmac_f32_e32 v87, v35, v40
	v_fma_f32 v28, v42, v38, -v28
	v_fmac_f32_e32 v29, v43, v38
	v_fma_f32 v30, v42, v40, -v30
	v_fmac_f32_e32 v32, v43, v40
	v_mul_f32_e32 v35, v45, v47
	v_mul_f32_e32 v38, v44, v47
	v_mul_f32_e32 v40, v45, v49
	v_mul_f32_e32 v42, v44, v49
	v_add_f32_e32 v12, v12, v33
	v_add_f32_e32 v13, v13, v89
	v_add_f32_e32 v10, v10, v20
	v_add_f32_e32 v11, v11, v91
	v_add_f32_e32 v8, v8, v24
	v_add_f32_e32 v9, v9, v26
	v_add_f32_e32 v7, v7, v27
	v_add_f32_e32 v6, v6, v31
	v_fma_f32 v39, v36, v46, -v39
	v_fmac_f32_e32 v41, v37, v46
	v_fma_f32 v36, v36, v48, -v88
	v_fmac_f32_e32 v90, v37, v48
	v_mul_f32_e32 v37, v59, v51
	v_mul_f32_e32 v43, v58, v51
	v_mul_f32_e32 v47, v59, v53
	v_mul_f32_e32 v49, v58, v53
	v_fma_f32 v35, v44, v46, -v35
	v_fmac_f32_e32 v38, v45, v46
	v_fma_f32 v40, v44, v48, -v40
	v_fmac_f32_e32 v42, v45, v48
	v_mul_f32_e32 v44, v71, v51
	v_mul_f32_e32 v45, v70, v51
	v_mul_f32_e32 v46, v71, v53
	v_mul_f32_e32 v48, v70, v53
	v_add_f32_e32 v12, v12, v21
	v_add_f32_e32 v13, v13, v84
	v_add_f32_e32 v10, v10, v34
	v_add_f32_e32 v11, v11, v87
	v_add_f32_e32 v8, v8, v28
	v_add_f32_e32 v9, v9, v29
	v_add_f32_e32 v7, v7, v30
	v_add_f32_e32 v6, v6, v32
	v_mul_f32_e32 v51, v61, v55
	v_mul_f32_e32 v53, v60, v55
	v_mul_f32_e32 v86, v61, v57
	v_mul_f32_e32 v88, v60, v57
	v_fma_f32 v37, v58, v50, -v37
	v_fmac_f32_e32 v43, v59, v50
	v_fma_f32 v47, v58, v52, -v47
	v_fmac_f32_e32 v49, v59, v52
	v_fma_f32 v44, v70, v50, -v44
	v_fmac_f32_e32 v45, v71, v50
	v_fma_f32 v46, v70, v52, -v46
	v_fmac_f32_e32 v48, v71, v52
	v_mul_f32_e32 v50, v73, v55
	v_mul_f32_e32 v52, v72, v55
	v_mul_f32_e32 v55, v73, v57
	v_mul_f32_e32 v57, v72, v57
	v_add_f32_e32 v12, v12, v39
	v_add_f32_e32 v13, v13, v41
	v_add_f32_e32 v10, v10, v36
	v_add_f32_e32 v11, v11, v90
	v_add_f32_e32 v8, v8, v35
	v_add_f32_e32 v9, v9, v38
	v_add_f32_e32 v7, v7, v40
	v_add_f32_e32 v6, v6, v42
	;; [unrolled: 48-line block ×3, first 2 shown]
	v_fma_f32 v71, v64, v78, -v71
	v_fmac_f32_e32 v72, v65, v78
	v_fma_f32 v64, v64, v80, -v73
	v_fmac_f32_e32 v86, v65, v80
	;; [unrolled: 2-line block ×4, first 2 shown]
	v_add_f32_e32 v12, v12, v59
	v_add_f32_e32 v13, v13, v60
	;; [unrolled: 1-line block ×16, first 2 shown]
	s_cbranch_vccnz .LBB513_2
.LBB513_3:
	s_clause 0x1
	s_load_dwordx4 s[16:19], s[4:5], 0x78
	s_load_dwordx8 s[0:7], s[4:5], 0x58
	s_waitcnt lgkmcnt(0)
	s_mul_i32 s9, s19, s8
	s_mul_hi_u32 s13, s18, s8
	s_mul_i32 s12, s18, s8
	s_add_i32 s13, s13, s9
	s_lshl_b64 s[12:13], s[12:13], 3
	s_add_u32 s6, s6, s12
	v_add_co_u32 v4, s12, s30, v1
	v_add_co_ci_u32_e64 v5, null, s31, 0, s12
	v_add_co_u32 v0, s12, s28, v0
	s_addc_u32 s7, s7, s13
	s_or_b32 s9, s10, s11
	v_add_co_ci_u32_e64 v1, null, s29, 0, s12
	s_bitset0_b32 s9, 31
	s_cmp_lg_u32 s9, 0
	s_mov_b32 s9, 0
	s_cbranch_scc1 .LBB513_5
; %bb.4:
	v_mul_lo_u32 v14, v5, s16
	v_mul_lo_u32 v15, v4, s17
	v_mad_u64_u32 v[2:3], null, v4, s16, 0
	v_lshlrev_b64 v[17:18], 3, v[0:1]
	s_lshl_b64 s[12:13], s[16:17], 7
	v_mul_f32_e32 v19, s15, v13
	v_mul_f32_e32 v16, s14, v13
	v_mul_f32_e32 v20, s14, v11
	v_mul_f32_e32 v23, s15, v9
	v_add3_u32 v3, v3, v15, v14
	v_mul_f32_e32 v14, s15, v11
	v_fma_f32 v15, v12, s14, -v19
	v_mul_f32_e32 v24, s14, v9
	v_mul_f32_e32 v25, s15, v6
	v_lshlrev_b64 v[2:3], 3, v[2:3]
	v_fma_f32 v19, v10, s14, -v14
	v_mul_f32_e32 v14, s14, v6
	v_fmac_f32_e32 v16, s15, v12
	v_fmac_f32_e32 v20, s15, v10
	v_fma_f32 v23, v8, s14, -v23
	v_add_co_u32 v2, vcc_lo, s6, v2
	v_add_co_ci_u32_e64 v3, null, s7, v3, vcc_lo
	v_fmac_f32_e32 v14, s15, v7
	v_add_co_u32 v21, vcc_lo, v2, v17
	v_add_co_ci_u32_e64 v22, null, v3, v18, vcc_lo
	v_add_co_u32 v2, vcc_lo, v2, s12
	v_add_co_ci_u32_e64 v3, null, s13, v3, vcc_lo
	v_fmac_f32_e32 v24, s15, v8
	v_add_co_u32 v17, vcc_lo, v2, v17
	v_add_co_ci_u32_e64 v18, null, v3, v18, vcc_lo
	v_fma_f32 v25, v7, s14, -v25
	v_add_co_u32 v2, vcc_lo, 0x80, v17
	v_add_co_ci_u32_e64 v3, null, 0, v18, vcc_lo
	global_store_dwordx2 v[21:22], v[15:16], off
	global_store_dwordx2 v[21:22], v[19:20], off offset:128
	global_store_dwordx2 v[17:18], v[23:24], off
	global_store_dword v[17:18], v25, off offset:128
	s_andn2_b32 vcc_lo, exec_lo, s9
	s_cbranch_vccz .LBB513_6
	s_branch .LBB513_7
.LBB513_5:
                                        ; implicit-def: $vgpr14
                                        ; implicit-def: $vgpr2_vgpr3
.LBB513_6:
	v_mul_lo_u32 v14, v5, s2
	v_mul_lo_u32 v15, v4, s3
	v_mad_u64_u32 v[2:3], null, v4, s2, 0
	s_mul_i32 s5, s5, s8
	s_mul_hi_u32 s9, s4, s8
	s_mul_i32 s4, s4, s8
	s_add_i32 s5, s9, s5
	v_lshlrev_b64 v[0:1], 3, v[0:1]
	s_lshl_b64 s[4:5], s[4:5], 3
	v_add3_u32 v3, v3, v15, v14
	s_add_u32 s0, s0, s4
	s_addc_u32 s1, s1, s5
	v_mul_lo_u32 v18, v5, s16
	v_mul_lo_u32 v19, v4, s17
	v_lshlrev_b64 v[2:3], 3, v[2:3]
	v_mad_u64_u32 v[4:5], null, v4, s16, 0
	v_add_co_u32 v16, vcc_lo, s0, v2
	v_add_co_ci_u32_e64 v17, null, s1, v3, vcc_lo
	v_add3_u32 v5, v5, v19, v18
	v_add_co_u32 v2, vcc_lo, v16, v0
	v_add_co_ci_u32_e64 v3, null, v17, v1, vcc_lo
	v_mul_f32_e32 v18, s15, v13
	v_mul_f32_e32 v13, s14, v13
	v_lshlrev_b64 v[4:5], 3, v[4:5]
	global_load_dwordx2 v[14:15], v[2:3], off
	s_lshl_b64 s[0:1], s[2:3], 7
	v_fma_f32 v18, v12, s14, -v18
	v_fmac_f32_e32 v13, s15, v12
	v_add_co_u32 v19, vcc_lo, s6, v4
	v_add_co_ci_u32_e64 v20, null, s7, v5, vcc_lo
	v_add_co_u32 v4, vcc_lo, v19, v0
	v_add_co_ci_u32_e64 v5, null, v20, v1, vcc_lo
	s_waitcnt vmcnt(0)
	v_mul_f32_e32 v12, s11, v15
	v_mul_f32_e32 v15, s10, v15
	v_fma_f32 v12, v14, s10, -v12
	v_fmac_f32_e32 v15, s11, v14
	v_add_f32_e32 v12, v18, v12
	v_add_f32_e32 v13, v13, v15
	global_store_dwordx2 v[4:5], v[12:13], off
	global_load_dwordx2 v[2:3], v[2:3], off offset:128
	v_mul_f32_e32 v12, s15, v11
	v_mul_f32_e32 v11, s14, v11
	v_fma_f32 v12, v10, s14, -v12
	v_fmac_f32_e32 v11, s15, v10
	s_waitcnt vmcnt(0)
	v_mul_f32_e32 v13, s11, v3
	v_mul_f32_e32 v3, s10, v3
	v_fma_f32 v10, v2, s10, -v13
	v_add_co_u32 v13, vcc_lo, v16, s0
	v_fmac_f32_e32 v3, s11, v2
	v_add_co_ci_u32_e64 v14, null, s1, v17, vcc_lo
	v_add_f32_e32 v2, v12, v10
	v_add_co_u32 v10, vcc_lo, v13, v0
	v_add_f32_e32 v3, v11, v3
	v_add_co_ci_u32_e64 v11, null, v14, v1, vcc_lo
	s_lshl_b64 s[0:1], s[16:17], 7
	global_store_dwordx2 v[4:5], v[2:3], off offset:128
	global_load_dwordx2 v[2:3], v[10:11], off
	v_mul_f32_e32 v4, s15, v9
	v_mul_f32_e32 v5, s14, v9
	v_add_co_u32 v9, vcc_lo, v19, s0
	v_add_co_ci_u32_e64 v12, null, s1, v20, vcc_lo
	v_fma_f32 v4, v8, s14, -v4
	v_fmac_f32_e32 v5, s15, v8
	v_add_co_u32 v0, vcc_lo, v9, v0
	v_add_co_ci_u32_e64 v1, null, v12, v1, vcc_lo
	s_waitcnt vmcnt(0)
	v_mul_f32_e32 v8, s11, v3
	v_mul_f32_e32 v3, s10, v3
	v_fma_f32 v8, v2, s10, -v8
	v_fmac_f32_e32 v3, s11, v2
	v_add_f32_e32 v2, v4, v8
	v_add_f32_e32 v3, v5, v3
	v_mul_f32_e32 v4, s15, v6
	v_mul_f32_e32 v5, s14, v6
	global_store_dwordx2 v[0:1], v[2:3], off
	global_load_dwordx2 v[2:3], v[10:11], off offset:128
	v_fma_f32 v4, v7, s14, -v4
	v_fmac_f32_e32 v5, s15, v7
	s_waitcnt vmcnt(0)
	v_mul_f32_e32 v6, s11, v3
	v_mul_f32_e32 v3, s10, v3
	v_fma_f32 v6, v2, s10, -v6
	v_fmac_f32_e32 v3, s11, v2
	v_add_co_u32 v2, vcc_lo, 0x80, v0
	v_add_f32_e32 v4, v4, v6
	v_add_f32_e32 v14, v5, v3
	v_add_co_ci_u32_e64 v3, null, 0, v1, vcc_lo
	global_store_dword v[0:1], v4, off offset:128
.LBB513_7:
	global_store_dword v[2:3], v14, off offset:4
	s_endpgm
	.section	.rodata,"a",@progbits
	.p2align	6, 0x0
	.amdhsa_kernel _ZN12_GLOBAL__N_127rocblas_gemm_batched_kernelI19rocblas_complex_numIfELi16ELi16ELi32ELi32ELi8ELi32ELi8ELi8ELi32ELc84ELc84EKS2_S3_S2_EEvlllT_PT11_llS6_llS4_PT12_llPT13_lli
		.amdhsa_group_segment_fixed_size 4096
		.amdhsa_private_segment_fixed_size 0
		.amdhsa_kernarg_size 140
		.amdhsa_user_sgpr_count 6
		.amdhsa_user_sgpr_private_segment_buffer 1
		.amdhsa_user_sgpr_dispatch_ptr 0
		.amdhsa_user_sgpr_queue_ptr 0
		.amdhsa_user_sgpr_kernarg_segment_ptr 1
		.amdhsa_user_sgpr_dispatch_id 0
		.amdhsa_user_sgpr_flat_scratch_init 0
		.amdhsa_user_sgpr_private_segment_size 0
		.amdhsa_wavefront_size32 1
		.amdhsa_uses_dynamic_stack 0
		.amdhsa_system_sgpr_private_segment_wavefront_offset 0
		.amdhsa_system_sgpr_workgroup_id_x 1
		.amdhsa_system_sgpr_workgroup_id_y 1
		.amdhsa_system_sgpr_workgroup_id_z 1
		.amdhsa_system_sgpr_workgroup_info 0
		.amdhsa_system_vgpr_workitem_id 1
		.amdhsa_next_free_vgpr 92
		.amdhsa_next_free_sgpr 32
		.amdhsa_reserve_vcc 1
		.amdhsa_reserve_flat_scratch 0
		.amdhsa_float_round_mode_32 0
		.amdhsa_float_round_mode_16_64 0
		.amdhsa_float_denorm_mode_32 3
		.amdhsa_float_denorm_mode_16_64 3
		.amdhsa_dx10_clamp 1
		.amdhsa_ieee_mode 1
		.amdhsa_fp16_overflow 0
		.amdhsa_workgroup_processor_mode 1
		.amdhsa_memory_ordered 1
		.amdhsa_forward_progress 1
		.amdhsa_shared_vgpr_count 0
		.amdhsa_exception_fp_ieee_invalid_op 0
		.amdhsa_exception_fp_denorm_src 0
		.amdhsa_exception_fp_ieee_div_zero 0
		.amdhsa_exception_fp_ieee_overflow 0
		.amdhsa_exception_fp_ieee_underflow 0
		.amdhsa_exception_fp_ieee_inexact 0
		.amdhsa_exception_int_div_zero 0
	.end_amdhsa_kernel
	.section	.text._ZN12_GLOBAL__N_127rocblas_gemm_batched_kernelI19rocblas_complex_numIfELi16ELi16ELi32ELi32ELi8ELi32ELi8ELi8ELi32ELc84ELc84EKS2_S3_S2_EEvlllT_PT11_llS6_llS4_PT12_llPT13_lli,"axG",@progbits,_ZN12_GLOBAL__N_127rocblas_gemm_batched_kernelI19rocblas_complex_numIfELi16ELi16ELi32ELi32ELi8ELi32ELi8ELi8ELi32ELc84ELc84EKS2_S3_S2_EEvlllT_PT11_llS6_llS4_PT12_llPT13_lli,comdat
.Lfunc_end513:
	.size	_ZN12_GLOBAL__N_127rocblas_gemm_batched_kernelI19rocblas_complex_numIfELi16ELi16ELi32ELi32ELi8ELi32ELi8ELi8ELi32ELc84ELc84EKS2_S3_S2_EEvlllT_PT11_llS6_llS4_PT12_llPT13_lli, .Lfunc_end513-_ZN12_GLOBAL__N_127rocblas_gemm_batched_kernelI19rocblas_complex_numIfELi16ELi16ELi32ELi32ELi8ELi32ELi8ELi8ELi32ELc84ELc84EKS2_S3_S2_EEvlllT_PT11_llS6_llS4_PT12_llPT13_lli
                                        ; -- End function
	.set _ZN12_GLOBAL__N_127rocblas_gemm_batched_kernelI19rocblas_complex_numIfELi16ELi16ELi32ELi32ELi8ELi32ELi8ELi8ELi32ELc84ELc84EKS2_S3_S2_EEvlllT_PT11_llS6_llS4_PT12_llPT13_lli.num_vgpr, 92
	.set _ZN12_GLOBAL__N_127rocblas_gemm_batched_kernelI19rocblas_complex_numIfELi16ELi16ELi32ELi32ELi8ELi32ELi8ELi8ELi32ELc84ELc84EKS2_S3_S2_EEvlllT_PT11_llS6_llS4_PT12_llPT13_lli.num_agpr, 0
	.set _ZN12_GLOBAL__N_127rocblas_gemm_batched_kernelI19rocblas_complex_numIfELi16ELi16ELi32ELi32ELi8ELi32ELi8ELi8ELi32ELc84ELc84EKS2_S3_S2_EEvlllT_PT11_llS6_llS4_PT12_llPT13_lli.numbered_sgpr, 32
	.set _ZN12_GLOBAL__N_127rocblas_gemm_batched_kernelI19rocblas_complex_numIfELi16ELi16ELi32ELi32ELi8ELi32ELi8ELi8ELi32ELc84ELc84EKS2_S3_S2_EEvlllT_PT11_llS6_llS4_PT12_llPT13_lli.num_named_barrier, 0
	.set _ZN12_GLOBAL__N_127rocblas_gemm_batched_kernelI19rocblas_complex_numIfELi16ELi16ELi32ELi32ELi8ELi32ELi8ELi8ELi32ELc84ELc84EKS2_S3_S2_EEvlllT_PT11_llS6_llS4_PT12_llPT13_lli.private_seg_size, 0
	.set _ZN12_GLOBAL__N_127rocblas_gemm_batched_kernelI19rocblas_complex_numIfELi16ELi16ELi32ELi32ELi8ELi32ELi8ELi8ELi32ELc84ELc84EKS2_S3_S2_EEvlllT_PT11_llS6_llS4_PT12_llPT13_lli.uses_vcc, 1
	.set _ZN12_GLOBAL__N_127rocblas_gemm_batched_kernelI19rocblas_complex_numIfELi16ELi16ELi32ELi32ELi8ELi32ELi8ELi8ELi32ELc84ELc84EKS2_S3_S2_EEvlllT_PT11_llS6_llS4_PT12_llPT13_lli.uses_flat_scratch, 0
	.set _ZN12_GLOBAL__N_127rocblas_gemm_batched_kernelI19rocblas_complex_numIfELi16ELi16ELi32ELi32ELi8ELi32ELi8ELi8ELi32ELc84ELc84EKS2_S3_S2_EEvlllT_PT11_llS6_llS4_PT12_llPT13_lli.has_dyn_sized_stack, 0
	.set _ZN12_GLOBAL__N_127rocblas_gemm_batched_kernelI19rocblas_complex_numIfELi16ELi16ELi32ELi32ELi8ELi32ELi8ELi8ELi32ELc84ELc84EKS2_S3_S2_EEvlllT_PT11_llS6_llS4_PT12_llPT13_lli.has_recursion, 0
	.set _ZN12_GLOBAL__N_127rocblas_gemm_batched_kernelI19rocblas_complex_numIfELi16ELi16ELi32ELi32ELi8ELi32ELi8ELi8ELi32ELc84ELc84EKS2_S3_S2_EEvlllT_PT11_llS6_llS4_PT12_llPT13_lli.has_indirect_call, 0
	.section	.AMDGPU.csdata,"",@progbits
; Kernel info:
; codeLenInByte = 2492
; TotalNumSgprs: 34
; NumVgprs: 92
; ScratchSize: 0
; MemoryBound: 0
; FloatMode: 240
; IeeeMode: 1
; LDSByteSize: 4096 bytes/workgroup (compile time only)
; SGPRBlocks: 0
; VGPRBlocks: 11
; NumSGPRsForWavesPerEU: 34
; NumVGPRsForWavesPerEU: 92
; Occupancy: 10
; WaveLimiterHint : 1
; COMPUTE_PGM_RSRC2:SCRATCH_EN: 0
; COMPUTE_PGM_RSRC2:USER_SGPR: 6
; COMPUTE_PGM_RSRC2:TRAP_HANDLER: 0
; COMPUTE_PGM_RSRC2:TGID_X_EN: 1
; COMPUTE_PGM_RSRC2:TGID_Y_EN: 1
; COMPUTE_PGM_RSRC2:TGID_Z_EN: 1
; COMPUTE_PGM_RSRC2:TIDIG_COMP_CNT: 1
	.section	.text._ZN12_GLOBAL__N_127rocblas_gemm_batched_kernelI19rocblas_complex_numIfELi16ELi16ELi32ELi32ELi8ELi32ELi8ELi8ELi32ELc67ELc67EKS2_S3_S2_EEvlllT_PT11_llS6_llS4_PT12_llPT13_lli,"axG",@progbits,_ZN12_GLOBAL__N_127rocblas_gemm_batched_kernelI19rocblas_complex_numIfELi16ELi16ELi32ELi32ELi8ELi32ELi8ELi8ELi32ELc67ELc67EKS2_S3_S2_EEvlllT_PT11_llS6_llS4_PT12_llPT13_lli,comdat
	.globl	_ZN12_GLOBAL__N_127rocblas_gemm_batched_kernelI19rocblas_complex_numIfELi16ELi16ELi32ELi32ELi8ELi32ELi8ELi8ELi32ELc67ELc67EKS2_S3_S2_EEvlllT_PT11_llS6_llS4_PT12_llPT13_lli ; -- Begin function _ZN12_GLOBAL__N_127rocblas_gemm_batched_kernelI19rocblas_complex_numIfELi16ELi16ELi32ELi32ELi8ELi32ELi8ELi8ELi32ELc67ELc67EKS2_S3_S2_EEvlllT_PT11_llS6_llS4_PT12_llPT13_lli
	.p2align	8
	.type	_ZN12_GLOBAL__N_127rocblas_gemm_batched_kernelI19rocblas_complex_numIfELi16ELi16ELi32ELi32ELi8ELi32ELi8ELi8ELi32ELc67ELc67EKS2_S3_S2_EEvlllT_PT11_llS6_llS4_PT12_llPT13_lli,@function
_ZN12_GLOBAL__N_127rocblas_gemm_batched_kernelI19rocblas_complex_numIfELi16ELi16ELi32ELi32ELi8ELi32ELi8ELi8ELi32ELc67ELc67EKS2_S3_S2_EEvlllT_PT11_llS6_llS4_PT12_llPT13_lli: ; @_ZN12_GLOBAL__N_127rocblas_gemm_batched_kernelI19rocblas_complex_numIfELi16ELi16ELi32ELi32ELi8ELi32ELi8ELi8ELi32ELc67ELc67EKS2_S3_S2_EEvlllT_PT11_llS6_llS4_PT12_llPT13_lli
; %bb.0:
	s_clause 0x1
	s_load_dwordx16 s[12:27], s[4:5], 0x10
	s_load_dwordx2 s[10:11], s[4:5], 0x50
	s_mov_b32 s0, s7
	v_mov_b32_e32 v12, 0
	v_mov_b32_e32 v13, 0
	;; [unrolled: 1-line block ×8, first 2 shown]
	s_ashr_i32 s7, s6, 31
	s_ashr_i32 s1, s0, 31
	s_lshl_b64 s[28:29], s[6:7], 5
	s_lshl_b64 s[30:31], s[0:1], 5
	s_waitcnt lgkmcnt(0)
	v_cmp_lt_i64_e64 s2, s[12:13], 1
	s_and_b32 vcc_lo, exec_lo, s2
	s_cbranch_vccnz .LBB514_3
; %bb.1:
	v_lshl_add_u32 v7, v1, 4, v0
	v_and_b32_e32 v8, 7, v0
	s_mul_i32 s1, s21, s8
	s_mul_hi_u32 s2, s20, s8
	s_mul_hi_u32 s3, s26, s8
	v_lshrrev_b32_e32 v9, 3, v7
	v_and_b32_e32 v10, 31, v7
	v_lshlrev_b32_e32 v13, 3, v8
	v_lshrrev_b32_e32 v18, 5, v7
	s_add_i32 s1, s2, s1
	v_add_co_u32 v2, s0, v9, s30
	v_add_co_ci_u32_e64 v3, null, 0, s31, s0
	v_add_co_u32 v4, s0, s28, v10
	v_add_co_ci_u32_e64 v5, null, s29, 0, s0
	v_mad_u64_u32 v[2:3], null, s24, v8, v[2:3]
	v_mul_lo_u32 v11, s19, v4
	v_mul_lo_u32 v12, s18, v5
	v_mad_u64_u32 v[4:5], null, s18, v4, 0
	s_mul_i32 s0, s20, s8
	s_mul_i32 s2, s27, s8
	s_lshl_b64 s[0:1], s[0:1], 3
	s_add_i32 s3, s3, s2
	s_mul_i32 s2, s26, s8
	v_lshlrev_b32_e32 v10, 3, v10
	v_mad_u64_u32 v[7:8], null, s25, v8, v[3:4]
	v_add3_u32 v5, v5, v12, v11
	v_lshl_or_b32 v3, v9, 6, v13
	v_mov_b32_e32 v6, 0
	v_lshlrev_b32_e32 v14, 3, v0
	v_lshl_add_u32 v15, v1, 6, 0x800
	v_lshlrev_b64 v[4:5], 3, v[4:5]
	v_add_nc_u32_e32 v17, 0x800, v3
	v_mov_b32_e32 v3, v7
	v_lshlrev_b32_e32 v7, 3, v18
	v_lshl_or_b32 v16, v18, 8, v10
	v_mov_b32_e32 v9, 0
	v_add_co_u32 v4, vcc_lo, v4, s0
	v_lshlrev_b64 v[2:3], 3, v[2:3]
	v_add_co_ci_u32_e64 v5, null, s1, v5, vcc_lo
	s_lshl_b64 s[0:1], s[2:3], 3
	v_add_co_u32 v4, vcc_lo, v4, v7
	s_add_u32 s0, s22, s0
	v_add_co_ci_u32_e64 v5, null, 0, v5, vcc_lo
	s_addc_u32 s1, s23, s1
	v_add_co_u32 v7, vcc_lo, s0, v2
	v_add_co_ci_u32_e64 v8, null, s1, v3, vcc_lo
	v_add_co_u32 v2, vcc_lo, s16, v4
	v_add_co_ci_u32_e64 v3, null, s17, v5, vcc_lo
	v_add_co_u32 v4, vcc_lo, v7, 4
	v_add_co_ci_u32_e64 v5, null, 0, v8, vcc_lo
	v_mov_b32_e32 v7, 0
	v_mov_b32_e32 v8, 0
	;; [unrolled: 1-line block ×6, first 2 shown]
	s_lshl_b64 s[0:1], s[24:25], 6
	s_mov_b64 s[2:3], 0
.LBB514_2:                              ; =>This Inner Loop Header: Depth=1
	global_load_dwordx2 v[18:19], v[2:3], off
	global_load_dwordx2 v[20:21], v[4:5], off offset:-4
	s_add_u32 s2, s2, 8
	s_addc_u32 s3, s3, 0
	v_add_co_u32 v2, vcc_lo, v2, 64
	v_cmp_lt_i64_e64 s6, s[2:3], s[12:13]
	v_add_co_ci_u32_e64 v3, null, 0, v3, vcc_lo
	v_add_co_u32 v4, vcc_lo, v4, s0
	v_add_co_ci_u32_e64 v5, null, s1, v5, vcc_lo
	s_and_b32 vcc_lo, exec_lo, s6
	s_waitcnt vmcnt(1)
	v_xor_b32_e32 v19, 0x80000000, v19
	s_waitcnt vmcnt(0)
	v_xor_b32_e32 v21, 0x80000000, v21
	ds_write_b64 v16, v[18:19]
	ds_write_b64 v17, v[20:21]
	s_waitcnt lgkmcnt(0)
	s_barrier
	buffer_gl0_inv
	ds_read_b128 v[18:21], v15
	ds_read2_b64 v[22:25], v14 offset1:16
	ds_read_b128 v[26:29], v15 offset:1024
	ds_read2_b64 v[30:33], v14 offset0:32 offset1:48
	ds_read_b128 v[34:37], v15 offset:16
	ds_read2_b64 v[38:41], v14 offset0:64 offset1:80
	;; [unrolled: 2-line block ×3, first 2 shown]
	ds_read2_b64 v[50:53], v14 offset0:128 offset1:144
	ds_read2_b64 v[54:57], v14 offset0:160 offset1:176
	ds_read_b128 v[58:61], v15 offset:32
	ds_read_b128 v[62:65], v15 offset:48
	ds_read2_b64 v[66:69], v14 offset0:192 offset1:208
	ds_read_b128 v[70:73], v15 offset:1056
	ds_read_b128 v[74:77], v15 offset:1072
	ds_read2_b64 v[78:81], v14 offset0:224 offset1:240
	s_waitcnt lgkmcnt(0)
	s_barrier
	buffer_gl0_inv
	v_mul_f32_e32 v82, v19, v23
	v_mul_f32_e32 v83, v18, v23
	;; [unrolled: 1-line block ×12, first 2 shown]
	v_fma_f32 v82, v18, v22, -v82
	v_fmac_f32_e32 v83, v19, v22
	v_fma_f32 v18, v18, v24, -v84
	v_fmac_f32_e32 v85, v19, v24
	;; [unrolled: 2-line block ×4, first 2 shown]
	v_mul_f32_e32 v24, v29, v31
	v_mul_f32_e32 v26, v28, v31
	;; [unrolled: 1-line block ×4, first 2 shown]
	v_fma_f32 v33, v20, v30, -v88
	v_fmac_f32_e32 v89, v21, v30
	v_fma_f32 v20, v20, v32, -v90
	v_fmac_f32_e32 v91, v21, v32
	v_mul_f32_e32 v21, v35, v39
	v_mul_f32_e32 v84, v34, v39
	v_mul_f32_e32 v86, v35, v41
	v_mul_f32_e32 v87, v34, v41
	v_fma_f32 v24, v28, v30, -v24
	v_fmac_f32_e32 v26, v29, v30
	v_fma_f32 v27, v28, v32, -v27
	v_fmac_f32_e32 v31, v29, v32
	v_mul_f32_e32 v28, v43, v39
	v_mul_f32_e32 v29, v42, v39
	v_mul_f32_e32 v30, v43, v41
	v_mul_f32_e32 v32, v42, v41
	v_add_f32_e32 v12, v12, v82
	v_add_f32_e32 v13, v13, v83
	v_add_f32_e32 v10, v10, v18
	v_add_f32_e32 v11, v11, v85
	v_add_f32_e32 v8, v8, v19
	v_add_f32_e32 v9, v9, v23
	v_add_f32_e32 v7, v7, v22
	v_add_f32_e32 v6, v6, v25
	v_mul_f32_e32 v39, v37, v47
	v_mul_f32_e32 v41, v36, v47
	v_mul_f32_e32 v88, v37, v49
	v_mul_f32_e32 v90, v36, v49
	v_fma_f32 v21, v34, v38, -v21
	v_fmac_f32_e32 v84, v35, v38
	v_fma_f32 v34, v34, v40, -v86
	v_fmac_f32_e32 v87, v35, v40
	v_fma_f32 v28, v42, v38, -v28
	v_fmac_f32_e32 v29, v43, v38
	v_fma_f32 v30, v42, v40, -v30
	v_fmac_f32_e32 v32, v43, v40
	v_mul_f32_e32 v35, v45, v47
	v_mul_f32_e32 v38, v44, v47
	v_mul_f32_e32 v40, v45, v49
	v_mul_f32_e32 v42, v44, v49
	v_add_f32_e32 v12, v12, v33
	v_add_f32_e32 v13, v13, v89
	v_add_f32_e32 v10, v10, v20
	v_add_f32_e32 v11, v11, v91
	v_add_f32_e32 v8, v8, v24
	v_add_f32_e32 v9, v9, v26
	v_add_f32_e32 v7, v7, v27
	v_add_f32_e32 v6, v6, v31
	v_fma_f32 v39, v36, v46, -v39
	v_fmac_f32_e32 v41, v37, v46
	v_fma_f32 v36, v36, v48, -v88
	v_fmac_f32_e32 v90, v37, v48
	v_mul_f32_e32 v37, v59, v51
	v_mul_f32_e32 v43, v58, v51
	v_mul_f32_e32 v47, v59, v53
	v_mul_f32_e32 v49, v58, v53
	v_fma_f32 v35, v44, v46, -v35
	v_fmac_f32_e32 v38, v45, v46
	v_fma_f32 v40, v44, v48, -v40
	v_fmac_f32_e32 v42, v45, v48
	v_mul_f32_e32 v44, v71, v51
	v_mul_f32_e32 v45, v70, v51
	v_mul_f32_e32 v46, v71, v53
	v_mul_f32_e32 v48, v70, v53
	v_add_f32_e32 v12, v12, v21
	v_add_f32_e32 v13, v13, v84
	v_add_f32_e32 v10, v10, v34
	v_add_f32_e32 v11, v11, v87
	v_add_f32_e32 v8, v8, v28
	v_add_f32_e32 v9, v9, v29
	v_add_f32_e32 v7, v7, v30
	v_add_f32_e32 v6, v6, v32
	v_mul_f32_e32 v51, v61, v55
	v_mul_f32_e32 v53, v60, v55
	v_mul_f32_e32 v86, v61, v57
	v_mul_f32_e32 v88, v60, v57
	v_fma_f32 v37, v58, v50, -v37
	v_fmac_f32_e32 v43, v59, v50
	v_fma_f32 v47, v58, v52, -v47
	v_fmac_f32_e32 v49, v59, v52
	v_fma_f32 v44, v70, v50, -v44
	v_fmac_f32_e32 v45, v71, v50
	v_fma_f32 v46, v70, v52, -v46
	v_fmac_f32_e32 v48, v71, v52
	v_mul_f32_e32 v50, v73, v55
	v_mul_f32_e32 v52, v72, v55
	v_mul_f32_e32 v55, v73, v57
	v_mul_f32_e32 v57, v72, v57
	v_add_f32_e32 v12, v12, v39
	v_add_f32_e32 v13, v13, v41
	v_add_f32_e32 v10, v10, v36
	v_add_f32_e32 v11, v11, v90
	v_add_f32_e32 v8, v8, v35
	v_add_f32_e32 v9, v9, v38
	v_add_f32_e32 v7, v7, v40
	v_add_f32_e32 v6, v6, v42
	;; [unrolled: 48-line block ×3, first 2 shown]
	v_fma_f32 v71, v64, v78, -v71
	v_fmac_f32_e32 v72, v65, v78
	v_fma_f32 v64, v64, v80, -v73
	v_fmac_f32_e32 v86, v65, v80
	;; [unrolled: 2-line block ×4, first 2 shown]
	v_add_f32_e32 v12, v12, v59
	v_add_f32_e32 v13, v13, v60
	;; [unrolled: 1-line block ×16, first 2 shown]
	s_cbranch_vccnz .LBB514_2
.LBB514_3:
	s_clause 0x1
	s_load_dwordx4 s[16:19], s[4:5], 0x78
	s_load_dwordx8 s[0:7], s[4:5], 0x58
	s_waitcnt lgkmcnt(0)
	s_mul_i32 s9, s19, s8
	s_mul_hi_u32 s13, s18, s8
	s_mul_i32 s12, s18, s8
	s_add_i32 s13, s13, s9
	s_lshl_b64 s[12:13], s[12:13], 3
	s_add_u32 s6, s6, s12
	v_add_co_u32 v4, s12, s30, v1
	v_add_co_ci_u32_e64 v5, null, s31, 0, s12
	v_add_co_u32 v0, s12, s28, v0
	s_addc_u32 s7, s7, s13
	s_or_b32 s9, s10, s11
	v_add_co_ci_u32_e64 v1, null, s29, 0, s12
	s_bitset0_b32 s9, 31
	s_cmp_lg_u32 s9, 0
	s_mov_b32 s9, 0
	s_cbranch_scc1 .LBB514_5
; %bb.4:
	v_mul_lo_u32 v14, v5, s16
	v_mul_lo_u32 v15, v4, s17
	v_mad_u64_u32 v[2:3], null, v4, s16, 0
	v_lshlrev_b64 v[17:18], 3, v[0:1]
	s_lshl_b64 s[12:13], s[16:17], 7
	v_mul_f32_e32 v19, s15, v13
	v_mul_f32_e32 v16, s14, v13
	;; [unrolled: 1-line block ×4, first 2 shown]
	v_add3_u32 v3, v3, v15, v14
	v_mul_f32_e32 v14, s15, v11
	v_fma_f32 v15, v12, s14, -v19
	v_mul_f32_e32 v24, s14, v9
	v_mul_f32_e32 v25, s15, v6
	v_lshlrev_b64 v[2:3], 3, v[2:3]
	v_fma_f32 v19, v10, s14, -v14
	v_mul_f32_e32 v14, s14, v6
	v_fmac_f32_e32 v16, s15, v12
	v_fmac_f32_e32 v20, s15, v10
	v_fma_f32 v23, v8, s14, -v23
	v_add_co_u32 v2, vcc_lo, s6, v2
	v_add_co_ci_u32_e64 v3, null, s7, v3, vcc_lo
	v_fmac_f32_e32 v14, s15, v7
	v_add_co_u32 v21, vcc_lo, v2, v17
	v_add_co_ci_u32_e64 v22, null, v3, v18, vcc_lo
	v_add_co_u32 v2, vcc_lo, v2, s12
	v_add_co_ci_u32_e64 v3, null, s13, v3, vcc_lo
	v_fmac_f32_e32 v24, s15, v8
	v_add_co_u32 v17, vcc_lo, v2, v17
	v_add_co_ci_u32_e64 v18, null, v3, v18, vcc_lo
	v_fma_f32 v25, v7, s14, -v25
	v_add_co_u32 v2, vcc_lo, 0x80, v17
	v_add_co_ci_u32_e64 v3, null, 0, v18, vcc_lo
	global_store_dwordx2 v[21:22], v[15:16], off
	global_store_dwordx2 v[21:22], v[19:20], off offset:128
	global_store_dwordx2 v[17:18], v[23:24], off
	global_store_dword v[17:18], v25, off offset:128
	s_andn2_b32 vcc_lo, exec_lo, s9
	s_cbranch_vccz .LBB514_6
	s_branch .LBB514_7
.LBB514_5:
                                        ; implicit-def: $vgpr14
                                        ; implicit-def: $vgpr2_vgpr3
.LBB514_6:
	v_mul_lo_u32 v14, v5, s2
	v_mul_lo_u32 v15, v4, s3
	v_mad_u64_u32 v[2:3], null, v4, s2, 0
	s_mul_i32 s5, s5, s8
	s_mul_hi_u32 s9, s4, s8
	s_mul_i32 s4, s4, s8
	s_add_i32 s5, s9, s5
	v_lshlrev_b64 v[0:1], 3, v[0:1]
	s_lshl_b64 s[4:5], s[4:5], 3
	v_add3_u32 v3, v3, v15, v14
	s_add_u32 s0, s0, s4
	s_addc_u32 s1, s1, s5
	v_mul_lo_u32 v18, v5, s16
	v_mul_lo_u32 v19, v4, s17
	v_lshlrev_b64 v[2:3], 3, v[2:3]
	v_mad_u64_u32 v[4:5], null, v4, s16, 0
	v_add_co_u32 v16, vcc_lo, s0, v2
	v_add_co_ci_u32_e64 v17, null, s1, v3, vcc_lo
	v_add3_u32 v5, v5, v19, v18
	v_add_co_u32 v2, vcc_lo, v16, v0
	v_add_co_ci_u32_e64 v3, null, v17, v1, vcc_lo
	v_mul_f32_e32 v18, s15, v13
	v_mul_f32_e32 v13, s14, v13
	v_lshlrev_b64 v[4:5], 3, v[4:5]
	global_load_dwordx2 v[14:15], v[2:3], off
	s_lshl_b64 s[0:1], s[2:3], 7
	v_fma_f32 v18, v12, s14, -v18
	v_fmac_f32_e32 v13, s15, v12
	v_add_co_u32 v19, vcc_lo, s6, v4
	v_add_co_ci_u32_e64 v20, null, s7, v5, vcc_lo
	v_add_co_u32 v4, vcc_lo, v19, v0
	v_add_co_ci_u32_e64 v5, null, v20, v1, vcc_lo
	s_waitcnt vmcnt(0)
	v_mul_f32_e32 v12, s11, v15
	v_mul_f32_e32 v15, s10, v15
	v_fma_f32 v12, v14, s10, -v12
	v_fmac_f32_e32 v15, s11, v14
	v_add_f32_e32 v12, v18, v12
	v_add_f32_e32 v13, v13, v15
	global_store_dwordx2 v[4:5], v[12:13], off
	global_load_dwordx2 v[2:3], v[2:3], off offset:128
	v_mul_f32_e32 v12, s15, v11
	v_mul_f32_e32 v11, s14, v11
	v_fma_f32 v12, v10, s14, -v12
	v_fmac_f32_e32 v11, s15, v10
	s_waitcnt vmcnt(0)
	v_mul_f32_e32 v13, s11, v3
	v_mul_f32_e32 v3, s10, v3
	v_fma_f32 v10, v2, s10, -v13
	v_add_co_u32 v13, vcc_lo, v16, s0
	v_fmac_f32_e32 v3, s11, v2
	v_add_co_ci_u32_e64 v14, null, s1, v17, vcc_lo
	v_add_f32_e32 v2, v12, v10
	v_add_co_u32 v10, vcc_lo, v13, v0
	v_add_f32_e32 v3, v11, v3
	v_add_co_ci_u32_e64 v11, null, v14, v1, vcc_lo
	s_lshl_b64 s[0:1], s[16:17], 7
	global_store_dwordx2 v[4:5], v[2:3], off offset:128
	global_load_dwordx2 v[2:3], v[10:11], off
	v_mul_f32_e32 v4, s15, v9
	v_mul_f32_e32 v5, s14, v9
	v_add_co_u32 v9, vcc_lo, v19, s0
	v_add_co_ci_u32_e64 v12, null, s1, v20, vcc_lo
	v_fma_f32 v4, v8, s14, -v4
	v_fmac_f32_e32 v5, s15, v8
	v_add_co_u32 v0, vcc_lo, v9, v0
	v_add_co_ci_u32_e64 v1, null, v12, v1, vcc_lo
	s_waitcnt vmcnt(0)
	v_mul_f32_e32 v8, s11, v3
	v_mul_f32_e32 v3, s10, v3
	v_fma_f32 v8, v2, s10, -v8
	v_fmac_f32_e32 v3, s11, v2
	v_add_f32_e32 v2, v4, v8
	v_add_f32_e32 v3, v5, v3
	v_mul_f32_e32 v4, s15, v6
	v_mul_f32_e32 v5, s14, v6
	global_store_dwordx2 v[0:1], v[2:3], off
	global_load_dwordx2 v[2:3], v[10:11], off offset:128
	v_fma_f32 v4, v7, s14, -v4
	v_fmac_f32_e32 v5, s15, v7
	s_waitcnt vmcnt(0)
	v_mul_f32_e32 v6, s11, v3
	v_mul_f32_e32 v3, s10, v3
	v_fma_f32 v6, v2, s10, -v6
	v_fmac_f32_e32 v3, s11, v2
	v_add_co_u32 v2, vcc_lo, 0x80, v0
	v_add_f32_e32 v4, v4, v6
	v_add_f32_e32 v14, v5, v3
	v_add_co_ci_u32_e64 v3, null, 0, v1, vcc_lo
	global_store_dword v[0:1], v4, off offset:128
.LBB514_7:
	global_store_dword v[2:3], v14, off offset:4
	s_endpgm
	.section	.rodata,"a",@progbits
	.p2align	6, 0x0
	.amdhsa_kernel _ZN12_GLOBAL__N_127rocblas_gemm_batched_kernelI19rocblas_complex_numIfELi16ELi16ELi32ELi32ELi8ELi32ELi8ELi8ELi32ELc67ELc67EKS2_S3_S2_EEvlllT_PT11_llS6_llS4_PT12_llPT13_lli
		.amdhsa_group_segment_fixed_size 4096
		.amdhsa_private_segment_fixed_size 0
		.amdhsa_kernarg_size 140
		.amdhsa_user_sgpr_count 6
		.amdhsa_user_sgpr_private_segment_buffer 1
		.amdhsa_user_sgpr_dispatch_ptr 0
		.amdhsa_user_sgpr_queue_ptr 0
		.amdhsa_user_sgpr_kernarg_segment_ptr 1
		.amdhsa_user_sgpr_dispatch_id 0
		.amdhsa_user_sgpr_flat_scratch_init 0
		.amdhsa_user_sgpr_private_segment_size 0
		.amdhsa_wavefront_size32 1
		.amdhsa_uses_dynamic_stack 0
		.amdhsa_system_sgpr_private_segment_wavefront_offset 0
		.amdhsa_system_sgpr_workgroup_id_x 1
		.amdhsa_system_sgpr_workgroup_id_y 1
		.amdhsa_system_sgpr_workgroup_id_z 1
		.amdhsa_system_sgpr_workgroup_info 0
		.amdhsa_system_vgpr_workitem_id 1
		.amdhsa_next_free_vgpr 92
		.amdhsa_next_free_sgpr 32
		.amdhsa_reserve_vcc 1
		.amdhsa_reserve_flat_scratch 0
		.amdhsa_float_round_mode_32 0
		.amdhsa_float_round_mode_16_64 0
		.amdhsa_float_denorm_mode_32 3
		.amdhsa_float_denorm_mode_16_64 3
		.amdhsa_dx10_clamp 1
		.amdhsa_ieee_mode 1
		.amdhsa_fp16_overflow 0
		.amdhsa_workgroup_processor_mode 1
		.amdhsa_memory_ordered 1
		.amdhsa_forward_progress 1
		.amdhsa_shared_vgpr_count 0
		.amdhsa_exception_fp_ieee_invalid_op 0
		.amdhsa_exception_fp_denorm_src 0
		.amdhsa_exception_fp_ieee_div_zero 0
		.amdhsa_exception_fp_ieee_overflow 0
		.amdhsa_exception_fp_ieee_underflow 0
		.amdhsa_exception_fp_ieee_inexact 0
		.amdhsa_exception_int_div_zero 0
	.end_amdhsa_kernel
	.section	.text._ZN12_GLOBAL__N_127rocblas_gemm_batched_kernelI19rocblas_complex_numIfELi16ELi16ELi32ELi32ELi8ELi32ELi8ELi8ELi32ELc67ELc67EKS2_S3_S2_EEvlllT_PT11_llS6_llS4_PT12_llPT13_lli,"axG",@progbits,_ZN12_GLOBAL__N_127rocblas_gemm_batched_kernelI19rocblas_complex_numIfELi16ELi16ELi32ELi32ELi8ELi32ELi8ELi8ELi32ELc67ELc67EKS2_S3_S2_EEvlllT_PT11_llS6_llS4_PT12_llPT13_lli,comdat
.Lfunc_end514:
	.size	_ZN12_GLOBAL__N_127rocblas_gemm_batched_kernelI19rocblas_complex_numIfELi16ELi16ELi32ELi32ELi8ELi32ELi8ELi8ELi32ELc67ELc67EKS2_S3_S2_EEvlllT_PT11_llS6_llS4_PT12_llPT13_lli, .Lfunc_end514-_ZN12_GLOBAL__N_127rocblas_gemm_batched_kernelI19rocblas_complex_numIfELi16ELi16ELi32ELi32ELi8ELi32ELi8ELi8ELi32ELc67ELc67EKS2_S3_S2_EEvlllT_PT11_llS6_llS4_PT12_llPT13_lli
                                        ; -- End function
	.set _ZN12_GLOBAL__N_127rocblas_gemm_batched_kernelI19rocblas_complex_numIfELi16ELi16ELi32ELi32ELi8ELi32ELi8ELi8ELi32ELc67ELc67EKS2_S3_S2_EEvlllT_PT11_llS6_llS4_PT12_llPT13_lli.num_vgpr, 92
	.set _ZN12_GLOBAL__N_127rocblas_gemm_batched_kernelI19rocblas_complex_numIfELi16ELi16ELi32ELi32ELi8ELi32ELi8ELi8ELi32ELc67ELc67EKS2_S3_S2_EEvlllT_PT11_llS6_llS4_PT12_llPT13_lli.num_agpr, 0
	.set _ZN12_GLOBAL__N_127rocblas_gemm_batched_kernelI19rocblas_complex_numIfELi16ELi16ELi32ELi32ELi8ELi32ELi8ELi8ELi32ELc67ELc67EKS2_S3_S2_EEvlllT_PT11_llS6_llS4_PT12_llPT13_lli.numbered_sgpr, 32
	.set _ZN12_GLOBAL__N_127rocblas_gemm_batched_kernelI19rocblas_complex_numIfELi16ELi16ELi32ELi32ELi8ELi32ELi8ELi8ELi32ELc67ELc67EKS2_S3_S2_EEvlllT_PT11_llS6_llS4_PT12_llPT13_lli.num_named_barrier, 0
	.set _ZN12_GLOBAL__N_127rocblas_gemm_batched_kernelI19rocblas_complex_numIfELi16ELi16ELi32ELi32ELi8ELi32ELi8ELi8ELi32ELc67ELc67EKS2_S3_S2_EEvlllT_PT11_llS6_llS4_PT12_llPT13_lli.private_seg_size, 0
	.set _ZN12_GLOBAL__N_127rocblas_gemm_batched_kernelI19rocblas_complex_numIfELi16ELi16ELi32ELi32ELi8ELi32ELi8ELi8ELi32ELc67ELc67EKS2_S3_S2_EEvlllT_PT11_llS6_llS4_PT12_llPT13_lli.uses_vcc, 1
	.set _ZN12_GLOBAL__N_127rocblas_gemm_batched_kernelI19rocblas_complex_numIfELi16ELi16ELi32ELi32ELi8ELi32ELi8ELi8ELi32ELc67ELc67EKS2_S3_S2_EEvlllT_PT11_llS6_llS4_PT12_llPT13_lli.uses_flat_scratch, 0
	.set _ZN12_GLOBAL__N_127rocblas_gemm_batched_kernelI19rocblas_complex_numIfELi16ELi16ELi32ELi32ELi8ELi32ELi8ELi8ELi32ELc67ELc67EKS2_S3_S2_EEvlllT_PT11_llS6_llS4_PT12_llPT13_lli.has_dyn_sized_stack, 0
	.set _ZN12_GLOBAL__N_127rocblas_gemm_batched_kernelI19rocblas_complex_numIfELi16ELi16ELi32ELi32ELi8ELi32ELi8ELi8ELi32ELc67ELc67EKS2_S3_S2_EEvlllT_PT11_llS6_llS4_PT12_llPT13_lli.has_recursion, 0
	.set _ZN12_GLOBAL__N_127rocblas_gemm_batched_kernelI19rocblas_complex_numIfELi16ELi16ELi32ELi32ELi8ELi32ELi8ELi8ELi32ELc67ELc67EKS2_S3_S2_EEvlllT_PT11_llS6_llS4_PT12_llPT13_lli.has_indirect_call, 0
	.section	.AMDGPU.csdata,"",@progbits
; Kernel info:
; codeLenInByte = 2524
; TotalNumSgprs: 34
; NumVgprs: 92
; ScratchSize: 0
; MemoryBound: 0
; FloatMode: 240
; IeeeMode: 1
; LDSByteSize: 4096 bytes/workgroup (compile time only)
; SGPRBlocks: 0
; VGPRBlocks: 11
; NumSGPRsForWavesPerEU: 34
; NumVGPRsForWavesPerEU: 92
; Occupancy: 10
; WaveLimiterHint : 1
; COMPUTE_PGM_RSRC2:SCRATCH_EN: 0
; COMPUTE_PGM_RSRC2:USER_SGPR: 6
; COMPUTE_PGM_RSRC2:TRAP_HANDLER: 0
; COMPUTE_PGM_RSRC2:TGID_X_EN: 1
; COMPUTE_PGM_RSRC2:TGID_Y_EN: 1
; COMPUTE_PGM_RSRC2:TGID_Z_EN: 1
; COMPUTE_PGM_RSRC2:TIDIG_COMP_CNT: 1
	.section	.text._ZN12_GLOBAL__N_127rocblas_gemm_batched_kernelI19rocblas_complex_numIfELi16ELi16ELi32ELi32ELi8ELi32ELi8ELi8ELi32ELc67ELc78EKS2_S3_S2_EEvlllT_PT11_llS6_llS4_PT12_llPT13_lli,"axG",@progbits,_ZN12_GLOBAL__N_127rocblas_gemm_batched_kernelI19rocblas_complex_numIfELi16ELi16ELi32ELi32ELi8ELi32ELi8ELi8ELi32ELc67ELc78EKS2_S3_S2_EEvlllT_PT11_llS6_llS4_PT12_llPT13_lli,comdat
	.globl	_ZN12_GLOBAL__N_127rocblas_gemm_batched_kernelI19rocblas_complex_numIfELi16ELi16ELi32ELi32ELi8ELi32ELi8ELi8ELi32ELc67ELc78EKS2_S3_S2_EEvlllT_PT11_llS6_llS4_PT12_llPT13_lli ; -- Begin function _ZN12_GLOBAL__N_127rocblas_gemm_batched_kernelI19rocblas_complex_numIfELi16ELi16ELi32ELi32ELi8ELi32ELi8ELi8ELi32ELc67ELc78EKS2_S3_S2_EEvlllT_PT11_llS6_llS4_PT12_llPT13_lli
	.p2align	8
	.type	_ZN12_GLOBAL__N_127rocblas_gemm_batched_kernelI19rocblas_complex_numIfELi16ELi16ELi32ELi32ELi8ELi32ELi8ELi8ELi32ELc67ELc78EKS2_S3_S2_EEvlllT_PT11_llS6_llS4_PT12_llPT13_lli,@function
_ZN12_GLOBAL__N_127rocblas_gemm_batched_kernelI19rocblas_complex_numIfELi16ELi16ELi32ELi32ELi8ELi32ELi8ELi8ELi32ELc67ELc78EKS2_S3_S2_EEvlllT_PT11_llS6_llS4_PT12_llPT13_lli: ; @_ZN12_GLOBAL__N_127rocblas_gemm_batched_kernelI19rocblas_complex_numIfELi16ELi16ELi32ELi32ELi8ELi32ELi8ELi8ELi32ELc67ELc78EKS2_S3_S2_EEvlllT_PT11_llS6_llS4_PT12_llPT13_lli
; %bb.0:
	s_clause 0x1
	s_load_dwordx16 s[12:27], s[4:5], 0x10
	s_load_dwordx2 s[10:11], s[4:5], 0x50
	s_mov_b32 s0, s7
	v_mov_b32_e32 v12, 0
	v_mov_b32_e32 v13, 0
	;; [unrolled: 1-line block ×8, first 2 shown]
	s_ashr_i32 s7, s6, 31
	s_ashr_i32 s1, s0, 31
	s_lshl_b64 s[28:29], s[6:7], 5
	s_lshl_b64 s[30:31], s[0:1], 5
	s_waitcnt lgkmcnt(0)
	v_cmp_lt_i64_e64 s2, s[12:13], 1
	s_and_b32 vcc_lo, exec_lo, s2
	s_cbranch_vccnz .LBB515_3
; %bb.1:
	v_lshl_add_u32 v2, v1, 4, v0
	v_and_b32_e32 v3, 7, v0
	s_mul_hi_u32 s1, s20, s8
	v_mov_b32_e32 v6, 0
	v_lshlrev_b32_e32 v16, 3, v0
	v_and_b32_e32 v4, 31, v2
	v_lshlrev_b32_e32 v7, 3, v3
	v_lshrrev_b32_e32 v5, 3, v2
	v_lshrrev_b32_e32 v9, 5, v2
	v_lshl_add_u32 v17, v1, 6, 0x800
	v_add_co_u32 v3, s0, s28, v4
	v_add_co_ci_u32_e64 v8, null, s29, 0, s0
	v_lshl_or_b32 v10, v5, 6, v7
	v_mul_lo_u32 v11, s19, v3
	v_mad_u64_u32 v[2:3], null, s18, v3, 0
	v_mul_lo_u32 v8, s18, v8
	v_add_co_u32 v5, s0, v5, s30
	v_lshlrev_b32_e32 v4, 3, v4
	v_add_co_ci_u32_e64 v12, null, 0, s31, s0
	v_add_nc_u32_e32 v15, 0x800, v10
	s_mul_i32 s0, s21, s8
	v_lshl_or_b32 v14, v9, 8, v4
	v_add3_u32 v3, v3, v8, v11
	v_mul_lo_u32 v8, s25, v5
	v_mul_lo_u32 v10, s24, v12
	v_mad_u64_u32 v[4:5], null, s24, v5, 0
	v_lshlrev_b64 v[2:3], 3, v[2:3]
	s_add_i32 s1, s1, s0
	s_mul_i32 s0, s20, s8
	v_lshlrev_b32_e32 v9, 3, v9
	s_lshl_b64 s[0:1], s[0:1], 3
	v_mov_b32_e32 v11, 0
	v_add3_u32 v5, v5, v10, v8
	v_add_co_u32 v8, vcc_lo, v2, s0
	v_add_co_ci_u32_e64 v10, null, s1, v3, vcc_lo
	s_mul_i32 s0, s27, s8
	s_mul_hi_u32 s1, s26, s8
	v_lshlrev_b64 v[2:3], 3, v[4:5]
	s_add_i32 s1, s1, s0
	s_mul_i32 s0, s26, s8
	v_add_co_u32 v4, vcc_lo, v8, v9
	s_lshl_b64 s[0:1], s[0:1], 3
	v_add_co_ci_u32_e64 v5, null, 0, v10, vcc_lo
	v_add_co_u32 v2, vcc_lo, v2, s0
	v_add_co_ci_u32_e64 v3, null, s1, v3, vcc_lo
	v_add_co_u32 v4, vcc_lo, s16, v4
	;; [unrolled: 2-line block ×5, first 2 shown]
	v_add_co_ci_u32_e64 v5, null, s23, v8, vcc_lo
	v_mov_b32_e32 v7, 0
	v_mov_b32_e32 v9, 0
	;; [unrolled: 1-line block ×6, first 2 shown]
	s_mov_b64 s[0:1], 0
.LBB515_2:                              ; =>This Inner Loop Header: Depth=1
	global_load_dwordx2 v[18:19], v[2:3], off offset:-4
	global_load_dwordx2 v[20:21], v[4:5], off
	s_add_u32 s0, s0, 8
	s_addc_u32 s1, s1, 0
	v_add_co_u32 v2, vcc_lo, v2, 64
	v_cmp_lt_i64_e64 s2, s[0:1], s[12:13]
	v_add_co_ci_u32_e64 v3, null, 0, v3, vcc_lo
	v_add_co_u32 v4, vcc_lo, v4, 64
	v_add_co_ci_u32_e64 v5, null, 0, v5, vcc_lo
	s_and_b32 vcc_lo, exec_lo, s2
	s_waitcnt vmcnt(1)
	v_xor_b32_e32 v19, 0x80000000, v19
	s_waitcnt vmcnt(0)
	ds_write_b64 v15, v[20:21]
	ds_write_b64 v14, v[18:19]
	s_waitcnt lgkmcnt(0)
	s_barrier
	buffer_gl0_inv
	ds_read_b128 v[18:21], v17
	ds_read2_b64 v[22:25], v16 offset1:16
	ds_read_b128 v[26:29], v17 offset:1024
	ds_read2_b64 v[30:33], v16 offset0:32 offset1:48
	ds_read_b128 v[34:37], v17 offset:16
	ds_read2_b64 v[38:41], v16 offset0:64 offset1:80
	ds_read_b128 v[42:45], v17 offset:1040
	ds_read2_b64 v[46:49], v16 offset0:96 offset1:112
	ds_read2_b64 v[50:53], v16 offset0:128 offset1:144
	ds_read2_b64 v[54:57], v16 offset0:160 offset1:176
	ds_read_b128 v[58:61], v17 offset:32
	ds_read_b128 v[62:65], v17 offset:48
	ds_read2_b64 v[66:69], v16 offset0:192 offset1:208
	ds_read_b128 v[70:73], v17 offset:1056
	ds_read_b128 v[74:77], v17 offset:1072
	ds_read2_b64 v[78:81], v16 offset0:224 offset1:240
	s_waitcnt lgkmcnt(0)
	s_barrier
	buffer_gl0_inv
	v_mul_f32_e32 v82, v19, v23
	v_mul_f32_e32 v83, v18, v23
	v_mul_f32_e32 v84, v19, v25
	v_mul_f32_e32 v85, v18, v25
	v_mul_f32_e32 v86, v27, v23
	v_mul_f32_e32 v23, v26, v23
	v_mul_f32_e32 v87, v27, v25
	v_mul_f32_e32 v25, v26, v25
	v_mul_f32_e32 v88, v21, v31
	v_mul_f32_e32 v89, v20, v31
	v_mul_f32_e32 v90, v21, v33
	v_mul_f32_e32 v91, v20, v33
	v_fma_f32 v82, v18, v22, -v82
	v_fmac_f32_e32 v83, v19, v22
	v_fma_f32 v18, v18, v24, -v84
	v_fmac_f32_e32 v85, v19, v24
	;; [unrolled: 2-line block ×4, first 2 shown]
	v_mul_f32_e32 v24, v29, v31
	v_mul_f32_e32 v26, v28, v31
	;; [unrolled: 1-line block ×4, first 2 shown]
	v_fma_f32 v33, v20, v30, -v88
	v_fmac_f32_e32 v89, v21, v30
	v_fma_f32 v20, v20, v32, -v90
	v_fmac_f32_e32 v91, v21, v32
	v_mul_f32_e32 v21, v35, v39
	v_mul_f32_e32 v84, v34, v39
	v_mul_f32_e32 v86, v35, v41
	v_mul_f32_e32 v87, v34, v41
	v_fma_f32 v24, v28, v30, -v24
	v_fmac_f32_e32 v26, v29, v30
	v_fma_f32 v27, v28, v32, -v27
	v_fmac_f32_e32 v31, v29, v32
	v_mul_f32_e32 v28, v43, v39
	v_mul_f32_e32 v29, v42, v39
	v_mul_f32_e32 v30, v43, v41
	v_mul_f32_e32 v32, v42, v41
	v_add_f32_e32 v12, v12, v82
	v_add_f32_e32 v13, v13, v83
	v_add_f32_e32 v10, v10, v18
	v_add_f32_e32 v11, v11, v85
	v_add_f32_e32 v8, v8, v19
	v_add_f32_e32 v9, v9, v23
	v_add_f32_e32 v7, v7, v22
	v_add_f32_e32 v6, v6, v25
	v_mul_f32_e32 v39, v37, v47
	v_mul_f32_e32 v41, v36, v47
	v_mul_f32_e32 v88, v37, v49
	v_mul_f32_e32 v90, v36, v49
	v_fma_f32 v21, v34, v38, -v21
	v_fmac_f32_e32 v84, v35, v38
	v_fma_f32 v34, v34, v40, -v86
	v_fmac_f32_e32 v87, v35, v40
	v_fma_f32 v28, v42, v38, -v28
	v_fmac_f32_e32 v29, v43, v38
	v_fma_f32 v30, v42, v40, -v30
	v_fmac_f32_e32 v32, v43, v40
	v_mul_f32_e32 v35, v45, v47
	v_mul_f32_e32 v38, v44, v47
	v_mul_f32_e32 v40, v45, v49
	v_mul_f32_e32 v42, v44, v49
	v_add_f32_e32 v12, v12, v33
	v_add_f32_e32 v13, v13, v89
	v_add_f32_e32 v10, v10, v20
	v_add_f32_e32 v11, v11, v91
	v_add_f32_e32 v8, v8, v24
	v_add_f32_e32 v9, v9, v26
	v_add_f32_e32 v7, v7, v27
	v_add_f32_e32 v6, v6, v31
	v_fma_f32 v39, v36, v46, -v39
	v_fmac_f32_e32 v41, v37, v46
	v_fma_f32 v36, v36, v48, -v88
	v_fmac_f32_e32 v90, v37, v48
	v_mul_f32_e32 v37, v59, v51
	v_mul_f32_e32 v43, v58, v51
	v_mul_f32_e32 v47, v59, v53
	v_mul_f32_e32 v49, v58, v53
	v_fma_f32 v35, v44, v46, -v35
	v_fmac_f32_e32 v38, v45, v46
	v_fma_f32 v40, v44, v48, -v40
	v_fmac_f32_e32 v42, v45, v48
	v_mul_f32_e32 v44, v71, v51
	v_mul_f32_e32 v45, v70, v51
	v_mul_f32_e32 v46, v71, v53
	v_mul_f32_e32 v48, v70, v53
	v_add_f32_e32 v12, v12, v21
	v_add_f32_e32 v13, v13, v84
	v_add_f32_e32 v10, v10, v34
	v_add_f32_e32 v11, v11, v87
	v_add_f32_e32 v8, v8, v28
	v_add_f32_e32 v9, v9, v29
	v_add_f32_e32 v7, v7, v30
	v_add_f32_e32 v6, v6, v32
	v_mul_f32_e32 v51, v61, v55
	v_mul_f32_e32 v53, v60, v55
	v_mul_f32_e32 v86, v61, v57
	v_mul_f32_e32 v88, v60, v57
	v_fma_f32 v37, v58, v50, -v37
	v_fmac_f32_e32 v43, v59, v50
	v_fma_f32 v47, v58, v52, -v47
	v_fmac_f32_e32 v49, v59, v52
	v_fma_f32 v44, v70, v50, -v44
	v_fmac_f32_e32 v45, v71, v50
	v_fma_f32 v46, v70, v52, -v46
	v_fmac_f32_e32 v48, v71, v52
	v_mul_f32_e32 v50, v73, v55
	v_mul_f32_e32 v52, v72, v55
	v_mul_f32_e32 v55, v73, v57
	v_mul_f32_e32 v57, v72, v57
	v_add_f32_e32 v12, v12, v39
	v_add_f32_e32 v13, v13, v41
	v_add_f32_e32 v10, v10, v36
	v_add_f32_e32 v11, v11, v90
	v_add_f32_e32 v8, v8, v35
	v_add_f32_e32 v9, v9, v38
	v_add_f32_e32 v7, v7, v40
	v_add_f32_e32 v6, v6, v42
	;; [unrolled: 48-line block ×3, first 2 shown]
	v_fma_f32 v71, v64, v78, -v71
	v_fmac_f32_e32 v72, v65, v78
	v_fma_f32 v64, v64, v80, -v73
	v_fmac_f32_e32 v86, v65, v80
	;; [unrolled: 2-line block ×4, first 2 shown]
	v_add_f32_e32 v12, v12, v59
	v_add_f32_e32 v13, v13, v60
	v_add_f32_e32 v10, v10, v61
	v_add_f32_e32 v11, v11, v70
	v_add_f32_e32 v8, v8, v55
	v_add_f32_e32 v9, v9, v56
	v_add_f32_e32 v7, v7, v62
	v_add_f32_e32 v6, v6, v69
	v_add_f32_e32 v12, v12, v71
	v_add_f32_e32 v13, v13, v72
	v_add_f32_e32 v10, v10, v64
	v_add_f32_e32 v11, v11, v86
	v_add_f32_e32 v8, v8, v63
	v_add_f32_e32 v9, v9, v66
	v_add_f32_e32 v7, v7, v65
	v_add_f32_e32 v6, v6, v68
	s_cbranch_vccnz .LBB515_2
.LBB515_3:
	s_clause 0x1
	s_load_dwordx4 s[16:19], s[4:5], 0x78
	s_load_dwordx8 s[0:7], s[4:5], 0x58
	s_waitcnt lgkmcnt(0)
	s_mul_i32 s9, s19, s8
	s_mul_hi_u32 s13, s18, s8
	s_mul_i32 s12, s18, s8
	s_add_i32 s13, s13, s9
	s_lshl_b64 s[12:13], s[12:13], 3
	s_add_u32 s6, s6, s12
	v_add_co_u32 v4, s12, s30, v1
	v_add_co_ci_u32_e64 v5, null, s31, 0, s12
	v_add_co_u32 v0, s12, s28, v0
	s_addc_u32 s7, s7, s13
	s_or_b32 s9, s10, s11
	v_add_co_ci_u32_e64 v1, null, s29, 0, s12
	s_bitset0_b32 s9, 31
	s_cmp_lg_u32 s9, 0
	s_mov_b32 s9, 0
	s_cbranch_scc1 .LBB515_5
; %bb.4:
	v_mul_lo_u32 v14, v5, s16
	v_mul_lo_u32 v15, v4, s17
	v_mad_u64_u32 v[2:3], null, v4, s16, 0
	v_lshlrev_b64 v[17:18], 3, v[0:1]
	s_lshl_b64 s[12:13], s[16:17], 7
	v_mul_f32_e32 v19, s15, v13
	v_mul_f32_e32 v16, s14, v13
	v_mul_f32_e32 v20, s14, v11
	v_mul_f32_e32 v23, s15, v9
	v_add3_u32 v3, v3, v15, v14
	v_mul_f32_e32 v14, s15, v11
	v_fma_f32 v15, v12, s14, -v19
	v_mul_f32_e32 v24, s14, v9
	v_mul_f32_e32 v25, s15, v6
	v_lshlrev_b64 v[2:3], 3, v[2:3]
	v_fma_f32 v19, v10, s14, -v14
	v_mul_f32_e32 v14, s14, v6
	v_fmac_f32_e32 v16, s15, v12
	v_fmac_f32_e32 v20, s15, v10
	v_fma_f32 v23, v8, s14, -v23
	v_add_co_u32 v2, vcc_lo, s6, v2
	v_add_co_ci_u32_e64 v3, null, s7, v3, vcc_lo
	v_fmac_f32_e32 v14, s15, v7
	v_add_co_u32 v21, vcc_lo, v2, v17
	v_add_co_ci_u32_e64 v22, null, v3, v18, vcc_lo
	v_add_co_u32 v2, vcc_lo, v2, s12
	v_add_co_ci_u32_e64 v3, null, s13, v3, vcc_lo
	v_fmac_f32_e32 v24, s15, v8
	v_add_co_u32 v17, vcc_lo, v2, v17
	v_add_co_ci_u32_e64 v18, null, v3, v18, vcc_lo
	v_fma_f32 v25, v7, s14, -v25
	v_add_co_u32 v2, vcc_lo, 0x80, v17
	v_add_co_ci_u32_e64 v3, null, 0, v18, vcc_lo
	global_store_dwordx2 v[21:22], v[15:16], off
	global_store_dwordx2 v[21:22], v[19:20], off offset:128
	global_store_dwordx2 v[17:18], v[23:24], off
	global_store_dword v[17:18], v25, off offset:128
	s_andn2_b32 vcc_lo, exec_lo, s9
	s_cbranch_vccz .LBB515_6
	s_branch .LBB515_7
.LBB515_5:
                                        ; implicit-def: $vgpr14
                                        ; implicit-def: $vgpr2_vgpr3
.LBB515_6:
	v_mul_lo_u32 v14, v5, s2
	v_mul_lo_u32 v15, v4, s3
	v_mad_u64_u32 v[2:3], null, v4, s2, 0
	s_mul_i32 s5, s5, s8
	s_mul_hi_u32 s9, s4, s8
	s_mul_i32 s4, s4, s8
	s_add_i32 s5, s9, s5
	v_lshlrev_b64 v[0:1], 3, v[0:1]
	s_lshl_b64 s[4:5], s[4:5], 3
	v_add3_u32 v3, v3, v15, v14
	s_add_u32 s0, s0, s4
	s_addc_u32 s1, s1, s5
	v_mul_lo_u32 v18, v5, s16
	v_mul_lo_u32 v19, v4, s17
	v_lshlrev_b64 v[2:3], 3, v[2:3]
	v_mad_u64_u32 v[4:5], null, v4, s16, 0
	v_add_co_u32 v16, vcc_lo, s0, v2
	v_add_co_ci_u32_e64 v17, null, s1, v3, vcc_lo
	v_add3_u32 v5, v5, v19, v18
	v_add_co_u32 v2, vcc_lo, v16, v0
	v_add_co_ci_u32_e64 v3, null, v17, v1, vcc_lo
	v_mul_f32_e32 v18, s15, v13
	v_mul_f32_e32 v13, s14, v13
	v_lshlrev_b64 v[4:5], 3, v[4:5]
	global_load_dwordx2 v[14:15], v[2:3], off
	s_lshl_b64 s[0:1], s[2:3], 7
	v_fma_f32 v18, v12, s14, -v18
	v_fmac_f32_e32 v13, s15, v12
	v_add_co_u32 v19, vcc_lo, s6, v4
	v_add_co_ci_u32_e64 v20, null, s7, v5, vcc_lo
	v_add_co_u32 v4, vcc_lo, v19, v0
	v_add_co_ci_u32_e64 v5, null, v20, v1, vcc_lo
	s_waitcnt vmcnt(0)
	v_mul_f32_e32 v12, s11, v15
	v_mul_f32_e32 v15, s10, v15
	v_fma_f32 v12, v14, s10, -v12
	v_fmac_f32_e32 v15, s11, v14
	v_add_f32_e32 v12, v18, v12
	v_add_f32_e32 v13, v13, v15
	global_store_dwordx2 v[4:5], v[12:13], off
	global_load_dwordx2 v[2:3], v[2:3], off offset:128
	v_mul_f32_e32 v12, s15, v11
	v_mul_f32_e32 v11, s14, v11
	v_fma_f32 v12, v10, s14, -v12
	v_fmac_f32_e32 v11, s15, v10
	s_waitcnt vmcnt(0)
	v_mul_f32_e32 v13, s11, v3
	v_mul_f32_e32 v3, s10, v3
	v_fma_f32 v10, v2, s10, -v13
	v_add_co_u32 v13, vcc_lo, v16, s0
	v_fmac_f32_e32 v3, s11, v2
	v_add_co_ci_u32_e64 v14, null, s1, v17, vcc_lo
	v_add_f32_e32 v2, v12, v10
	v_add_co_u32 v10, vcc_lo, v13, v0
	v_add_f32_e32 v3, v11, v3
	v_add_co_ci_u32_e64 v11, null, v14, v1, vcc_lo
	s_lshl_b64 s[0:1], s[16:17], 7
	global_store_dwordx2 v[4:5], v[2:3], off offset:128
	global_load_dwordx2 v[2:3], v[10:11], off
	v_mul_f32_e32 v4, s15, v9
	v_mul_f32_e32 v5, s14, v9
	v_add_co_u32 v9, vcc_lo, v19, s0
	v_add_co_ci_u32_e64 v12, null, s1, v20, vcc_lo
	v_fma_f32 v4, v8, s14, -v4
	v_fmac_f32_e32 v5, s15, v8
	v_add_co_u32 v0, vcc_lo, v9, v0
	v_add_co_ci_u32_e64 v1, null, v12, v1, vcc_lo
	s_waitcnt vmcnt(0)
	v_mul_f32_e32 v8, s11, v3
	v_mul_f32_e32 v3, s10, v3
	v_fma_f32 v8, v2, s10, -v8
	v_fmac_f32_e32 v3, s11, v2
	v_add_f32_e32 v2, v4, v8
	v_add_f32_e32 v3, v5, v3
	v_mul_f32_e32 v4, s15, v6
	v_mul_f32_e32 v5, s14, v6
	global_store_dwordx2 v[0:1], v[2:3], off
	global_load_dwordx2 v[2:3], v[10:11], off offset:128
	v_fma_f32 v4, v7, s14, -v4
	v_fmac_f32_e32 v5, s15, v7
	s_waitcnt vmcnt(0)
	v_mul_f32_e32 v6, s11, v3
	v_mul_f32_e32 v3, s10, v3
	v_fma_f32 v6, v2, s10, -v6
	v_fmac_f32_e32 v3, s11, v2
	v_add_co_u32 v2, vcc_lo, 0x80, v0
	v_add_f32_e32 v4, v4, v6
	v_add_f32_e32 v14, v5, v3
	v_add_co_ci_u32_e64 v3, null, 0, v1, vcc_lo
	global_store_dword v[0:1], v4, off offset:128
.LBB515_7:
	global_store_dword v[2:3], v14, off offset:4
	s_endpgm
	.section	.rodata,"a",@progbits
	.p2align	6, 0x0
	.amdhsa_kernel _ZN12_GLOBAL__N_127rocblas_gemm_batched_kernelI19rocblas_complex_numIfELi16ELi16ELi32ELi32ELi8ELi32ELi8ELi8ELi32ELc67ELc78EKS2_S3_S2_EEvlllT_PT11_llS6_llS4_PT12_llPT13_lli
		.amdhsa_group_segment_fixed_size 4096
		.amdhsa_private_segment_fixed_size 0
		.amdhsa_kernarg_size 140
		.amdhsa_user_sgpr_count 6
		.amdhsa_user_sgpr_private_segment_buffer 1
		.amdhsa_user_sgpr_dispatch_ptr 0
		.amdhsa_user_sgpr_queue_ptr 0
		.amdhsa_user_sgpr_kernarg_segment_ptr 1
		.amdhsa_user_sgpr_dispatch_id 0
		.amdhsa_user_sgpr_flat_scratch_init 0
		.amdhsa_user_sgpr_private_segment_size 0
		.amdhsa_wavefront_size32 1
		.amdhsa_uses_dynamic_stack 0
		.amdhsa_system_sgpr_private_segment_wavefront_offset 0
		.amdhsa_system_sgpr_workgroup_id_x 1
		.amdhsa_system_sgpr_workgroup_id_y 1
		.amdhsa_system_sgpr_workgroup_id_z 1
		.amdhsa_system_sgpr_workgroup_info 0
		.amdhsa_system_vgpr_workitem_id 1
		.amdhsa_next_free_vgpr 92
		.amdhsa_next_free_sgpr 32
		.amdhsa_reserve_vcc 1
		.amdhsa_reserve_flat_scratch 0
		.amdhsa_float_round_mode_32 0
		.amdhsa_float_round_mode_16_64 0
		.amdhsa_float_denorm_mode_32 3
		.amdhsa_float_denorm_mode_16_64 3
		.amdhsa_dx10_clamp 1
		.amdhsa_ieee_mode 1
		.amdhsa_fp16_overflow 0
		.amdhsa_workgroup_processor_mode 1
		.amdhsa_memory_ordered 1
		.amdhsa_forward_progress 1
		.amdhsa_shared_vgpr_count 0
		.amdhsa_exception_fp_ieee_invalid_op 0
		.amdhsa_exception_fp_denorm_src 0
		.amdhsa_exception_fp_ieee_div_zero 0
		.amdhsa_exception_fp_ieee_overflow 0
		.amdhsa_exception_fp_ieee_underflow 0
		.amdhsa_exception_fp_ieee_inexact 0
		.amdhsa_exception_int_div_zero 0
	.end_amdhsa_kernel
	.section	.text._ZN12_GLOBAL__N_127rocblas_gemm_batched_kernelI19rocblas_complex_numIfELi16ELi16ELi32ELi32ELi8ELi32ELi8ELi8ELi32ELc67ELc78EKS2_S3_S2_EEvlllT_PT11_llS6_llS4_PT12_llPT13_lli,"axG",@progbits,_ZN12_GLOBAL__N_127rocblas_gemm_batched_kernelI19rocblas_complex_numIfELi16ELi16ELi32ELi32ELi8ELi32ELi8ELi8ELi32ELc67ELc78EKS2_S3_S2_EEvlllT_PT11_llS6_llS4_PT12_llPT13_lli,comdat
.Lfunc_end515:
	.size	_ZN12_GLOBAL__N_127rocblas_gemm_batched_kernelI19rocblas_complex_numIfELi16ELi16ELi32ELi32ELi8ELi32ELi8ELi8ELi32ELc67ELc78EKS2_S3_S2_EEvlllT_PT11_llS6_llS4_PT12_llPT13_lli, .Lfunc_end515-_ZN12_GLOBAL__N_127rocblas_gemm_batched_kernelI19rocblas_complex_numIfELi16ELi16ELi32ELi32ELi8ELi32ELi8ELi8ELi32ELc67ELc78EKS2_S3_S2_EEvlllT_PT11_llS6_llS4_PT12_llPT13_lli
                                        ; -- End function
	.set _ZN12_GLOBAL__N_127rocblas_gemm_batched_kernelI19rocblas_complex_numIfELi16ELi16ELi32ELi32ELi8ELi32ELi8ELi8ELi32ELc67ELc78EKS2_S3_S2_EEvlllT_PT11_llS6_llS4_PT12_llPT13_lli.num_vgpr, 92
	.set _ZN12_GLOBAL__N_127rocblas_gemm_batched_kernelI19rocblas_complex_numIfELi16ELi16ELi32ELi32ELi8ELi32ELi8ELi8ELi32ELc67ELc78EKS2_S3_S2_EEvlllT_PT11_llS6_llS4_PT12_llPT13_lli.num_agpr, 0
	.set _ZN12_GLOBAL__N_127rocblas_gemm_batched_kernelI19rocblas_complex_numIfELi16ELi16ELi32ELi32ELi8ELi32ELi8ELi8ELi32ELc67ELc78EKS2_S3_S2_EEvlllT_PT11_llS6_llS4_PT12_llPT13_lli.numbered_sgpr, 32
	.set _ZN12_GLOBAL__N_127rocblas_gemm_batched_kernelI19rocblas_complex_numIfELi16ELi16ELi32ELi32ELi8ELi32ELi8ELi8ELi32ELc67ELc78EKS2_S3_S2_EEvlllT_PT11_llS6_llS4_PT12_llPT13_lli.num_named_barrier, 0
	.set _ZN12_GLOBAL__N_127rocblas_gemm_batched_kernelI19rocblas_complex_numIfELi16ELi16ELi32ELi32ELi8ELi32ELi8ELi8ELi32ELc67ELc78EKS2_S3_S2_EEvlllT_PT11_llS6_llS4_PT12_llPT13_lli.private_seg_size, 0
	.set _ZN12_GLOBAL__N_127rocblas_gemm_batched_kernelI19rocblas_complex_numIfELi16ELi16ELi32ELi32ELi8ELi32ELi8ELi8ELi32ELc67ELc78EKS2_S3_S2_EEvlllT_PT11_llS6_llS4_PT12_llPT13_lli.uses_vcc, 1
	.set _ZN12_GLOBAL__N_127rocblas_gemm_batched_kernelI19rocblas_complex_numIfELi16ELi16ELi32ELi32ELi8ELi32ELi8ELi8ELi32ELc67ELc78EKS2_S3_S2_EEvlllT_PT11_llS6_llS4_PT12_llPT13_lli.uses_flat_scratch, 0
	.set _ZN12_GLOBAL__N_127rocblas_gemm_batched_kernelI19rocblas_complex_numIfELi16ELi16ELi32ELi32ELi8ELi32ELi8ELi8ELi32ELc67ELc78EKS2_S3_S2_EEvlllT_PT11_llS6_llS4_PT12_llPT13_lli.has_dyn_sized_stack, 0
	.set _ZN12_GLOBAL__N_127rocblas_gemm_batched_kernelI19rocblas_complex_numIfELi16ELi16ELi32ELi32ELi8ELi32ELi8ELi8ELi32ELc67ELc78EKS2_S3_S2_EEvlllT_PT11_llS6_llS4_PT12_llPT13_lli.has_recursion, 0
	.set _ZN12_GLOBAL__N_127rocblas_gemm_batched_kernelI19rocblas_complex_numIfELi16ELi16ELi32ELi32ELi8ELi32ELi8ELi8ELi32ELc67ELc78EKS2_S3_S2_EEvlllT_PT11_llS6_llS4_PT12_llPT13_lli.has_indirect_call, 0
	.section	.AMDGPU.csdata,"",@progbits
; Kernel info:
; codeLenInByte = 2548
; TotalNumSgprs: 34
; NumVgprs: 92
; ScratchSize: 0
; MemoryBound: 0
; FloatMode: 240
; IeeeMode: 1
; LDSByteSize: 4096 bytes/workgroup (compile time only)
; SGPRBlocks: 0
; VGPRBlocks: 11
; NumSGPRsForWavesPerEU: 34
; NumVGPRsForWavesPerEU: 92
; Occupancy: 10
; WaveLimiterHint : 1
; COMPUTE_PGM_RSRC2:SCRATCH_EN: 0
; COMPUTE_PGM_RSRC2:USER_SGPR: 6
; COMPUTE_PGM_RSRC2:TRAP_HANDLER: 0
; COMPUTE_PGM_RSRC2:TGID_X_EN: 1
; COMPUTE_PGM_RSRC2:TGID_Y_EN: 1
; COMPUTE_PGM_RSRC2:TGID_Z_EN: 1
; COMPUTE_PGM_RSRC2:TIDIG_COMP_CNT: 1
	.section	.text._ZN12_GLOBAL__N_127rocblas_gemm_batched_kernelI19rocblas_complex_numIfELi16ELi16ELi32ELi32ELi8ELi32ELi8ELi8ELi32ELc67ELc84EKS2_S3_S2_EEvlllT_PT11_llS6_llS4_PT12_llPT13_lli,"axG",@progbits,_ZN12_GLOBAL__N_127rocblas_gemm_batched_kernelI19rocblas_complex_numIfELi16ELi16ELi32ELi32ELi8ELi32ELi8ELi8ELi32ELc67ELc84EKS2_S3_S2_EEvlllT_PT11_llS6_llS4_PT12_llPT13_lli,comdat
	.globl	_ZN12_GLOBAL__N_127rocblas_gemm_batched_kernelI19rocblas_complex_numIfELi16ELi16ELi32ELi32ELi8ELi32ELi8ELi8ELi32ELc67ELc84EKS2_S3_S2_EEvlllT_PT11_llS6_llS4_PT12_llPT13_lli ; -- Begin function _ZN12_GLOBAL__N_127rocblas_gemm_batched_kernelI19rocblas_complex_numIfELi16ELi16ELi32ELi32ELi8ELi32ELi8ELi8ELi32ELc67ELc84EKS2_S3_S2_EEvlllT_PT11_llS6_llS4_PT12_llPT13_lli
	.p2align	8
	.type	_ZN12_GLOBAL__N_127rocblas_gemm_batched_kernelI19rocblas_complex_numIfELi16ELi16ELi32ELi32ELi8ELi32ELi8ELi8ELi32ELc67ELc84EKS2_S3_S2_EEvlllT_PT11_llS6_llS4_PT12_llPT13_lli,@function
_ZN12_GLOBAL__N_127rocblas_gemm_batched_kernelI19rocblas_complex_numIfELi16ELi16ELi32ELi32ELi8ELi32ELi8ELi8ELi32ELc67ELc84EKS2_S3_S2_EEvlllT_PT11_llS6_llS4_PT12_llPT13_lli: ; @_ZN12_GLOBAL__N_127rocblas_gemm_batched_kernelI19rocblas_complex_numIfELi16ELi16ELi32ELi32ELi8ELi32ELi8ELi8ELi32ELc67ELc84EKS2_S3_S2_EEvlllT_PT11_llS6_llS4_PT12_llPT13_lli
; %bb.0:
	s_clause 0x1
	s_load_dwordx16 s[12:27], s[4:5], 0x10
	s_load_dwordx2 s[10:11], s[4:5], 0x50
	s_mov_b32 s0, s7
	v_mov_b32_e32 v12, 0
	v_mov_b32_e32 v13, 0
	;; [unrolled: 1-line block ×8, first 2 shown]
	s_ashr_i32 s7, s6, 31
	s_ashr_i32 s1, s0, 31
	s_lshl_b64 s[28:29], s[6:7], 5
	s_lshl_b64 s[30:31], s[0:1], 5
	s_waitcnt lgkmcnt(0)
	v_cmp_lt_i64_e64 s2, s[12:13], 1
	s_and_b32 vcc_lo, exec_lo, s2
	s_cbranch_vccnz .LBB516_3
; %bb.1:
	v_lshl_add_u32 v7, v1, 4, v0
	v_and_b32_e32 v8, 7, v0
	s_mul_i32 s1, s21, s8
	s_mul_hi_u32 s2, s20, s8
	v_mov_b32_e32 v6, 0
	v_lshrrev_b32_e32 v9, 3, v7
	v_and_b32_e32 v10, 31, v7
	v_lshlrev_b32_e32 v16, 3, v8
	v_lshrrev_b32_e32 v13, 5, v7
	s_add_i32 s1, s2, s1
	v_add_co_u32 v2, s0, v9, s30
	v_add_co_ci_u32_e64 v3, null, 0, s31, s0
	v_add_co_u32 v4, s0, s28, v10
	v_add_co_ci_u32_e64 v5, null, s29, 0, s0
	v_mad_u64_u32 v[2:3], null, s24, v8, v[2:3]
	v_mul_lo_u32 v11, s19, v4
	v_mul_lo_u32 v12, s18, v5
	v_mad_u64_u32 v[4:5], null, s18, v4, 0
	s_mul_i32 s0, s20, s8
	v_lshlrev_b32_e32 v10, 3, v10
	s_lshl_b64 s[0:1], s[0:1], 3
	v_lshlrev_b32_e32 v14, 3, v0
	v_lshl_add_u32 v15, v1, 6, 0x800
	s_mov_b64 s[2:3], 0
	v_add3_u32 v5, v5, v12, v11
	v_mad_u64_u32 v[7:8], null, s25, v8, v[3:4]
	v_lshl_or_b32 v3, v9, 6, v16
	v_lshl_or_b32 v16, v13, 8, v10
	v_lshlrev_b64 v[4:5], 3, v[4:5]
	v_mov_b32_e32 v9, 0
	v_mov_b32_e32 v11, 0
	v_add_nc_u32_e32 v17, 0x800, v3
	v_mov_b32_e32 v3, v7
	v_lshlrev_b32_e32 v7, 3, v13
	v_add_co_u32 v4, vcc_lo, v4, s0
	v_add_co_ci_u32_e64 v5, null, s1, v5, vcc_lo
	s_mul_i32 s0, s27, s8
	v_add_co_u32 v4, vcc_lo, v4, v7
	v_add_co_ci_u32_e64 v5, null, 0, v5, vcc_lo
	s_mul_hi_u32 s1, s26, s8
	v_add_co_u32 v7, vcc_lo, s16, v4
	s_add_i32 s1, s1, s0
	s_mul_i32 s0, s26, s8
	v_add_co_ci_u32_e64 v8, null, s17, v5, vcc_lo
	v_lshlrev_b64 v[4:5], 3, v[2:3]
	s_lshl_b64 s[0:1], s[0:1], 3
	v_add_co_u32 v2, vcc_lo, v7, 4
	s_add_u32 s0, s22, s0
	v_add_co_ci_u32_e64 v3, null, 0, v8, vcc_lo
	s_addc_u32 s1, s23, s1
	v_add_co_u32 v4, vcc_lo, s0, v4
	v_add_co_ci_u32_e64 v5, null, s1, v5, vcc_lo
	v_mov_b32_e32 v7, 0
	v_mov_b32_e32 v8, 0
	;; [unrolled: 1-line block ×5, first 2 shown]
	s_lshl_b64 s[0:1], s[24:25], 6
.LBB516_2:                              ; =>This Inner Loop Header: Depth=1
	global_load_dwordx2 v[18:19], v[2:3], off offset:-4
	global_load_dwordx2 v[20:21], v[4:5], off
	s_add_u32 s2, s2, 8
	s_addc_u32 s3, s3, 0
	v_add_co_u32 v2, vcc_lo, v2, 64
	v_cmp_lt_i64_e64 s6, s[2:3], s[12:13]
	v_add_co_ci_u32_e64 v3, null, 0, v3, vcc_lo
	v_add_co_u32 v4, vcc_lo, v4, s0
	v_add_co_ci_u32_e64 v5, null, s1, v5, vcc_lo
	s_and_b32 vcc_lo, exec_lo, s6
	s_waitcnt vmcnt(1)
	v_xor_b32_e32 v19, 0x80000000, v19
	s_waitcnt vmcnt(0)
	ds_write_b64 v17, v[20:21]
	ds_write_b64 v16, v[18:19]
	s_waitcnt lgkmcnt(0)
	s_barrier
	buffer_gl0_inv
	ds_read_b128 v[18:21], v15
	ds_read2_b64 v[22:25], v14 offset1:16
	ds_read_b128 v[26:29], v15 offset:1024
	ds_read2_b64 v[30:33], v14 offset0:32 offset1:48
	ds_read_b128 v[34:37], v15 offset:16
	ds_read2_b64 v[38:41], v14 offset0:64 offset1:80
	ds_read_b128 v[42:45], v15 offset:1040
	ds_read2_b64 v[46:49], v14 offset0:96 offset1:112
	ds_read2_b64 v[50:53], v14 offset0:128 offset1:144
	ds_read2_b64 v[54:57], v14 offset0:160 offset1:176
	ds_read_b128 v[58:61], v15 offset:32
	ds_read_b128 v[62:65], v15 offset:48
	ds_read2_b64 v[66:69], v14 offset0:192 offset1:208
	ds_read_b128 v[70:73], v15 offset:1056
	ds_read_b128 v[74:77], v15 offset:1072
	ds_read2_b64 v[78:81], v14 offset0:224 offset1:240
	s_waitcnt lgkmcnt(0)
	s_barrier
	buffer_gl0_inv
	v_mul_f32_e32 v82, v19, v23
	v_mul_f32_e32 v83, v18, v23
	;; [unrolled: 1-line block ×12, first 2 shown]
	v_fma_f32 v82, v18, v22, -v82
	v_fmac_f32_e32 v83, v19, v22
	v_fma_f32 v18, v18, v24, -v84
	v_fmac_f32_e32 v85, v19, v24
	v_fma_f32 v19, v26, v22, -v86
	v_fmac_f32_e32 v23, v27, v22
	v_fma_f32 v22, v26, v24, -v87
	v_fmac_f32_e32 v25, v27, v24
	v_mul_f32_e32 v24, v29, v31
	v_mul_f32_e32 v26, v28, v31
	;; [unrolled: 1-line block ×4, first 2 shown]
	v_fma_f32 v33, v20, v30, -v88
	v_fmac_f32_e32 v89, v21, v30
	v_fma_f32 v20, v20, v32, -v90
	v_fmac_f32_e32 v91, v21, v32
	v_mul_f32_e32 v21, v35, v39
	v_mul_f32_e32 v84, v34, v39
	v_mul_f32_e32 v86, v35, v41
	v_mul_f32_e32 v87, v34, v41
	v_fma_f32 v24, v28, v30, -v24
	v_fmac_f32_e32 v26, v29, v30
	v_fma_f32 v27, v28, v32, -v27
	v_fmac_f32_e32 v31, v29, v32
	v_mul_f32_e32 v28, v43, v39
	v_mul_f32_e32 v29, v42, v39
	v_mul_f32_e32 v30, v43, v41
	v_mul_f32_e32 v32, v42, v41
	v_add_f32_e32 v12, v12, v82
	v_add_f32_e32 v13, v13, v83
	v_add_f32_e32 v10, v10, v18
	v_add_f32_e32 v11, v11, v85
	v_add_f32_e32 v8, v8, v19
	v_add_f32_e32 v9, v9, v23
	v_add_f32_e32 v7, v7, v22
	v_add_f32_e32 v6, v6, v25
	v_mul_f32_e32 v39, v37, v47
	v_mul_f32_e32 v41, v36, v47
	v_mul_f32_e32 v88, v37, v49
	v_mul_f32_e32 v90, v36, v49
	v_fma_f32 v21, v34, v38, -v21
	v_fmac_f32_e32 v84, v35, v38
	v_fma_f32 v34, v34, v40, -v86
	v_fmac_f32_e32 v87, v35, v40
	v_fma_f32 v28, v42, v38, -v28
	v_fmac_f32_e32 v29, v43, v38
	v_fma_f32 v30, v42, v40, -v30
	v_fmac_f32_e32 v32, v43, v40
	v_mul_f32_e32 v35, v45, v47
	v_mul_f32_e32 v38, v44, v47
	v_mul_f32_e32 v40, v45, v49
	v_mul_f32_e32 v42, v44, v49
	v_add_f32_e32 v12, v12, v33
	v_add_f32_e32 v13, v13, v89
	v_add_f32_e32 v10, v10, v20
	v_add_f32_e32 v11, v11, v91
	v_add_f32_e32 v8, v8, v24
	v_add_f32_e32 v9, v9, v26
	v_add_f32_e32 v7, v7, v27
	v_add_f32_e32 v6, v6, v31
	v_fma_f32 v39, v36, v46, -v39
	v_fmac_f32_e32 v41, v37, v46
	v_fma_f32 v36, v36, v48, -v88
	v_fmac_f32_e32 v90, v37, v48
	v_mul_f32_e32 v37, v59, v51
	v_mul_f32_e32 v43, v58, v51
	v_mul_f32_e32 v47, v59, v53
	v_mul_f32_e32 v49, v58, v53
	v_fma_f32 v35, v44, v46, -v35
	v_fmac_f32_e32 v38, v45, v46
	v_fma_f32 v40, v44, v48, -v40
	v_fmac_f32_e32 v42, v45, v48
	v_mul_f32_e32 v44, v71, v51
	v_mul_f32_e32 v45, v70, v51
	v_mul_f32_e32 v46, v71, v53
	v_mul_f32_e32 v48, v70, v53
	v_add_f32_e32 v12, v12, v21
	v_add_f32_e32 v13, v13, v84
	v_add_f32_e32 v10, v10, v34
	v_add_f32_e32 v11, v11, v87
	v_add_f32_e32 v8, v8, v28
	v_add_f32_e32 v9, v9, v29
	v_add_f32_e32 v7, v7, v30
	v_add_f32_e32 v6, v6, v32
	v_mul_f32_e32 v51, v61, v55
	v_mul_f32_e32 v53, v60, v55
	v_mul_f32_e32 v86, v61, v57
	v_mul_f32_e32 v88, v60, v57
	v_fma_f32 v37, v58, v50, -v37
	v_fmac_f32_e32 v43, v59, v50
	v_fma_f32 v47, v58, v52, -v47
	v_fmac_f32_e32 v49, v59, v52
	v_fma_f32 v44, v70, v50, -v44
	v_fmac_f32_e32 v45, v71, v50
	v_fma_f32 v46, v70, v52, -v46
	v_fmac_f32_e32 v48, v71, v52
	v_mul_f32_e32 v50, v73, v55
	v_mul_f32_e32 v52, v72, v55
	v_mul_f32_e32 v55, v73, v57
	v_mul_f32_e32 v57, v72, v57
	v_add_f32_e32 v12, v12, v39
	v_add_f32_e32 v13, v13, v41
	v_add_f32_e32 v10, v10, v36
	v_add_f32_e32 v11, v11, v90
	v_add_f32_e32 v8, v8, v35
	v_add_f32_e32 v9, v9, v38
	v_add_f32_e32 v7, v7, v40
	v_add_f32_e32 v6, v6, v42
	;; [unrolled: 48-line block ×3, first 2 shown]
	v_fma_f32 v71, v64, v78, -v71
	v_fmac_f32_e32 v72, v65, v78
	v_fma_f32 v64, v64, v80, -v73
	v_fmac_f32_e32 v86, v65, v80
	;; [unrolled: 2-line block ×4, first 2 shown]
	v_add_f32_e32 v12, v12, v59
	v_add_f32_e32 v13, v13, v60
	;; [unrolled: 1-line block ×16, first 2 shown]
	s_cbranch_vccnz .LBB516_2
.LBB516_3:
	s_clause 0x1
	s_load_dwordx4 s[16:19], s[4:5], 0x78
	s_load_dwordx8 s[0:7], s[4:5], 0x58
	s_waitcnt lgkmcnt(0)
	s_mul_i32 s9, s19, s8
	s_mul_hi_u32 s13, s18, s8
	s_mul_i32 s12, s18, s8
	s_add_i32 s13, s13, s9
	s_lshl_b64 s[12:13], s[12:13], 3
	s_add_u32 s6, s6, s12
	v_add_co_u32 v4, s12, s30, v1
	v_add_co_ci_u32_e64 v5, null, s31, 0, s12
	v_add_co_u32 v0, s12, s28, v0
	s_addc_u32 s7, s7, s13
	s_or_b32 s9, s10, s11
	v_add_co_ci_u32_e64 v1, null, s29, 0, s12
	s_bitset0_b32 s9, 31
	s_cmp_lg_u32 s9, 0
	s_mov_b32 s9, 0
	s_cbranch_scc1 .LBB516_5
; %bb.4:
	v_mul_lo_u32 v14, v5, s16
	v_mul_lo_u32 v15, v4, s17
	v_mad_u64_u32 v[2:3], null, v4, s16, 0
	v_lshlrev_b64 v[17:18], 3, v[0:1]
	s_lshl_b64 s[12:13], s[16:17], 7
	v_mul_f32_e32 v19, s15, v13
	v_mul_f32_e32 v16, s14, v13
	;; [unrolled: 1-line block ×4, first 2 shown]
	v_add3_u32 v3, v3, v15, v14
	v_mul_f32_e32 v14, s15, v11
	v_fma_f32 v15, v12, s14, -v19
	v_mul_f32_e32 v24, s14, v9
	v_mul_f32_e32 v25, s15, v6
	v_lshlrev_b64 v[2:3], 3, v[2:3]
	v_fma_f32 v19, v10, s14, -v14
	v_mul_f32_e32 v14, s14, v6
	v_fmac_f32_e32 v16, s15, v12
	v_fmac_f32_e32 v20, s15, v10
	v_fma_f32 v23, v8, s14, -v23
	v_add_co_u32 v2, vcc_lo, s6, v2
	v_add_co_ci_u32_e64 v3, null, s7, v3, vcc_lo
	v_fmac_f32_e32 v14, s15, v7
	v_add_co_u32 v21, vcc_lo, v2, v17
	v_add_co_ci_u32_e64 v22, null, v3, v18, vcc_lo
	v_add_co_u32 v2, vcc_lo, v2, s12
	v_add_co_ci_u32_e64 v3, null, s13, v3, vcc_lo
	v_fmac_f32_e32 v24, s15, v8
	v_add_co_u32 v17, vcc_lo, v2, v17
	v_add_co_ci_u32_e64 v18, null, v3, v18, vcc_lo
	v_fma_f32 v25, v7, s14, -v25
	v_add_co_u32 v2, vcc_lo, 0x80, v17
	v_add_co_ci_u32_e64 v3, null, 0, v18, vcc_lo
	global_store_dwordx2 v[21:22], v[15:16], off
	global_store_dwordx2 v[21:22], v[19:20], off offset:128
	global_store_dwordx2 v[17:18], v[23:24], off
	global_store_dword v[17:18], v25, off offset:128
	s_andn2_b32 vcc_lo, exec_lo, s9
	s_cbranch_vccz .LBB516_6
	s_branch .LBB516_7
.LBB516_5:
                                        ; implicit-def: $vgpr14
                                        ; implicit-def: $vgpr2_vgpr3
.LBB516_6:
	v_mul_lo_u32 v14, v5, s2
	v_mul_lo_u32 v15, v4, s3
	v_mad_u64_u32 v[2:3], null, v4, s2, 0
	s_mul_i32 s5, s5, s8
	s_mul_hi_u32 s9, s4, s8
	s_mul_i32 s4, s4, s8
	s_add_i32 s5, s9, s5
	v_lshlrev_b64 v[0:1], 3, v[0:1]
	s_lshl_b64 s[4:5], s[4:5], 3
	v_add3_u32 v3, v3, v15, v14
	s_add_u32 s0, s0, s4
	s_addc_u32 s1, s1, s5
	v_mul_lo_u32 v18, v5, s16
	v_mul_lo_u32 v19, v4, s17
	v_lshlrev_b64 v[2:3], 3, v[2:3]
	v_mad_u64_u32 v[4:5], null, v4, s16, 0
	v_add_co_u32 v16, vcc_lo, s0, v2
	v_add_co_ci_u32_e64 v17, null, s1, v3, vcc_lo
	v_add3_u32 v5, v5, v19, v18
	v_add_co_u32 v2, vcc_lo, v16, v0
	v_add_co_ci_u32_e64 v3, null, v17, v1, vcc_lo
	v_mul_f32_e32 v18, s15, v13
	v_mul_f32_e32 v13, s14, v13
	v_lshlrev_b64 v[4:5], 3, v[4:5]
	global_load_dwordx2 v[14:15], v[2:3], off
	s_lshl_b64 s[0:1], s[2:3], 7
	v_fma_f32 v18, v12, s14, -v18
	v_fmac_f32_e32 v13, s15, v12
	v_add_co_u32 v19, vcc_lo, s6, v4
	v_add_co_ci_u32_e64 v20, null, s7, v5, vcc_lo
	v_add_co_u32 v4, vcc_lo, v19, v0
	v_add_co_ci_u32_e64 v5, null, v20, v1, vcc_lo
	s_waitcnt vmcnt(0)
	v_mul_f32_e32 v12, s11, v15
	v_mul_f32_e32 v15, s10, v15
	v_fma_f32 v12, v14, s10, -v12
	v_fmac_f32_e32 v15, s11, v14
	v_add_f32_e32 v12, v18, v12
	v_add_f32_e32 v13, v13, v15
	global_store_dwordx2 v[4:5], v[12:13], off
	global_load_dwordx2 v[2:3], v[2:3], off offset:128
	v_mul_f32_e32 v12, s15, v11
	v_mul_f32_e32 v11, s14, v11
	v_fma_f32 v12, v10, s14, -v12
	v_fmac_f32_e32 v11, s15, v10
	s_waitcnt vmcnt(0)
	v_mul_f32_e32 v13, s11, v3
	v_mul_f32_e32 v3, s10, v3
	v_fma_f32 v10, v2, s10, -v13
	v_add_co_u32 v13, vcc_lo, v16, s0
	v_fmac_f32_e32 v3, s11, v2
	v_add_co_ci_u32_e64 v14, null, s1, v17, vcc_lo
	v_add_f32_e32 v2, v12, v10
	v_add_co_u32 v10, vcc_lo, v13, v0
	v_add_f32_e32 v3, v11, v3
	v_add_co_ci_u32_e64 v11, null, v14, v1, vcc_lo
	s_lshl_b64 s[0:1], s[16:17], 7
	global_store_dwordx2 v[4:5], v[2:3], off offset:128
	global_load_dwordx2 v[2:3], v[10:11], off
	v_mul_f32_e32 v4, s15, v9
	v_mul_f32_e32 v5, s14, v9
	v_add_co_u32 v9, vcc_lo, v19, s0
	v_add_co_ci_u32_e64 v12, null, s1, v20, vcc_lo
	v_fma_f32 v4, v8, s14, -v4
	v_fmac_f32_e32 v5, s15, v8
	v_add_co_u32 v0, vcc_lo, v9, v0
	v_add_co_ci_u32_e64 v1, null, v12, v1, vcc_lo
	s_waitcnt vmcnt(0)
	v_mul_f32_e32 v8, s11, v3
	v_mul_f32_e32 v3, s10, v3
	v_fma_f32 v8, v2, s10, -v8
	v_fmac_f32_e32 v3, s11, v2
	v_add_f32_e32 v2, v4, v8
	v_add_f32_e32 v3, v5, v3
	v_mul_f32_e32 v4, s15, v6
	v_mul_f32_e32 v5, s14, v6
	global_store_dwordx2 v[0:1], v[2:3], off
	global_load_dwordx2 v[2:3], v[10:11], off offset:128
	v_fma_f32 v4, v7, s14, -v4
	v_fmac_f32_e32 v5, s15, v7
	s_waitcnt vmcnt(0)
	v_mul_f32_e32 v6, s11, v3
	v_mul_f32_e32 v3, s10, v3
	v_fma_f32 v6, v2, s10, -v6
	v_fmac_f32_e32 v3, s11, v2
	v_add_co_u32 v2, vcc_lo, 0x80, v0
	v_add_f32_e32 v4, v4, v6
	v_add_f32_e32 v14, v5, v3
	v_add_co_ci_u32_e64 v3, null, 0, v1, vcc_lo
	global_store_dword v[0:1], v4, off offset:128
.LBB516_7:
	global_store_dword v[2:3], v14, off offset:4
	s_endpgm
	.section	.rodata,"a",@progbits
	.p2align	6, 0x0
	.amdhsa_kernel _ZN12_GLOBAL__N_127rocblas_gemm_batched_kernelI19rocblas_complex_numIfELi16ELi16ELi32ELi32ELi8ELi32ELi8ELi8ELi32ELc67ELc84EKS2_S3_S2_EEvlllT_PT11_llS6_llS4_PT12_llPT13_lli
		.amdhsa_group_segment_fixed_size 4096
		.amdhsa_private_segment_fixed_size 0
		.amdhsa_kernarg_size 140
		.amdhsa_user_sgpr_count 6
		.amdhsa_user_sgpr_private_segment_buffer 1
		.amdhsa_user_sgpr_dispatch_ptr 0
		.amdhsa_user_sgpr_queue_ptr 0
		.amdhsa_user_sgpr_kernarg_segment_ptr 1
		.amdhsa_user_sgpr_dispatch_id 0
		.amdhsa_user_sgpr_flat_scratch_init 0
		.amdhsa_user_sgpr_private_segment_size 0
		.amdhsa_wavefront_size32 1
		.amdhsa_uses_dynamic_stack 0
		.amdhsa_system_sgpr_private_segment_wavefront_offset 0
		.amdhsa_system_sgpr_workgroup_id_x 1
		.amdhsa_system_sgpr_workgroup_id_y 1
		.amdhsa_system_sgpr_workgroup_id_z 1
		.amdhsa_system_sgpr_workgroup_info 0
		.amdhsa_system_vgpr_workitem_id 1
		.amdhsa_next_free_vgpr 92
		.amdhsa_next_free_sgpr 32
		.amdhsa_reserve_vcc 1
		.amdhsa_reserve_flat_scratch 0
		.amdhsa_float_round_mode_32 0
		.amdhsa_float_round_mode_16_64 0
		.amdhsa_float_denorm_mode_32 3
		.amdhsa_float_denorm_mode_16_64 3
		.amdhsa_dx10_clamp 1
		.amdhsa_ieee_mode 1
		.amdhsa_fp16_overflow 0
		.amdhsa_workgroup_processor_mode 1
		.amdhsa_memory_ordered 1
		.amdhsa_forward_progress 1
		.amdhsa_shared_vgpr_count 0
		.amdhsa_exception_fp_ieee_invalid_op 0
		.amdhsa_exception_fp_denorm_src 0
		.amdhsa_exception_fp_ieee_div_zero 0
		.amdhsa_exception_fp_ieee_overflow 0
		.amdhsa_exception_fp_ieee_underflow 0
		.amdhsa_exception_fp_ieee_inexact 0
		.amdhsa_exception_int_div_zero 0
	.end_amdhsa_kernel
	.section	.text._ZN12_GLOBAL__N_127rocblas_gemm_batched_kernelI19rocblas_complex_numIfELi16ELi16ELi32ELi32ELi8ELi32ELi8ELi8ELi32ELc67ELc84EKS2_S3_S2_EEvlllT_PT11_llS6_llS4_PT12_llPT13_lli,"axG",@progbits,_ZN12_GLOBAL__N_127rocblas_gemm_batched_kernelI19rocblas_complex_numIfELi16ELi16ELi32ELi32ELi8ELi32ELi8ELi8ELi32ELc67ELc84EKS2_S3_S2_EEvlllT_PT11_llS6_llS4_PT12_llPT13_lli,comdat
.Lfunc_end516:
	.size	_ZN12_GLOBAL__N_127rocblas_gemm_batched_kernelI19rocblas_complex_numIfELi16ELi16ELi32ELi32ELi8ELi32ELi8ELi8ELi32ELc67ELc84EKS2_S3_S2_EEvlllT_PT11_llS6_llS4_PT12_llPT13_lli, .Lfunc_end516-_ZN12_GLOBAL__N_127rocblas_gemm_batched_kernelI19rocblas_complex_numIfELi16ELi16ELi32ELi32ELi8ELi32ELi8ELi8ELi32ELc67ELc84EKS2_S3_S2_EEvlllT_PT11_llS6_llS4_PT12_llPT13_lli
                                        ; -- End function
	.set _ZN12_GLOBAL__N_127rocblas_gemm_batched_kernelI19rocblas_complex_numIfELi16ELi16ELi32ELi32ELi8ELi32ELi8ELi8ELi32ELc67ELc84EKS2_S3_S2_EEvlllT_PT11_llS6_llS4_PT12_llPT13_lli.num_vgpr, 92
	.set _ZN12_GLOBAL__N_127rocblas_gemm_batched_kernelI19rocblas_complex_numIfELi16ELi16ELi32ELi32ELi8ELi32ELi8ELi8ELi32ELc67ELc84EKS2_S3_S2_EEvlllT_PT11_llS6_llS4_PT12_llPT13_lli.num_agpr, 0
	.set _ZN12_GLOBAL__N_127rocblas_gemm_batched_kernelI19rocblas_complex_numIfELi16ELi16ELi32ELi32ELi8ELi32ELi8ELi8ELi32ELc67ELc84EKS2_S3_S2_EEvlllT_PT11_llS6_llS4_PT12_llPT13_lli.numbered_sgpr, 32
	.set _ZN12_GLOBAL__N_127rocblas_gemm_batched_kernelI19rocblas_complex_numIfELi16ELi16ELi32ELi32ELi8ELi32ELi8ELi8ELi32ELc67ELc84EKS2_S3_S2_EEvlllT_PT11_llS6_llS4_PT12_llPT13_lli.num_named_barrier, 0
	.set _ZN12_GLOBAL__N_127rocblas_gemm_batched_kernelI19rocblas_complex_numIfELi16ELi16ELi32ELi32ELi8ELi32ELi8ELi8ELi32ELc67ELc84EKS2_S3_S2_EEvlllT_PT11_llS6_llS4_PT12_llPT13_lli.private_seg_size, 0
	.set _ZN12_GLOBAL__N_127rocblas_gemm_batched_kernelI19rocblas_complex_numIfELi16ELi16ELi32ELi32ELi8ELi32ELi8ELi8ELi32ELc67ELc84EKS2_S3_S2_EEvlllT_PT11_llS6_llS4_PT12_llPT13_lli.uses_vcc, 1
	.set _ZN12_GLOBAL__N_127rocblas_gemm_batched_kernelI19rocblas_complex_numIfELi16ELi16ELi32ELi32ELi8ELi32ELi8ELi8ELi32ELc67ELc84EKS2_S3_S2_EEvlllT_PT11_llS6_llS4_PT12_llPT13_lli.uses_flat_scratch, 0
	.set _ZN12_GLOBAL__N_127rocblas_gemm_batched_kernelI19rocblas_complex_numIfELi16ELi16ELi32ELi32ELi8ELi32ELi8ELi8ELi32ELc67ELc84EKS2_S3_S2_EEvlllT_PT11_llS6_llS4_PT12_llPT13_lli.has_dyn_sized_stack, 0
	.set _ZN12_GLOBAL__N_127rocblas_gemm_batched_kernelI19rocblas_complex_numIfELi16ELi16ELi32ELi32ELi8ELi32ELi8ELi8ELi32ELc67ELc84EKS2_S3_S2_EEvlllT_PT11_llS6_llS4_PT12_llPT13_lli.has_recursion, 0
	.set _ZN12_GLOBAL__N_127rocblas_gemm_batched_kernelI19rocblas_complex_numIfELi16ELi16ELi32ELi32ELi8ELi32ELi8ELi8ELi32ELc67ELc84EKS2_S3_S2_EEvlllT_PT11_llS6_llS4_PT12_llPT13_lli.has_indirect_call, 0
	.section	.AMDGPU.csdata,"",@progbits
; Kernel info:
; codeLenInByte = 2516
; TotalNumSgprs: 34
; NumVgprs: 92
; ScratchSize: 0
; MemoryBound: 0
; FloatMode: 240
; IeeeMode: 1
; LDSByteSize: 4096 bytes/workgroup (compile time only)
; SGPRBlocks: 0
; VGPRBlocks: 11
; NumSGPRsForWavesPerEU: 34
; NumVGPRsForWavesPerEU: 92
; Occupancy: 10
; WaveLimiterHint : 1
; COMPUTE_PGM_RSRC2:SCRATCH_EN: 0
; COMPUTE_PGM_RSRC2:USER_SGPR: 6
; COMPUTE_PGM_RSRC2:TRAP_HANDLER: 0
; COMPUTE_PGM_RSRC2:TGID_X_EN: 1
; COMPUTE_PGM_RSRC2:TGID_Y_EN: 1
; COMPUTE_PGM_RSRC2:TGID_Z_EN: 1
; COMPUTE_PGM_RSRC2:TIDIG_COMP_CNT: 1
	.section	.text._ZN12_GLOBAL__N_127rocblas_gemm_batched_kernelI19rocblas_complex_numIfELi16ELi16ELi32ELi32ELi8ELi32ELi8ELi8ELi32ELc78ELc67EKS2_S3_S2_EEvlllT_PT11_llS6_llS4_PT12_llPT13_lli,"axG",@progbits,_ZN12_GLOBAL__N_127rocblas_gemm_batched_kernelI19rocblas_complex_numIfELi16ELi16ELi32ELi32ELi8ELi32ELi8ELi8ELi32ELc78ELc67EKS2_S3_S2_EEvlllT_PT11_llS6_llS4_PT12_llPT13_lli,comdat
	.globl	_ZN12_GLOBAL__N_127rocblas_gemm_batched_kernelI19rocblas_complex_numIfELi16ELi16ELi32ELi32ELi8ELi32ELi8ELi8ELi32ELc78ELc67EKS2_S3_S2_EEvlllT_PT11_llS6_llS4_PT12_llPT13_lli ; -- Begin function _ZN12_GLOBAL__N_127rocblas_gemm_batched_kernelI19rocblas_complex_numIfELi16ELi16ELi32ELi32ELi8ELi32ELi8ELi8ELi32ELc78ELc67EKS2_S3_S2_EEvlllT_PT11_llS6_llS4_PT12_llPT13_lli
	.p2align	8
	.type	_ZN12_GLOBAL__N_127rocblas_gemm_batched_kernelI19rocblas_complex_numIfELi16ELi16ELi32ELi32ELi8ELi32ELi8ELi8ELi32ELc78ELc67EKS2_S3_S2_EEvlllT_PT11_llS6_llS4_PT12_llPT13_lli,@function
_ZN12_GLOBAL__N_127rocblas_gemm_batched_kernelI19rocblas_complex_numIfELi16ELi16ELi32ELi32ELi8ELi32ELi8ELi8ELi32ELc78ELc67EKS2_S3_S2_EEvlllT_PT11_llS6_llS4_PT12_llPT13_lli: ; @_ZN12_GLOBAL__N_127rocblas_gemm_batched_kernelI19rocblas_complex_numIfELi16ELi16ELi32ELi32ELi8ELi32ELi8ELi8ELi32ELc78ELc67EKS2_S3_S2_EEvlllT_PT11_llS6_llS4_PT12_llPT13_lli
; %bb.0:
	s_clause 0x1
	s_load_dwordx16 s[12:27], s[4:5], 0x10
	s_load_dwordx2 s[10:11], s[4:5], 0x50
	s_mov_b32 s0, s7
	v_mov_b32_e32 v12, 0
	v_mov_b32_e32 v13, 0
	;; [unrolled: 1-line block ×8, first 2 shown]
	s_ashr_i32 s7, s6, 31
	s_ashr_i32 s1, s0, 31
	s_lshl_b64 s[28:29], s[6:7], 5
	s_lshl_b64 s[30:31], s[0:1], 5
	s_waitcnt lgkmcnt(0)
	v_cmp_lt_i64_e64 s2, s[12:13], 1
	s_and_b32 vcc_lo, exec_lo, s2
	s_cbranch_vccnz .LBB517_3
; %bb.1:
	v_lshl_add_u32 v7, v1, 4, v0
	v_and_b32_e32 v10, 7, v0
	v_mov_b32_e32 v6, 0
	s_mul_i32 s1, s21, s8
	s_mul_hi_u32 s2, s20, s8
	v_lshrrev_b32_e32 v9, 3, v7
	v_lshrrev_b32_e32 v11, 5, v7
	v_lshlrev_b32_e32 v13, 3, v10
	v_and_b32_e32 v12, 31, v7
	s_add_i32 s1, s2, s1
	v_add_co_u32 v2, s0, v9, s30
	v_add_co_ci_u32_e64 v3, null, 0, s31, s0
	v_mad_u64_u32 v[4:5], null, s18, v11, s[28:29]
	v_lshl_or_b32 v13, v9, 6, v13
	v_mad_u64_u32 v[2:3], null, s24, v10, v[2:3]
	s_mul_i32 s0, s20, s8
	s_mul_hi_u32 s2, s26, s8
	s_lshl_b64 s[0:1], s[0:1], 3
	v_mad_u64_u32 v[7:8], null, s19, v11, v[5:6]
	s_add_u32 s6, s16, s0
	v_mad_u64_u32 v[8:9], null, s25, v10, v[3:4]
	v_add_co_u32 v4, vcc_lo, v4, v12
	s_mul_i32 s0, s27, s8
	v_add_co_ci_u32_e64 v5, null, 0, v7, vcc_lo
	s_addc_u32 s7, s17, s1
	v_mov_b32_e32 v3, v8
	s_add_i32 s1, s2, s0
	s_mul_i32 s0, s26, s8
	v_lshlrev_b64 v[4:5], 3, v[4:5]
	s_lshl_b64 s[2:3], s[0:1], 3
	v_lshlrev_b64 v[2:3], 3, v[2:3]
	s_lshl_b64 s[0:1], s[18:19], 6
	s_add_u32 s2, s22, s2
	s_addc_u32 s3, s23, s3
	v_lshlrev_b32_e32 v16, 3, v12
	v_lshlrev_b32_e32 v14, 3, v0
	v_add_co_u32 v7, vcc_lo, s2, v2
	v_add_co_ci_u32_e64 v8, null, s3, v3, vcc_lo
	v_add_co_u32 v2, vcc_lo, s6, v4
	v_add_co_ci_u32_e64 v3, null, s7, v5, vcc_lo
	v_add_co_u32 v4, vcc_lo, v7, 4
	v_lshl_add_u32 v15, v1, 6, 0x800
	v_lshl_or_b32 v16, v11, 8, v16
	v_add_nc_u32_e32 v17, 0x800, v13
	v_add_co_ci_u32_e64 v5, null, 0, v8, vcc_lo
	v_mov_b32_e32 v7, 0
	v_mov_b32_e32 v9, 0
	;; [unrolled: 1-line block ×7, first 2 shown]
	s_lshl_b64 s[2:3], s[24:25], 6
	s_mov_b64 s[6:7], 0
.LBB517_2:                              ; =>This Inner Loop Header: Depth=1
	global_load_dwordx2 v[18:19], v[4:5], off offset:-4
	global_load_dwordx2 v[20:21], v[2:3], off
	s_add_u32 s6, s6, 8
	s_addc_u32 s7, s7, 0
	v_add_co_u32 v2, vcc_lo, v2, s0
	v_cmp_lt_i64_e64 s9, s[6:7], s[12:13]
	v_add_co_ci_u32_e64 v3, null, s1, v3, vcc_lo
	v_add_co_u32 v4, vcc_lo, v4, s2
	v_add_co_ci_u32_e64 v5, null, s3, v5, vcc_lo
	s_and_b32 vcc_lo, exec_lo, s9
	s_waitcnt vmcnt(1)
	v_xor_b32_e32 v19, 0x80000000, v19
	s_waitcnt vmcnt(0)
	ds_write_b64 v16, v[20:21]
	ds_write_b64 v17, v[18:19]
	s_waitcnt lgkmcnt(0)
	s_barrier
	buffer_gl0_inv
	ds_read_b128 v[18:21], v15
	ds_read2_b64 v[22:25], v14 offset1:16
	ds_read_b128 v[26:29], v15 offset:1024
	ds_read2_b64 v[30:33], v14 offset0:32 offset1:48
	ds_read_b128 v[34:37], v15 offset:16
	ds_read2_b64 v[38:41], v14 offset0:64 offset1:80
	;; [unrolled: 2-line block ×3, first 2 shown]
	ds_read2_b64 v[50:53], v14 offset0:128 offset1:144
	ds_read2_b64 v[54:57], v14 offset0:160 offset1:176
	ds_read_b128 v[58:61], v15 offset:32
	ds_read_b128 v[62:65], v15 offset:48
	ds_read2_b64 v[66:69], v14 offset0:192 offset1:208
	ds_read_b128 v[70:73], v15 offset:1056
	ds_read_b128 v[74:77], v15 offset:1072
	ds_read2_b64 v[78:81], v14 offset0:224 offset1:240
	s_waitcnt lgkmcnt(0)
	s_barrier
	buffer_gl0_inv
	v_mul_f32_e32 v82, v19, v23
	v_mul_f32_e32 v83, v18, v23
	;; [unrolled: 1-line block ×12, first 2 shown]
	v_fma_f32 v82, v18, v22, -v82
	v_fmac_f32_e32 v83, v19, v22
	v_fma_f32 v18, v18, v24, -v84
	v_fmac_f32_e32 v85, v19, v24
	;; [unrolled: 2-line block ×4, first 2 shown]
	v_mul_f32_e32 v24, v29, v31
	v_mul_f32_e32 v26, v28, v31
	;; [unrolled: 1-line block ×4, first 2 shown]
	v_fma_f32 v33, v20, v30, -v88
	v_fmac_f32_e32 v89, v21, v30
	v_fma_f32 v20, v20, v32, -v90
	v_fmac_f32_e32 v91, v21, v32
	v_mul_f32_e32 v21, v35, v39
	v_mul_f32_e32 v84, v34, v39
	v_mul_f32_e32 v86, v35, v41
	v_mul_f32_e32 v87, v34, v41
	v_fma_f32 v24, v28, v30, -v24
	v_fmac_f32_e32 v26, v29, v30
	v_fma_f32 v27, v28, v32, -v27
	v_fmac_f32_e32 v31, v29, v32
	v_mul_f32_e32 v28, v43, v39
	v_mul_f32_e32 v29, v42, v39
	v_mul_f32_e32 v30, v43, v41
	v_mul_f32_e32 v32, v42, v41
	v_add_f32_e32 v12, v12, v82
	v_add_f32_e32 v13, v13, v83
	v_add_f32_e32 v10, v10, v18
	v_add_f32_e32 v11, v11, v85
	v_add_f32_e32 v8, v8, v19
	v_add_f32_e32 v9, v9, v23
	v_add_f32_e32 v7, v7, v22
	v_add_f32_e32 v6, v6, v25
	v_mul_f32_e32 v39, v37, v47
	v_mul_f32_e32 v41, v36, v47
	v_mul_f32_e32 v88, v37, v49
	v_mul_f32_e32 v90, v36, v49
	v_fma_f32 v21, v34, v38, -v21
	v_fmac_f32_e32 v84, v35, v38
	v_fma_f32 v34, v34, v40, -v86
	v_fmac_f32_e32 v87, v35, v40
	v_fma_f32 v28, v42, v38, -v28
	v_fmac_f32_e32 v29, v43, v38
	v_fma_f32 v30, v42, v40, -v30
	v_fmac_f32_e32 v32, v43, v40
	v_mul_f32_e32 v35, v45, v47
	v_mul_f32_e32 v38, v44, v47
	v_mul_f32_e32 v40, v45, v49
	v_mul_f32_e32 v42, v44, v49
	v_add_f32_e32 v12, v12, v33
	v_add_f32_e32 v13, v13, v89
	v_add_f32_e32 v10, v10, v20
	v_add_f32_e32 v11, v11, v91
	v_add_f32_e32 v8, v8, v24
	v_add_f32_e32 v9, v9, v26
	v_add_f32_e32 v7, v7, v27
	v_add_f32_e32 v6, v6, v31
	v_fma_f32 v39, v36, v46, -v39
	v_fmac_f32_e32 v41, v37, v46
	v_fma_f32 v36, v36, v48, -v88
	v_fmac_f32_e32 v90, v37, v48
	v_mul_f32_e32 v37, v59, v51
	v_mul_f32_e32 v43, v58, v51
	v_mul_f32_e32 v47, v59, v53
	v_mul_f32_e32 v49, v58, v53
	v_fma_f32 v35, v44, v46, -v35
	v_fmac_f32_e32 v38, v45, v46
	v_fma_f32 v40, v44, v48, -v40
	v_fmac_f32_e32 v42, v45, v48
	v_mul_f32_e32 v44, v71, v51
	v_mul_f32_e32 v45, v70, v51
	v_mul_f32_e32 v46, v71, v53
	v_mul_f32_e32 v48, v70, v53
	v_add_f32_e32 v12, v12, v21
	v_add_f32_e32 v13, v13, v84
	v_add_f32_e32 v10, v10, v34
	v_add_f32_e32 v11, v11, v87
	v_add_f32_e32 v8, v8, v28
	v_add_f32_e32 v9, v9, v29
	v_add_f32_e32 v7, v7, v30
	v_add_f32_e32 v6, v6, v32
	v_mul_f32_e32 v51, v61, v55
	v_mul_f32_e32 v53, v60, v55
	v_mul_f32_e32 v86, v61, v57
	v_mul_f32_e32 v88, v60, v57
	v_fma_f32 v37, v58, v50, -v37
	v_fmac_f32_e32 v43, v59, v50
	v_fma_f32 v47, v58, v52, -v47
	v_fmac_f32_e32 v49, v59, v52
	v_fma_f32 v44, v70, v50, -v44
	v_fmac_f32_e32 v45, v71, v50
	v_fma_f32 v46, v70, v52, -v46
	v_fmac_f32_e32 v48, v71, v52
	v_mul_f32_e32 v50, v73, v55
	v_mul_f32_e32 v52, v72, v55
	v_mul_f32_e32 v55, v73, v57
	v_mul_f32_e32 v57, v72, v57
	v_add_f32_e32 v12, v12, v39
	v_add_f32_e32 v13, v13, v41
	v_add_f32_e32 v10, v10, v36
	v_add_f32_e32 v11, v11, v90
	v_add_f32_e32 v8, v8, v35
	v_add_f32_e32 v9, v9, v38
	v_add_f32_e32 v7, v7, v40
	v_add_f32_e32 v6, v6, v42
	;; [unrolled: 48-line block ×3, first 2 shown]
	v_fma_f32 v71, v64, v78, -v71
	v_fmac_f32_e32 v72, v65, v78
	v_fma_f32 v64, v64, v80, -v73
	v_fmac_f32_e32 v86, v65, v80
	;; [unrolled: 2-line block ×4, first 2 shown]
	v_add_f32_e32 v12, v12, v59
	v_add_f32_e32 v13, v13, v60
	;; [unrolled: 1-line block ×16, first 2 shown]
	s_cbranch_vccnz .LBB517_2
.LBB517_3:
	s_clause 0x1
	s_load_dwordx4 s[16:19], s[4:5], 0x78
	s_load_dwordx8 s[0:7], s[4:5], 0x58
	s_waitcnt lgkmcnt(0)
	s_mul_i32 s9, s19, s8
	s_mul_hi_u32 s13, s18, s8
	s_mul_i32 s12, s18, s8
	s_add_i32 s13, s13, s9
	s_lshl_b64 s[12:13], s[12:13], 3
	s_add_u32 s6, s6, s12
	v_add_co_u32 v4, s12, s30, v1
	v_add_co_ci_u32_e64 v5, null, s31, 0, s12
	v_add_co_u32 v0, s12, s28, v0
	s_addc_u32 s7, s7, s13
	s_or_b32 s9, s10, s11
	v_add_co_ci_u32_e64 v1, null, s29, 0, s12
	s_bitset0_b32 s9, 31
	s_cmp_lg_u32 s9, 0
	s_mov_b32 s9, 0
	s_cbranch_scc1 .LBB517_5
; %bb.4:
	v_mul_lo_u32 v14, v5, s16
	v_mul_lo_u32 v15, v4, s17
	v_mad_u64_u32 v[2:3], null, v4, s16, 0
	v_lshlrev_b64 v[17:18], 3, v[0:1]
	s_lshl_b64 s[12:13], s[16:17], 7
	v_mul_f32_e32 v19, s15, v13
	v_mul_f32_e32 v16, s14, v13
	;; [unrolled: 1-line block ×4, first 2 shown]
	v_add3_u32 v3, v3, v15, v14
	v_mul_f32_e32 v14, s15, v11
	v_fma_f32 v15, v12, s14, -v19
	v_mul_f32_e32 v24, s14, v9
	v_mul_f32_e32 v25, s15, v6
	v_lshlrev_b64 v[2:3], 3, v[2:3]
	v_fma_f32 v19, v10, s14, -v14
	v_mul_f32_e32 v14, s14, v6
	v_fmac_f32_e32 v16, s15, v12
	v_fmac_f32_e32 v20, s15, v10
	v_fma_f32 v23, v8, s14, -v23
	v_add_co_u32 v2, vcc_lo, s6, v2
	v_add_co_ci_u32_e64 v3, null, s7, v3, vcc_lo
	v_fmac_f32_e32 v14, s15, v7
	v_add_co_u32 v21, vcc_lo, v2, v17
	v_add_co_ci_u32_e64 v22, null, v3, v18, vcc_lo
	v_add_co_u32 v2, vcc_lo, v2, s12
	v_add_co_ci_u32_e64 v3, null, s13, v3, vcc_lo
	v_fmac_f32_e32 v24, s15, v8
	v_add_co_u32 v17, vcc_lo, v2, v17
	v_add_co_ci_u32_e64 v18, null, v3, v18, vcc_lo
	v_fma_f32 v25, v7, s14, -v25
	v_add_co_u32 v2, vcc_lo, 0x80, v17
	v_add_co_ci_u32_e64 v3, null, 0, v18, vcc_lo
	global_store_dwordx2 v[21:22], v[15:16], off
	global_store_dwordx2 v[21:22], v[19:20], off offset:128
	global_store_dwordx2 v[17:18], v[23:24], off
	global_store_dword v[17:18], v25, off offset:128
	s_andn2_b32 vcc_lo, exec_lo, s9
	s_cbranch_vccz .LBB517_6
	s_branch .LBB517_7
.LBB517_5:
                                        ; implicit-def: $vgpr14
                                        ; implicit-def: $vgpr2_vgpr3
.LBB517_6:
	v_mul_lo_u32 v14, v5, s2
	v_mul_lo_u32 v15, v4, s3
	v_mad_u64_u32 v[2:3], null, v4, s2, 0
	s_mul_i32 s5, s5, s8
	s_mul_hi_u32 s9, s4, s8
	s_mul_i32 s4, s4, s8
	s_add_i32 s5, s9, s5
	v_lshlrev_b64 v[0:1], 3, v[0:1]
	s_lshl_b64 s[4:5], s[4:5], 3
	v_add3_u32 v3, v3, v15, v14
	s_add_u32 s0, s0, s4
	s_addc_u32 s1, s1, s5
	v_mul_lo_u32 v18, v5, s16
	v_mul_lo_u32 v19, v4, s17
	v_lshlrev_b64 v[2:3], 3, v[2:3]
	v_mad_u64_u32 v[4:5], null, v4, s16, 0
	v_add_co_u32 v16, vcc_lo, s0, v2
	v_add_co_ci_u32_e64 v17, null, s1, v3, vcc_lo
	v_add3_u32 v5, v5, v19, v18
	v_add_co_u32 v2, vcc_lo, v16, v0
	v_add_co_ci_u32_e64 v3, null, v17, v1, vcc_lo
	v_mul_f32_e32 v18, s15, v13
	v_mul_f32_e32 v13, s14, v13
	v_lshlrev_b64 v[4:5], 3, v[4:5]
	global_load_dwordx2 v[14:15], v[2:3], off
	s_lshl_b64 s[0:1], s[2:3], 7
	v_fma_f32 v18, v12, s14, -v18
	v_fmac_f32_e32 v13, s15, v12
	v_add_co_u32 v19, vcc_lo, s6, v4
	v_add_co_ci_u32_e64 v20, null, s7, v5, vcc_lo
	v_add_co_u32 v4, vcc_lo, v19, v0
	v_add_co_ci_u32_e64 v5, null, v20, v1, vcc_lo
	s_waitcnt vmcnt(0)
	v_mul_f32_e32 v12, s11, v15
	v_mul_f32_e32 v15, s10, v15
	v_fma_f32 v12, v14, s10, -v12
	v_fmac_f32_e32 v15, s11, v14
	v_add_f32_e32 v12, v18, v12
	v_add_f32_e32 v13, v13, v15
	global_store_dwordx2 v[4:5], v[12:13], off
	global_load_dwordx2 v[2:3], v[2:3], off offset:128
	v_mul_f32_e32 v12, s15, v11
	v_mul_f32_e32 v11, s14, v11
	v_fma_f32 v12, v10, s14, -v12
	v_fmac_f32_e32 v11, s15, v10
	s_waitcnt vmcnt(0)
	v_mul_f32_e32 v13, s11, v3
	v_mul_f32_e32 v3, s10, v3
	v_fma_f32 v10, v2, s10, -v13
	v_add_co_u32 v13, vcc_lo, v16, s0
	v_fmac_f32_e32 v3, s11, v2
	v_add_co_ci_u32_e64 v14, null, s1, v17, vcc_lo
	v_add_f32_e32 v2, v12, v10
	v_add_co_u32 v10, vcc_lo, v13, v0
	v_add_f32_e32 v3, v11, v3
	v_add_co_ci_u32_e64 v11, null, v14, v1, vcc_lo
	s_lshl_b64 s[0:1], s[16:17], 7
	global_store_dwordx2 v[4:5], v[2:3], off offset:128
	global_load_dwordx2 v[2:3], v[10:11], off
	v_mul_f32_e32 v4, s15, v9
	v_mul_f32_e32 v5, s14, v9
	v_add_co_u32 v9, vcc_lo, v19, s0
	v_add_co_ci_u32_e64 v12, null, s1, v20, vcc_lo
	v_fma_f32 v4, v8, s14, -v4
	v_fmac_f32_e32 v5, s15, v8
	v_add_co_u32 v0, vcc_lo, v9, v0
	v_add_co_ci_u32_e64 v1, null, v12, v1, vcc_lo
	s_waitcnt vmcnt(0)
	v_mul_f32_e32 v8, s11, v3
	v_mul_f32_e32 v3, s10, v3
	v_fma_f32 v8, v2, s10, -v8
	v_fmac_f32_e32 v3, s11, v2
	v_add_f32_e32 v2, v4, v8
	v_add_f32_e32 v3, v5, v3
	v_mul_f32_e32 v4, s15, v6
	v_mul_f32_e32 v5, s14, v6
	global_store_dwordx2 v[0:1], v[2:3], off
	global_load_dwordx2 v[2:3], v[10:11], off offset:128
	v_fma_f32 v4, v7, s14, -v4
	v_fmac_f32_e32 v5, s15, v7
	s_waitcnt vmcnt(0)
	v_mul_f32_e32 v6, s11, v3
	v_mul_f32_e32 v3, s10, v3
	v_fma_f32 v6, v2, s10, -v6
	v_fmac_f32_e32 v3, s11, v2
	v_add_co_u32 v2, vcc_lo, 0x80, v0
	v_add_f32_e32 v4, v4, v6
	v_add_f32_e32 v14, v5, v3
	v_add_co_ci_u32_e64 v3, null, 0, v1, vcc_lo
	global_store_dword v[0:1], v4, off offset:128
.LBB517_7:
	global_store_dword v[2:3], v14, off offset:4
	s_endpgm
	.section	.rodata,"a",@progbits
	.p2align	6, 0x0
	.amdhsa_kernel _ZN12_GLOBAL__N_127rocblas_gemm_batched_kernelI19rocblas_complex_numIfELi16ELi16ELi32ELi32ELi8ELi32ELi8ELi8ELi32ELc78ELc67EKS2_S3_S2_EEvlllT_PT11_llS6_llS4_PT12_llPT13_lli
		.amdhsa_group_segment_fixed_size 4096
		.amdhsa_private_segment_fixed_size 0
		.amdhsa_kernarg_size 140
		.amdhsa_user_sgpr_count 6
		.amdhsa_user_sgpr_private_segment_buffer 1
		.amdhsa_user_sgpr_dispatch_ptr 0
		.amdhsa_user_sgpr_queue_ptr 0
		.amdhsa_user_sgpr_kernarg_segment_ptr 1
		.amdhsa_user_sgpr_dispatch_id 0
		.amdhsa_user_sgpr_flat_scratch_init 0
		.amdhsa_user_sgpr_private_segment_size 0
		.amdhsa_wavefront_size32 1
		.amdhsa_uses_dynamic_stack 0
		.amdhsa_system_sgpr_private_segment_wavefront_offset 0
		.amdhsa_system_sgpr_workgroup_id_x 1
		.amdhsa_system_sgpr_workgroup_id_y 1
		.amdhsa_system_sgpr_workgroup_id_z 1
		.amdhsa_system_sgpr_workgroup_info 0
		.amdhsa_system_vgpr_workitem_id 1
		.amdhsa_next_free_vgpr 92
		.amdhsa_next_free_sgpr 32
		.amdhsa_reserve_vcc 1
		.amdhsa_reserve_flat_scratch 0
		.amdhsa_float_round_mode_32 0
		.amdhsa_float_round_mode_16_64 0
		.amdhsa_float_denorm_mode_32 3
		.amdhsa_float_denorm_mode_16_64 3
		.amdhsa_dx10_clamp 1
		.amdhsa_ieee_mode 1
		.amdhsa_fp16_overflow 0
		.amdhsa_workgroup_processor_mode 1
		.amdhsa_memory_ordered 1
		.amdhsa_forward_progress 1
		.amdhsa_shared_vgpr_count 0
		.amdhsa_exception_fp_ieee_invalid_op 0
		.amdhsa_exception_fp_denorm_src 0
		.amdhsa_exception_fp_ieee_div_zero 0
		.amdhsa_exception_fp_ieee_overflow 0
		.amdhsa_exception_fp_ieee_underflow 0
		.amdhsa_exception_fp_ieee_inexact 0
		.amdhsa_exception_int_div_zero 0
	.end_amdhsa_kernel
	.section	.text._ZN12_GLOBAL__N_127rocblas_gemm_batched_kernelI19rocblas_complex_numIfELi16ELi16ELi32ELi32ELi8ELi32ELi8ELi8ELi32ELc78ELc67EKS2_S3_S2_EEvlllT_PT11_llS6_llS4_PT12_llPT13_lli,"axG",@progbits,_ZN12_GLOBAL__N_127rocblas_gemm_batched_kernelI19rocblas_complex_numIfELi16ELi16ELi32ELi32ELi8ELi32ELi8ELi8ELi32ELc78ELc67EKS2_S3_S2_EEvlllT_PT11_llS6_llS4_PT12_llPT13_lli,comdat
.Lfunc_end517:
	.size	_ZN12_GLOBAL__N_127rocblas_gemm_batched_kernelI19rocblas_complex_numIfELi16ELi16ELi32ELi32ELi8ELi32ELi8ELi8ELi32ELc78ELc67EKS2_S3_S2_EEvlllT_PT11_llS6_llS4_PT12_llPT13_lli, .Lfunc_end517-_ZN12_GLOBAL__N_127rocblas_gemm_batched_kernelI19rocblas_complex_numIfELi16ELi16ELi32ELi32ELi8ELi32ELi8ELi8ELi32ELc78ELc67EKS2_S3_S2_EEvlllT_PT11_llS6_llS4_PT12_llPT13_lli
                                        ; -- End function
	.set _ZN12_GLOBAL__N_127rocblas_gemm_batched_kernelI19rocblas_complex_numIfELi16ELi16ELi32ELi32ELi8ELi32ELi8ELi8ELi32ELc78ELc67EKS2_S3_S2_EEvlllT_PT11_llS6_llS4_PT12_llPT13_lli.num_vgpr, 92
	.set _ZN12_GLOBAL__N_127rocblas_gemm_batched_kernelI19rocblas_complex_numIfELi16ELi16ELi32ELi32ELi8ELi32ELi8ELi8ELi32ELc78ELc67EKS2_S3_S2_EEvlllT_PT11_llS6_llS4_PT12_llPT13_lli.num_agpr, 0
	.set _ZN12_GLOBAL__N_127rocblas_gemm_batched_kernelI19rocblas_complex_numIfELi16ELi16ELi32ELi32ELi8ELi32ELi8ELi8ELi32ELc78ELc67EKS2_S3_S2_EEvlllT_PT11_llS6_llS4_PT12_llPT13_lli.numbered_sgpr, 32
	.set _ZN12_GLOBAL__N_127rocblas_gemm_batched_kernelI19rocblas_complex_numIfELi16ELi16ELi32ELi32ELi8ELi32ELi8ELi8ELi32ELc78ELc67EKS2_S3_S2_EEvlllT_PT11_llS6_llS4_PT12_llPT13_lli.num_named_barrier, 0
	.set _ZN12_GLOBAL__N_127rocblas_gemm_batched_kernelI19rocblas_complex_numIfELi16ELi16ELi32ELi32ELi8ELi32ELi8ELi8ELi32ELc78ELc67EKS2_S3_S2_EEvlllT_PT11_llS6_llS4_PT12_llPT13_lli.private_seg_size, 0
	.set _ZN12_GLOBAL__N_127rocblas_gemm_batched_kernelI19rocblas_complex_numIfELi16ELi16ELi32ELi32ELi8ELi32ELi8ELi8ELi32ELc78ELc67EKS2_S3_S2_EEvlllT_PT11_llS6_llS4_PT12_llPT13_lli.uses_vcc, 1
	.set _ZN12_GLOBAL__N_127rocblas_gemm_batched_kernelI19rocblas_complex_numIfELi16ELi16ELi32ELi32ELi8ELi32ELi8ELi8ELi32ELc78ELc67EKS2_S3_S2_EEvlllT_PT11_llS6_llS4_PT12_llPT13_lli.uses_flat_scratch, 0
	.set _ZN12_GLOBAL__N_127rocblas_gemm_batched_kernelI19rocblas_complex_numIfELi16ELi16ELi32ELi32ELi8ELi32ELi8ELi8ELi32ELc78ELc67EKS2_S3_S2_EEvlllT_PT11_llS6_llS4_PT12_llPT13_lli.has_dyn_sized_stack, 0
	.set _ZN12_GLOBAL__N_127rocblas_gemm_batched_kernelI19rocblas_complex_numIfELi16ELi16ELi32ELi32ELi8ELi32ELi8ELi8ELi32ELc78ELc67EKS2_S3_S2_EEvlllT_PT11_llS6_llS4_PT12_llPT13_lli.has_recursion, 0
	.set _ZN12_GLOBAL__N_127rocblas_gemm_batched_kernelI19rocblas_complex_numIfELi16ELi16ELi32ELi32ELi8ELi32ELi8ELi8ELi32ELc78ELc67EKS2_S3_S2_EEvlllT_PT11_llS6_llS4_PT12_llPT13_lli.has_indirect_call, 0
	.section	.AMDGPU.csdata,"",@progbits
; Kernel info:
; codeLenInByte = 2476
; TotalNumSgprs: 34
; NumVgprs: 92
; ScratchSize: 0
; MemoryBound: 0
; FloatMode: 240
; IeeeMode: 1
; LDSByteSize: 4096 bytes/workgroup (compile time only)
; SGPRBlocks: 0
; VGPRBlocks: 11
; NumSGPRsForWavesPerEU: 34
; NumVGPRsForWavesPerEU: 92
; Occupancy: 10
; WaveLimiterHint : 1
; COMPUTE_PGM_RSRC2:SCRATCH_EN: 0
; COMPUTE_PGM_RSRC2:USER_SGPR: 6
; COMPUTE_PGM_RSRC2:TRAP_HANDLER: 0
; COMPUTE_PGM_RSRC2:TGID_X_EN: 1
; COMPUTE_PGM_RSRC2:TGID_Y_EN: 1
; COMPUTE_PGM_RSRC2:TGID_Z_EN: 1
; COMPUTE_PGM_RSRC2:TIDIG_COMP_CNT: 1
	.section	.text._ZN12_GLOBAL__N_127rocblas_gemm_batched_kernelI19rocblas_complex_numIfELi16ELi16ELi32ELi32ELi8ELi32ELi8ELi8ELi32ELc84ELc67EKS2_S3_S2_EEvlllT_PT11_llS6_llS4_PT12_llPT13_lli,"axG",@progbits,_ZN12_GLOBAL__N_127rocblas_gemm_batched_kernelI19rocblas_complex_numIfELi16ELi16ELi32ELi32ELi8ELi32ELi8ELi8ELi32ELc84ELc67EKS2_S3_S2_EEvlllT_PT11_llS6_llS4_PT12_llPT13_lli,comdat
	.globl	_ZN12_GLOBAL__N_127rocblas_gemm_batched_kernelI19rocblas_complex_numIfELi16ELi16ELi32ELi32ELi8ELi32ELi8ELi8ELi32ELc84ELc67EKS2_S3_S2_EEvlllT_PT11_llS6_llS4_PT12_llPT13_lli ; -- Begin function _ZN12_GLOBAL__N_127rocblas_gemm_batched_kernelI19rocblas_complex_numIfELi16ELi16ELi32ELi32ELi8ELi32ELi8ELi8ELi32ELc84ELc67EKS2_S3_S2_EEvlllT_PT11_llS6_llS4_PT12_llPT13_lli
	.p2align	8
	.type	_ZN12_GLOBAL__N_127rocblas_gemm_batched_kernelI19rocblas_complex_numIfELi16ELi16ELi32ELi32ELi8ELi32ELi8ELi8ELi32ELc84ELc67EKS2_S3_S2_EEvlllT_PT11_llS6_llS4_PT12_llPT13_lli,@function
_ZN12_GLOBAL__N_127rocblas_gemm_batched_kernelI19rocblas_complex_numIfELi16ELi16ELi32ELi32ELi8ELi32ELi8ELi8ELi32ELc84ELc67EKS2_S3_S2_EEvlllT_PT11_llS6_llS4_PT12_llPT13_lli: ; @_ZN12_GLOBAL__N_127rocblas_gemm_batched_kernelI19rocblas_complex_numIfELi16ELi16ELi32ELi32ELi8ELi32ELi8ELi8ELi32ELc84ELc67EKS2_S3_S2_EEvlllT_PT11_llS6_llS4_PT12_llPT13_lli
; %bb.0:
	s_clause 0x1
	s_load_dwordx16 s[12:27], s[4:5], 0x10
	s_load_dwordx2 s[10:11], s[4:5], 0x50
	s_mov_b32 s0, s7
	v_mov_b32_e32 v12, 0
	v_mov_b32_e32 v13, 0
	;; [unrolled: 1-line block ×8, first 2 shown]
	s_ashr_i32 s7, s6, 31
	s_ashr_i32 s1, s0, 31
	s_lshl_b64 s[28:29], s[6:7], 5
	s_lshl_b64 s[30:31], s[0:1], 5
	s_waitcnt lgkmcnt(0)
	v_cmp_lt_i64_e64 s2, s[12:13], 1
	s_and_b32 vcc_lo, exec_lo, s2
	s_cbranch_vccnz .LBB518_3
; %bb.1:
	v_lshl_add_u32 v7, v1, 4, v0
	v_and_b32_e32 v8, 7, v0
	s_mul_i32 s1, s21, s8
	s_mul_hi_u32 s2, s20, s8
	s_mul_hi_u32 s3, s26, s8
	v_lshrrev_b32_e32 v9, 3, v7
	v_and_b32_e32 v10, 31, v7
	v_lshlrev_b32_e32 v13, 3, v8
	v_lshrrev_b32_e32 v18, 5, v7
	s_add_i32 s1, s2, s1
	v_add_co_u32 v2, s0, v9, s30
	v_add_co_ci_u32_e64 v3, null, 0, s31, s0
	v_add_co_u32 v4, s0, s28, v10
	v_add_co_ci_u32_e64 v5, null, s29, 0, s0
	v_mad_u64_u32 v[2:3], null, s24, v8, v[2:3]
	v_mul_lo_u32 v11, s19, v4
	v_mul_lo_u32 v12, s18, v5
	v_mad_u64_u32 v[4:5], null, s18, v4, 0
	s_mul_i32 s0, s20, s8
	s_mul_i32 s2, s27, s8
	s_lshl_b64 s[0:1], s[0:1], 3
	s_add_i32 s3, s3, s2
	s_mul_i32 s2, s26, s8
	v_lshlrev_b32_e32 v10, 3, v10
	v_mad_u64_u32 v[7:8], null, s25, v8, v[3:4]
	v_add3_u32 v5, v5, v12, v11
	v_lshl_or_b32 v3, v9, 6, v13
	v_mov_b32_e32 v6, 0
	v_lshlrev_b32_e32 v14, 3, v0
	v_lshl_add_u32 v15, v1, 6, 0x800
	v_lshlrev_b64 v[4:5], 3, v[4:5]
	v_add_nc_u32_e32 v17, 0x800, v3
	v_mov_b32_e32 v3, v7
	v_lshlrev_b32_e32 v7, 3, v18
	v_lshl_or_b32 v16, v18, 8, v10
	v_mov_b32_e32 v9, 0
	v_add_co_u32 v4, vcc_lo, v4, s0
	v_lshlrev_b64 v[2:3], 3, v[2:3]
	v_add_co_ci_u32_e64 v5, null, s1, v5, vcc_lo
	s_lshl_b64 s[0:1], s[2:3], 3
	v_add_co_u32 v4, vcc_lo, v4, v7
	s_add_u32 s0, s22, s0
	v_add_co_ci_u32_e64 v5, null, 0, v5, vcc_lo
	s_addc_u32 s1, s23, s1
	v_add_co_u32 v7, vcc_lo, s0, v2
	v_add_co_ci_u32_e64 v8, null, s1, v3, vcc_lo
	v_add_co_u32 v2, vcc_lo, s16, v4
	v_add_co_ci_u32_e64 v3, null, s17, v5, vcc_lo
	;; [unrolled: 2-line block ×3, first 2 shown]
	v_mov_b32_e32 v7, 0
	v_mov_b32_e32 v8, 0
	;; [unrolled: 1-line block ×6, first 2 shown]
	s_lshl_b64 s[0:1], s[24:25], 6
	s_mov_b64 s[2:3], 0
.LBB518_2:                              ; =>This Inner Loop Header: Depth=1
	global_load_dwordx2 v[18:19], v[4:5], off offset:-4
	global_load_dwordx2 v[20:21], v[2:3], off
	s_add_u32 s2, s2, 8
	s_addc_u32 s3, s3, 0
	v_add_co_u32 v2, vcc_lo, v2, 64
	v_cmp_lt_i64_e64 s6, s[2:3], s[12:13]
	v_add_co_ci_u32_e64 v3, null, 0, v3, vcc_lo
	v_add_co_u32 v4, vcc_lo, v4, s0
	v_add_co_ci_u32_e64 v5, null, s1, v5, vcc_lo
	s_and_b32 vcc_lo, exec_lo, s6
	s_waitcnt vmcnt(1)
	v_xor_b32_e32 v19, 0x80000000, v19
	s_waitcnt vmcnt(0)
	ds_write_b64 v16, v[20:21]
	ds_write_b64 v17, v[18:19]
	s_waitcnt lgkmcnt(0)
	s_barrier
	buffer_gl0_inv
	ds_read_b128 v[18:21], v15
	ds_read2_b64 v[22:25], v14 offset1:16
	ds_read_b128 v[26:29], v15 offset:1024
	ds_read2_b64 v[30:33], v14 offset0:32 offset1:48
	ds_read_b128 v[34:37], v15 offset:16
	ds_read2_b64 v[38:41], v14 offset0:64 offset1:80
	;; [unrolled: 2-line block ×3, first 2 shown]
	ds_read2_b64 v[50:53], v14 offset0:128 offset1:144
	ds_read2_b64 v[54:57], v14 offset0:160 offset1:176
	ds_read_b128 v[58:61], v15 offset:32
	ds_read_b128 v[62:65], v15 offset:48
	ds_read2_b64 v[66:69], v14 offset0:192 offset1:208
	ds_read_b128 v[70:73], v15 offset:1056
	ds_read_b128 v[74:77], v15 offset:1072
	ds_read2_b64 v[78:81], v14 offset0:224 offset1:240
	s_waitcnt lgkmcnt(0)
	s_barrier
	buffer_gl0_inv
	v_mul_f32_e32 v82, v19, v23
	v_mul_f32_e32 v83, v18, v23
	;; [unrolled: 1-line block ×12, first 2 shown]
	v_fma_f32 v82, v18, v22, -v82
	v_fmac_f32_e32 v83, v19, v22
	v_fma_f32 v18, v18, v24, -v84
	v_fmac_f32_e32 v85, v19, v24
	;; [unrolled: 2-line block ×4, first 2 shown]
	v_mul_f32_e32 v24, v29, v31
	v_mul_f32_e32 v26, v28, v31
	;; [unrolled: 1-line block ×4, first 2 shown]
	v_fma_f32 v33, v20, v30, -v88
	v_fmac_f32_e32 v89, v21, v30
	v_fma_f32 v20, v20, v32, -v90
	v_fmac_f32_e32 v91, v21, v32
	v_mul_f32_e32 v21, v35, v39
	v_mul_f32_e32 v84, v34, v39
	v_mul_f32_e32 v86, v35, v41
	v_mul_f32_e32 v87, v34, v41
	v_fma_f32 v24, v28, v30, -v24
	v_fmac_f32_e32 v26, v29, v30
	v_fma_f32 v27, v28, v32, -v27
	v_fmac_f32_e32 v31, v29, v32
	v_mul_f32_e32 v28, v43, v39
	v_mul_f32_e32 v29, v42, v39
	v_mul_f32_e32 v30, v43, v41
	v_mul_f32_e32 v32, v42, v41
	v_add_f32_e32 v12, v12, v82
	v_add_f32_e32 v13, v13, v83
	v_add_f32_e32 v10, v10, v18
	v_add_f32_e32 v11, v11, v85
	v_add_f32_e32 v8, v8, v19
	v_add_f32_e32 v9, v9, v23
	v_add_f32_e32 v7, v7, v22
	v_add_f32_e32 v6, v6, v25
	v_mul_f32_e32 v39, v37, v47
	v_mul_f32_e32 v41, v36, v47
	v_mul_f32_e32 v88, v37, v49
	v_mul_f32_e32 v90, v36, v49
	v_fma_f32 v21, v34, v38, -v21
	v_fmac_f32_e32 v84, v35, v38
	v_fma_f32 v34, v34, v40, -v86
	v_fmac_f32_e32 v87, v35, v40
	v_fma_f32 v28, v42, v38, -v28
	v_fmac_f32_e32 v29, v43, v38
	v_fma_f32 v30, v42, v40, -v30
	v_fmac_f32_e32 v32, v43, v40
	v_mul_f32_e32 v35, v45, v47
	v_mul_f32_e32 v38, v44, v47
	v_mul_f32_e32 v40, v45, v49
	v_mul_f32_e32 v42, v44, v49
	v_add_f32_e32 v12, v12, v33
	v_add_f32_e32 v13, v13, v89
	v_add_f32_e32 v10, v10, v20
	v_add_f32_e32 v11, v11, v91
	v_add_f32_e32 v8, v8, v24
	v_add_f32_e32 v9, v9, v26
	v_add_f32_e32 v7, v7, v27
	v_add_f32_e32 v6, v6, v31
	v_fma_f32 v39, v36, v46, -v39
	v_fmac_f32_e32 v41, v37, v46
	v_fma_f32 v36, v36, v48, -v88
	v_fmac_f32_e32 v90, v37, v48
	v_mul_f32_e32 v37, v59, v51
	v_mul_f32_e32 v43, v58, v51
	v_mul_f32_e32 v47, v59, v53
	v_mul_f32_e32 v49, v58, v53
	v_fma_f32 v35, v44, v46, -v35
	v_fmac_f32_e32 v38, v45, v46
	v_fma_f32 v40, v44, v48, -v40
	v_fmac_f32_e32 v42, v45, v48
	v_mul_f32_e32 v44, v71, v51
	v_mul_f32_e32 v45, v70, v51
	v_mul_f32_e32 v46, v71, v53
	v_mul_f32_e32 v48, v70, v53
	v_add_f32_e32 v12, v12, v21
	v_add_f32_e32 v13, v13, v84
	v_add_f32_e32 v10, v10, v34
	v_add_f32_e32 v11, v11, v87
	v_add_f32_e32 v8, v8, v28
	v_add_f32_e32 v9, v9, v29
	v_add_f32_e32 v7, v7, v30
	v_add_f32_e32 v6, v6, v32
	v_mul_f32_e32 v51, v61, v55
	v_mul_f32_e32 v53, v60, v55
	v_mul_f32_e32 v86, v61, v57
	v_mul_f32_e32 v88, v60, v57
	v_fma_f32 v37, v58, v50, -v37
	v_fmac_f32_e32 v43, v59, v50
	v_fma_f32 v47, v58, v52, -v47
	v_fmac_f32_e32 v49, v59, v52
	v_fma_f32 v44, v70, v50, -v44
	v_fmac_f32_e32 v45, v71, v50
	v_fma_f32 v46, v70, v52, -v46
	v_fmac_f32_e32 v48, v71, v52
	v_mul_f32_e32 v50, v73, v55
	v_mul_f32_e32 v52, v72, v55
	v_mul_f32_e32 v55, v73, v57
	v_mul_f32_e32 v57, v72, v57
	v_add_f32_e32 v12, v12, v39
	v_add_f32_e32 v13, v13, v41
	v_add_f32_e32 v10, v10, v36
	v_add_f32_e32 v11, v11, v90
	v_add_f32_e32 v8, v8, v35
	v_add_f32_e32 v9, v9, v38
	v_add_f32_e32 v7, v7, v40
	v_add_f32_e32 v6, v6, v42
	;; [unrolled: 48-line block ×3, first 2 shown]
	v_fma_f32 v71, v64, v78, -v71
	v_fmac_f32_e32 v72, v65, v78
	v_fma_f32 v64, v64, v80, -v73
	v_fmac_f32_e32 v86, v65, v80
	v_fma_f32 v63, v76, v78, -v63
	v_fmac_f32_e32 v66, v77, v78
	v_fma_f32 v65, v76, v80, -v67
	v_fmac_f32_e32 v68, v77, v80
	v_add_f32_e32 v12, v12, v59
	v_add_f32_e32 v13, v13, v60
	;; [unrolled: 1-line block ×16, first 2 shown]
	s_cbranch_vccnz .LBB518_2
.LBB518_3:
	s_clause 0x1
	s_load_dwordx4 s[16:19], s[4:5], 0x78
	s_load_dwordx8 s[0:7], s[4:5], 0x58
	s_waitcnt lgkmcnt(0)
	s_mul_i32 s9, s19, s8
	s_mul_hi_u32 s13, s18, s8
	s_mul_i32 s12, s18, s8
	s_add_i32 s13, s13, s9
	s_lshl_b64 s[12:13], s[12:13], 3
	s_add_u32 s6, s6, s12
	v_add_co_u32 v4, s12, s30, v1
	v_add_co_ci_u32_e64 v5, null, s31, 0, s12
	v_add_co_u32 v0, s12, s28, v0
	s_addc_u32 s7, s7, s13
	s_or_b32 s9, s10, s11
	v_add_co_ci_u32_e64 v1, null, s29, 0, s12
	s_bitset0_b32 s9, 31
	s_cmp_lg_u32 s9, 0
	s_mov_b32 s9, 0
	s_cbranch_scc1 .LBB518_5
; %bb.4:
	v_mul_lo_u32 v14, v5, s16
	v_mul_lo_u32 v15, v4, s17
	v_mad_u64_u32 v[2:3], null, v4, s16, 0
	v_lshlrev_b64 v[17:18], 3, v[0:1]
	s_lshl_b64 s[12:13], s[16:17], 7
	v_mul_f32_e32 v19, s15, v13
	v_mul_f32_e32 v16, s14, v13
	;; [unrolled: 1-line block ×4, first 2 shown]
	v_add3_u32 v3, v3, v15, v14
	v_mul_f32_e32 v14, s15, v11
	v_fma_f32 v15, v12, s14, -v19
	v_mul_f32_e32 v24, s14, v9
	v_mul_f32_e32 v25, s15, v6
	v_lshlrev_b64 v[2:3], 3, v[2:3]
	v_fma_f32 v19, v10, s14, -v14
	v_mul_f32_e32 v14, s14, v6
	v_fmac_f32_e32 v16, s15, v12
	v_fmac_f32_e32 v20, s15, v10
	v_fma_f32 v23, v8, s14, -v23
	v_add_co_u32 v2, vcc_lo, s6, v2
	v_add_co_ci_u32_e64 v3, null, s7, v3, vcc_lo
	v_fmac_f32_e32 v14, s15, v7
	v_add_co_u32 v21, vcc_lo, v2, v17
	v_add_co_ci_u32_e64 v22, null, v3, v18, vcc_lo
	v_add_co_u32 v2, vcc_lo, v2, s12
	v_add_co_ci_u32_e64 v3, null, s13, v3, vcc_lo
	v_fmac_f32_e32 v24, s15, v8
	v_add_co_u32 v17, vcc_lo, v2, v17
	v_add_co_ci_u32_e64 v18, null, v3, v18, vcc_lo
	v_fma_f32 v25, v7, s14, -v25
	v_add_co_u32 v2, vcc_lo, 0x80, v17
	v_add_co_ci_u32_e64 v3, null, 0, v18, vcc_lo
	global_store_dwordx2 v[21:22], v[15:16], off
	global_store_dwordx2 v[21:22], v[19:20], off offset:128
	global_store_dwordx2 v[17:18], v[23:24], off
	global_store_dword v[17:18], v25, off offset:128
	s_andn2_b32 vcc_lo, exec_lo, s9
	s_cbranch_vccz .LBB518_6
	s_branch .LBB518_7
.LBB518_5:
                                        ; implicit-def: $vgpr14
                                        ; implicit-def: $vgpr2_vgpr3
.LBB518_6:
	v_mul_lo_u32 v14, v5, s2
	v_mul_lo_u32 v15, v4, s3
	v_mad_u64_u32 v[2:3], null, v4, s2, 0
	s_mul_i32 s5, s5, s8
	s_mul_hi_u32 s9, s4, s8
	s_mul_i32 s4, s4, s8
	s_add_i32 s5, s9, s5
	v_lshlrev_b64 v[0:1], 3, v[0:1]
	s_lshl_b64 s[4:5], s[4:5], 3
	v_add3_u32 v3, v3, v15, v14
	s_add_u32 s0, s0, s4
	s_addc_u32 s1, s1, s5
	v_mul_lo_u32 v18, v5, s16
	v_mul_lo_u32 v19, v4, s17
	v_lshlrev_b64 v[2:3], 3, v[2:3]
	v_mad_u64_u32 v[4:5], null, v4, s16, 0
	v_add_co_u32 v16, vcc_lo, s0, v2
	v_add_co_ci_u32_e64 v17, null, s1, v3, vcc_lo
	v_add3_u32 v5, v5, v19, v18
	v_add_co_u32 v2, vcc_lo, v16, v0
	v_add_co_ci_u32_e64 v3, null, v17, v1, vcc_lo
	v_mul_f32_e32 v18, s15, v13
	v_mul_f32_e32 v13, s14, v13
	v_lshlrev_b64 v[4:5], 3, v[4:5]
	global_load_dwordx2 v[14:15], v[2:3], off
	s_lshl_b64 s[0:1], s[2:3], 7
	v_fma_f32 v18, v12, s14, -v18
	v_fmac_f32_e32 v13, s15, v12
	v_add_co_u32 v19, vcc_lo, s6, v4
	v_add_co_ci_u32_e64 v20, null, s7, v5, vcc_lo
	v_add_co_u32 v4, vcc_lo, v19, v0
	v_add_co_ci_u32_e64 v5, null, v20, v1, vcc_lo
	s_waitcnt vmcnt(0)
	v_mul_f32_e32 v12, s11, v15
	v_mul_f32_e32 v15, s10, v15
	v_fma_f32 v12, v14, s10, -v12
	v_fmac_f32_e32 v15, s11, v14
	v_add_f32_e32 v12, v18, v12
	v_add_f32_e32 v13, v13, v15
	global_store_dwordx2 v[4:5], v[12:13], off
	global_load_dwordx2 v[2:3], v[2:3], off offset:128
	v_mul_f32_e32 v12, s15, v11
	v_mul_f32_e32 v11, s14, v11
	v_fma_f32 v12, v10, s14, -v12
	v_fmac_f32_e32 v11, s15, v10
	s_waitcnt vmcnt(0)
	v_mul_f32_e32 v13, s11, v3
	v_mul_f32_e32 v3, s10, v3
	v_fma_f32 v10, v2, s10, -v13
	v_add_co_u32 v13, vcc_lo, v16, s0
	v_fmac_f32_e32 v3, s11, v2
	v_add_co_ci_u32_e64 v14, null, s1, v17, vcc_lo
	v_add_f32_e32 v2, v12, v10
	v_add_co_u32 v10, vcc_lo, v13, v0
	v_add_f32_e32 v3, v11, v3
	v_add_co_ci_u32_e64 v11, null, v14, v1, vcc_lo
	s_lshl_b64 s[0:1], s[16:17], 7
	global_store_dwordx2 v[4:5], v[2:3], off offset:128
	global_load_dwordx2 v[2:3], v[10:11], off
	v_mul_f32_e32 v4, s15, v9
	v_mul_f32_e32 v5, s14, v9
	v_add_co_u32 v9, vcc_lo, v19, s0
	v_add_co_ci_u32_e64 v12, null, s1, v20, vcc_lo
	v_fma_f32 v4, v8, s14, -v4
	v_fmac_f32_e32 v5, s15, v8
	v_add_co_u32 v0, vcc_lo, v9, v0
	v_add_co_ci_u32_e64 v1, null, v12, v1, vcc_lo
	s_waitcnt vmcnt(0)
	v_mul_f32_e32 v8, s11, v3
	v_mul_f32_e32 v3, s10, v3
	v_fma_f32 v8, v2, s10, -v8
	v_fmac_f32_e32 v3, s11, v2
	v_add_f32_e32 v2, v4, v8
	v_add_f32_e32 v3, v5, v3
	v_mul_f32_e32 v4, s15, v6
	v_mul_f32_e32 v5, s14, v6
	global_store_dwordx2 v[0:1], v[2:3], off
	global_load_dwordx2 v[2:3], v[10:11], off offset:128
	v_fma_f32 v4, v7, s14, -v4
	v_fmac_f32_e32 v5, s15, v7
	s_waitcnt vmcnt(0)
	v_mul_f32_e32 v6, s11, v3
	v_mul_f32_e32 v3, s10, v3
	v_fma_f32 v6, v2, s10, -v6
	v_fmac_f32_e32 v3, s11, v2
	v_add_co_u32 v2, vcc_lo, 0x80, v0
	v_add_f32_e32 v4, v4, v6
	v_add_f32_e32 v14, v5, v3
	v_add_co_ci_u32_e64 v3, null, 0, v1, vcc_lo
	global_store_dword v[0:1], v4, off offset:128
.LBB518_7:
	global_store_dword v[2:3], v14, off offset:4
	s_endpgm
	.section	.rodata,"a",@progbits
	.p2align	6, 0x0
	.amdhsa_kernel _ZN12_GLOBAL__N_127rocblas_gemm_batched_kernelI19rocblas_complex_numIfELi16ELi16ELi32ELi32ELi8ELi32ELi8ELi8ELi32ELc84ELc67EKS2_S3_S2_EEvlllT_PT11_llS6_llS4_PT12_llPT13_lli
		.amdhsa_group_segment_fixed_size 4096
		.amdhsa_private_segment_fixed_size 0
		.amdhsa_kernarg_size 140
		.amdhsa_user_sgpr_count 6
		.amdhsa_user_sgpr_private_segment_buffer 1
		.amdhsa_user_sgpr_dispatch_ptr 0
		.amdhsa_user_sgpr_queue_ptr 0
		.amdhsa_user_sgpr_kernarg_segment_ptr 1
		.amdhsa_user_sgpr_dispatch_id 0
		.amdhsa_user_sgpr_flat_scratch_init 0
		.amdhsa_user_sgpr_private_segment_size 0
		.amdhsa_wavefront_size32 1
		.amdhsa_uses_dynamic_stack 0
		.amdhsa_system_sgpr_private_segment_wavefront_offset 0
		.amdhsa_system_sgpr_workgroup_id_x 1
		.amdhsa_system_sgpr_workgroup_id_y 1
		.amdhsa_system_sgpr_workgroup_id_z 1
		.amdhsa_system_sgpr_workgroup_info 0
		.amdhsa_system_vgpr_workitem_id 1
		.amdhsa_next_free_vgpr 92
		.amdhsa_next_free_sgpr 32
		.amdhsa_reserve_vcc 1
		.amdhsa_reserve_flat_scratch 0
		.amdhsa_float_round_mode_32 0
		.amdhsa_float_round_mode_16_64 0
		.amdhsa_float_denorm_mode_32 3
		.amdhsa_float_denorm_mode_16_64 3
		.amdhsa_dx10_clamp 1
		.amdhsa_ieee_mode 1
		.amdhsa_fp16_overflow 0
		.amdhsa_workgroup_processor_mode 1
		.amdhsa_memory_ordered 1
		.amdhsa_forward_progress 1
		.amdhsa_shared_vgpr_count 0
		.amdhsa_exception_fp_ieee_invalid_op 0
		.amdhsa_exception_fp_denorm_src 0
		.amdhsa_exception_fp_ieee_div_zero 0
		.amdhsa_exception_fp_ieee_overflow 0
		.amdhsa_exception_fp_ieee_underflow 0
		.amdhsa_exception_fp_ieee_inexact 0
		.amdhsa_exception_int_div_zero 0
	.end_amdhsa_kernel
	.section	.text._ZN12_GLOBAL__N_127rocblas_gemm_batched_kernelI19rocblas_complex_numIfELi16ELi16ELi32ELi32ELi8ELi32ELi8ELi8ELi32ELc84ELc67EKS2_S3_S2_EEvlllT_PT11_llS6_llS4_PT12_llPT13_lli,"axG",@progbits,_ZN12_GLOBAL__N_127rocblas_gemm_batched_kernelI19rocblas_complex_numIfELi16ELi16ELi32ELi32ELi8ELi32ELi8ELi8ELi32ELc84ELc67EKS2_S3_S2_EEvlllT_PT11_llS6_llS4_PT12_llPT13_lli,comdat
.Lfunc_end518:
	.size	_ZN12_GLOBAL__N_127rocblas_gemm_batched_kernelI19rocblas_complex_numIfELi16ELi16ELi32ELi32ELi8ELi32ELi8ELi8ELi32ELc84ELc67EKS2_S3_S2_EEvlllT_PT11_llS6_llS4_PT12_llPT13_lli, .Lfunc_end518-_ZN12_GLOBAL__N_127rocblas_gemm_batched_kernelI19rocblas_complex_numIfELi16ELi16ELi32ELi32ELi8ELi32ELi8ELi8ELi32ELc84ELc67EKS2_S3_S2_EEvlllT_PT11_llS6_llS4_PT12_llPT13_lli
                                        ; -- End function
	.set _ZN12_GLOBAL__N_127rocblas_gemm_batched_kernelI19rocblas_complex_numIfELi16ELi16ELi32ELi32ELi8ELi32ELi8ELi8ELi32ELc84ELc67EKS2_S3_S2_EEvlllT_PT11_llS6_llS4_PT12_llPT13_lli.num_vgpr, 92
	.set _ZN12_GLOBAL__N_127rocblas_gemm_batched_kernelI19rocblas_complex_numIfELi16ELi16ELi32ELi32ELi8ELi32ELi8ELi8ELi32ELc84ELc67EKS2_S3_S2_EEvlllT_PT11_llS6_llS4_PT12_llPT13_lli.num_agpr, 0
	.set _ZN12_GLOBAL__N_127rocblas_gemm_batched_kernelI19rocblas_complex_numIfELi16ELi16ELi32ELi32ELi8ELi32ELi8ELi8ELi32ELc84ELc67EKS2_S3_S2_EEvlllT_PT11_llS6_llS4_PT12_llPT13_lli.numbered_sgpr, 32
	.set _ZN12_GLOBAL__N_127rocblas_gemm_batched_kernelI19rocblas_complex_numIfELi16ELi16ELi32ELi32ELi8ELi32ELi8ELi8ELi32ELc84ELc67EKS2_S3_S2_EEvlllT_PT11_llS6_llS4_PT12_llPT13_lli.num_named_barrier, 0
	.set _ZN12_GLOBAL__N_127rocblas_gemm_batched_kernelI19rocblas_complex_numIfELi16ELi16ELi32ELi32ELi8ELi32ELi8ELi8ELi32ELc84ELc67EKS2_S3_S2_EEvlllT_PT11_llS6_llS4_PT12_llPT13_lli.private_seg_size, 0
	.set _ZN12_GLOBAL__N_127rocblas_gemm_batched_kernelI19rocblas_complex_numIfELi16ELi16ELi32ELi32ELi8ELi32ELi8ELi8ELi32ELc84ELc67EKS2_S3_S2_EEvlllT_PT11_llS6_llS4_PT12_llPT13_lli.uses_vcc, 1
	.set _ZN12_GLOBAL__N_127rocblas_gemm_batched_kernelI19rocblas_complex_numIfELi16ELi16ELi32ELi32ELi8ELi32ELi8ELi8ELi32ELc84ELc67EKS2_S3_S2_EEvlllT_PT11_llS6_llS4_PT12_llPT13_lli.uses_flat_scratch, 0
	.set _ZN12_GLOBAL__N_127rocblas_gemm_batched_kernelI19rocblas_complex_numIfELi16ELi16ELi32ELi32ELi8ELi32ELi8ELi8ELi32ELc84ELc67EKS2_S3_S2_EEvlllT_PT11_llS6_llS4_PT12_llPT13_lli.has_dyn_sized_stack, 0
	.set _ZN12_GLOBAL__N_127rocblas_gemm_batched_kernelI19rocblas_complex_numIfELi16ELi16ELi32ELi32ELi8ELi32ELi8ELi8ELi32ELc84ELc67EKS2_S3_S2_EEvlllT_PT11_llS6_llS4_PT12_llPT13_lli.has_recursion, 0
	.set _ZN12_GLOBAL__N_127rocblas_gemm_batched_kernelI19rocblas_complex_numIfELi16ELi16ELi32ELi32ELi8ELi32ELi8ELi8ELi32ELc84ELc67EKS2_S3_S2_EEvlllT_PT11_llS6_llS4_PT12_llPT13_lli.has_indirect_call, 0
	.section	.AMDGPU.csdata,"",@progbits
; Kernel info:
; codeLenInByte = 2516
; TotalNumSgprs: 34
; NumVgprs: 92
; ScratchSize: 0
; MemoryBound: 0
; FloatMode: 240
; IeeeMode: 1
; LDSByteSize: 4096 bytes/workgroup (compile time only)
; SGPRBlocks: 0
; VGPRBlocks: 11
; NumSGPRsForWavesPerEU: 34
; NumVGPRsForWavesPerEU: 92
; Occupancy: 10
; WaveLimiterHint : 1
; COMPUTE_PGM_RSRC2:SCRATCH_EN: 0
; COMPUTE_PGM_RSRC2:USER_SGPR: 6
; COMPUTE_PGM_RSRC2:TRAP_HANDLER: 0
; COMPUTE_PGM_RSRC2:TGID_X_EN: 1
; COMPUTE_PGM_RSRC2:TGID_Y_EN: 1
; COMPUTE_PGM_RSRC2:TGID_Z_EN: 1
; COMPUTE_PGM_RSRC2:TIDIG_COMP_CNT: 1
	.section	.text._ZN12_GLOBAL__N_135rocblas_gemm_batched_general_kernelI19rocblas_complex_numIfELi16ELi16ELi32ELi32ELi8ELi32ELi8ELi8ELi32ELc78ELc78EKS2_S3_S2_EEvlllT_PT11_llS6_llS4_PT12_llPT13_lli,"axG",@progbits,_ZN12_GLOBAL__N_135rocblas_gemm_batched_general_kernelI19rocblas_complex_numIfELi16ELi16ELi32ELi32ELi8ELi32ELi8ELi8ELi32ELc78ELc78EKS2_S3_S2_EEvlllT_PT11_llS6_llS4_PT12_llPT13_lli,comdat
	.globl	_ZN12_GLOBAL__N_135rocblas_gemm_batched_general_kernelI19rocblas_complex_numIfELi16ELi16ELi32ELi32ELi8ELi32ELi8ELi8ELi32ELc78ELc78EKS2_S3_S2_EEvlllT_PT11_llS6_llS4_PT12_llPT13_lli ; -- Begin function _ZN12_GLOBAL__N_135rocblas_gemm_batched_general_kernelI19rocblas_complex_numIfELi16ELi16ELi32ELi32ELi8ELi32ELi8ELi8ELi32ELc78ELc78EKS2_S3_S2_EEvlllT_PT11_llS6_llS4_PT12_llPT13_lli
	.p2align	8
	.type	_ZN12_GLOBAL__N_135rocblas_gemm_batched_general_kernelI19rocblas_complex_numIfELi16ELi16ELi32ELi32ELi8ELi32ELi8ELi8ELi32ELc78ELc78EKS2_S3_S2_EEvlllT_PT11_llS6_llS4_PT12_llPT13_lli,@function
_ZN12_GLOBAL__N_135rocblas_gemm_batched_general_kernelI19rocblas_complex_numIfELi16ELi16ELi32ELi32ELi8ELi32ELi8ELi8ELi32ELc78ELc78EKS2_S3_S2_EEvlllT_PT11_llS6_llS4_PT12_llPT13_lli: ; @_ZN12_GLOBAL__N_135rocblas_gemm_batched_general_kernelI19rocblas_complex_numIfELi16ELi16ELi32ELi32ELi8ELi32ELi8ELi8ELi32ELc78ELc78EKS2_S3_S2_EEvlllT_PT11_llS6_llS4_PT12_llPT13_lli
; %bb.0:
	s_clause 0x1
	s_load_dwordx16 s[12:27], s[4:5], 0x0
	s_load_dwordx2 s[10:11], s[4:5], 0x50
	s_mov_b32 s0, s7
	v_mov_b32_e32 v20, 0
	v_mov_b32_e32 v21, 0
	;; [unrolled: 1-line block ×8, first 2 shown]
	s_ashr_i32 s7, s6, 31
	s_ashr_i32 s1, s0, 31
	s_lshl_b64 s[34:35], s[6:7], 5
	s_lshl_b64 s[36:37], s[0:1], 5
	s_waitcnt lgkmcnt(0)
	v_cmp_lt_i64_e64 s2, s[16:17], 1
	s_and_b32 vcc_lo, exec_lo, s2
	s_cbranch_vccnz .LBB519_11
; %bb.1:
	s_load_dwordx4 s[0:3], s[4:5], 0x40
	v_lshl_add_u32 v2, v1, 4, v0
	v_mov_b32_e32 v4, s35
	v_and_b32_e32 v8, 7, v0
	s_lshl_b64 s[6:7], s[6:7], 8
	v_mov_b32_e32 v21, 0
	v_lshrrev_b32_e32 v9, 5, v2
	v_lshrrev_b32_e32 v7, 3, v2
	v_and_b32_e32 v2, 31, v2
	v_lshlrev_b32_e32 v12, 3, v8
	v_mov_b32_e32 v20, 0
	v_mad_u64_u32 v[10:11], null, s22, v9, 0
	v_add_co_u32 v5, s9, v7, s36
	v_or_b32_e32 v3, s34, v2
	v_add_co_ci_u32_e64 v6, null, 0, s37, s9
	v_lshl_or_b32 v7, v7, 6, v12
	s_mul_hi_u32 s9, s24, s8
	v_cmp_gt_i64_e32 vcc_lo, s[12:13], v[3:4]
	v_mov_b32_e32 v3, v11
	s_waitcnt lgkmcnt(0)
	v_mul_lo_u32 v16, s1, v5
	v_mul_lo_u32 v17, s0, v6
	v_mad_u64_u32 v[18:19], null, s0, v5, 0
	v_mad_u64_u32 v[3:4], null, s23, v9, v[3:4]
	v_cmp_gt_i64_e64 s0, s[14:15], v[5:6]
	s_mul_i32 s1, s3, s8
	s_mul_hi_u32 s3, s2, s8
	s_mul_i32 s2, s2, s8
	v_add3_u32 v19, v19, v17, v16
	s_add_i32 s3, s3, s1
	v_mov_b32_e32 v11, v3
	s_mul_i32 s1, s25, s8
	v_add_nc_u32_e32 v15, 0x800, v7
	v_lshlrev_b64 v[4:5], 3, v[18:19]
	s_lshl_b64 s[2:3], s[2:3], 3
	s_add_i32 s25, s9, s1
	s_mul_i32 s24, s24, s8
	v_lshlrev_b64 v[6:7], 3, v[10:11]
	s_lshl_b64 s[24:25], s[24:25], 3
	v_add_co_u32 v3, s1, v4, s2
	v_add_co_ci_u32_e64 v4, null, s3, v5, s1
	s_add_u32 s1, s6, s24
	v_lshlrev_b32_e32 v14, 3, v2
	s_addc_u32 s2, s7, s25
	v_add_co_u32 v5, s1, s1, v6
	v_add_co_ci_u32_e64 v6, null, s2, v7, s1
	v_add_co_u32 v3, s1, v3, v12
	v_add_co_ci_u32_e64 v7, null, 0, v4, s1
	;; [unrolled: 2-line block ×4, first 2 shown]
	v_add_co_u32 v6, s1, s20, v10
	v_mov_b32_e32 v2, 0
	v_lshl_or_b32 v13, v9, 8, v14
	v_lshlrev_b32_e32 v16, 3, v0
	v_lshl_add_u32 v17, v1, 6, 0x800
	v_add_co_ci_u32_e64 v7, null, s21, v11, s1
	v_mov_b32_e32 v11, 0
	v_mov_b32_e32 v10, 0
	;; [unrolled: 1-line block ×6, first 2 shown]
	s_lshl_b64 s[2:3], s[22:23], 6
	s_mov_b64 s[6:7], 0
	s_xor_b32 s1, vcc_lo, -1
	s_xor_b32 s0, s0, -1
	s_branch .LBB519_3
.LBB519_2:                              ;   in Loop: Header=BB519_3 Depth=1
	s_or_b32 exec_lo, exec_lo, s9
	s_waitcnt lgkmcnt(0)
	s_barrier
	buffer_gl0_inv
	ds_read_b128 v[22:25], v17
	ds_read2_b64 v[26:29], v16 offset1:16
	ds_read_b128 v[30:33], v17 offset:1024
	ds_read_b128 v[34:37], v17 offset:16
	;; [unrolled: 1-line block ×4, first 2 shown]
	ds_read2_b64 v[46:49], v16 offset0:32 offset1:48
	ds_read_b128 v[50:53], v17 offset:1040
	s_add_u32 s6, s6, 8
	s_addc_u32 s7, s7, 0
	v_add_co_u32 v4, vcc_lo, v4, 64
	v_cmp_lt_i64_e64 s9, s[6:7], s[16:17]
	v_add_co_ci_u32_e64 v5, null, 0, v5, vcc_lo
	v_add_co_u32 v6, vcc_lo, v6, s2
	v_add_co_ci_u32_e64 v7, null, s3, v7, vcc_lo
	s_and_b32 vcc_lo, exec_lo, s9
	s_waitcnt lgkmcnt(6)
	v_mul_f32_e32 v3, v23, v27
	v_mul_f32_e32 v54, v22, v27
	;; [unrolled: 1-line block ×4, first 2 shown]
	s_waitcnt lgkmcnt(5)
	v_mul_f32_e32 v57, v31, v27
	v_mul_f32_e32 v27, v30, v27
	;; [unrolled: 1-line block ×3, first 2 shown]
	v_fma_f32 v3, v22, v26, -v3
	v_fmac_f32_e32 v54, v23, v26
	v_fma_f32 v22, v22, v28, -v55
	v_fmac_f32_e32 v56, v23, v28
	v_fma_f32 v23, v30, v26, -v57
	v_mul_f32_e32 v29, v30, v29
	v_fmac_f32_e32 v27, v31, v26
	v_fma_f32 v26, v30, v28, -v58
	v_add_f32_e32 v3, v20, v3
	v_add_f32_e32 v30, v21, v54
	;; [unrolled: 1-line block ×5, first 2 shown]
	s_waitcnt lgkmcnt(1)
	v_mul_f32_e32 v23, v25, v47
	ds_read2_b64 v[18:21], v16 offset0:64 offset1:80
	v_add_f32_e32 v14, v14, v27
	v_mul_f32_e32 v27, v25, v49
	v_fmac_f32_e32 v29, v31, v28
	v_fma_f32 v23, v24, v46, -v23
	v_add_f32_e32 v10, v10, v26
	v_mul_f32_e32 v26, v24, v47
	v_mul_f32_e32 v28, v24, v49
	v_add_f32_e32 v11, v11, v29
	v_add_f32_e32 v3, v3, v23
	v_fma_f32 v23, v24, v48, -v27
	v_mul_f32_e32 v24, v33, v47
	v_fmac_f32_e32 v26, v25, v46
	v_fmac_f32_e32 v28, v25, v48
	v_mul_f32_e32 v25, v32, v47
	v_add_f32_e32 v27, v22, v23
	v_fma_f32 v22, v32, v46, -v24
	v_mul_f32_e32 v23, v33, v49
	v_add_f32_e32 v26, v30, v26
	v_fmac_f32_e32 v25, v33, v46
	v_mul_f32_e32 v29, v32, v49
	v_add_f32_e32 v12, v12, v22
	v_fma_f32 v22, v32, v48, -v23
	s_waitcnt lgkmcnt(0)
	v_mul_f32_e32 v23, v35, v19
	v_mul_f32_e32 v30, v34, v19
	;; [unrolled: 1-line block ×3, first 2 shown]
	v_add_f32_e32 v14, v14, v25
	v_add_f32_e32 v10, v10, v22
	v_fma_f32 v31, v34, v18, -v23
	ds_read2_b64 v[22:25], v16 offset0:96 offset1:112
	v_fmac_f32_e32 v30, v35, v18
	v_fmac_f32_e32 v29, v33, v48
	v_add_f32_e32 v28, v54, v28
	v_add_f32_e32 v3, v3, v31
	v_fma_f32 v31, v34, v20, -v32
	v_add_f32_e32 v26, v26, v30
	v_mul_f32_e32 v30, v51, v19
	v_mul_f32_e32 v19, v50, v19
	v_add_f32_e32 v11, v11, v29
	v_add_f32_e32 v27, v27, v31
	v_mul_f32_e32 v31, v51, v21
	v_mul_f32_e32 v29, v34, v21
	v_fma_f32 v30, v50, v18, -v30
	v_fmac_f32_e32 v19, v51, v18
	v_mul_f32_e32 v32, v50, v21
	v_fma_f32 v18, v50, v20, -v31
	v_fmac_f32_e32 v29, v35, v20
	v_add_f32_e32 v12, v12, v30
	v_add_f32_e32 v14, v14, v19
	v_fmac_f32_e32 v32, v51, v20
	v_add_f32_e32 v10, v10, v18
	ds_read2_b64 v[18:21], v16 offset0:128 offset1:144
	v_add_f32_e32 v33, v28, v29
	s_waitcnt lgkmcnt(1)
	v_mul_f32_e32 v28, v37, v23
	v_mul_f32_e32 v29, v36, v23
	;; [unrolled: 1-line block ×4, first 2 shown]
	v_add_f32_e32 v11, v11, v32
	v_fma_f32 v28, v36, v22, -v28
	v_fmac_f32_e32 v29, v37, v22
	v_fma_f32 v30, v36, v24, -v30
	v_fmac_f32_e32 v31, v37, v24
	v_mul_f32_e32 v32, v53, v25
	v_add_f32_e32 v3, v3, v28
	v_mul_f32_e32 v28, v53, v23
	v_mul_f32_e32 v23, v52, v23
	v_add_f32_e32 v34, v26, v29
	v_add_f32_e32 v35, v27, v30
	;; [unrolled: 1-line block ×3, first 2 shown]
	v_fma_f32 v30, v52, v22, -v28
	ds_read_b128 v[26:29], v17 offset:1056
	v_fmac_f32_e32 v23, v53, v22
	v_mul_f32_e32 v31, v52, v25
	v_fma_f32 v22, v52, v24, -v32
	s_waitcnt lgkmcnt(1)
	v_mul_f32_e32 v25, v39, v19
	v_add_f32_e32 v12, v12, v30
	v_add_f32_e32 v14, v14, v23
	v_fmac_f32_e32 v31, v53, v24
	v_add_f32_e32 v10, v10, v22
	v_fma_f32 v30, v38, v18, -v25
	ds_read2_b64 v[22:25], v16 offset0:160 offset1:176
	v_mul_f32_e32 v32, v39, v21
	v_mul_f32_e32 v37, v38, v19
	;; [unrolled: 1-line block ×3, first 2 shown]
	v_add_f32_e32 v11, v11, v31
	v_add_f32_e32 v3, v3, v30
	v_fma_f32 v38, v38, v20, -v32
	v_fmac_f32_e32 v37, v39, v18
	ds_read_b128 v[30:33], v17 offset:1072
	v_fmac_f32_e32 v46, v39, v20
	s_waitcnt lgkmcnt(2)
	v_mul_f32_e32 v47, v27, v19
	v_mul_f32_e32 v19, v26, v19
	v_add_f32_e32 v35, v35, v38
	v_mul_f32_e32 v38, v27, v21
	v_add_f32_e32 v34, v34, v37
	v_fma_f32 v37, v26, v18, -v47
	v_fmac_f32_e32 v19, v27, v18
	v_mul_f32_e32 v39, v26, v21
	v_fma_f32 v18, v26, v20, -v38
	v_add_f32_e32 v36, v36, v46
	s_waitcnt lgkmcnt(1)
	v_mul_f32_e32 v21, v41, v23
	v_add_f32_e32 v12, v12, v37
	v_add_f32_e32 v14, v14, v19
	v_fmac_f32_e32 v39, v27, v20
	v_mul_f32_e32 v26, v40, v23
	v_add_f32_e32 v10, v10, v18
	v_fma_f32 v27, v40, v22, -v21
	ds_read2_b64 v[18:21], v16 offset0:192 offset1:208
	v_mul_f32_e32 v37, v41, v25
	v_fmac_f32_e32 v26, v41, v22
	v_add_f32_e32 v11, v11, v39
	v_add_f32_e32 v3, v3, v27
	v_mul_f32_e32 v27, v40, v25
	v_fma_f32 v37, v40, v24, -v37
	v_add_f32_e32 v26, v34, v26
	v_mul_f32_e32 v34, v29, v23
	v_mul_f32_e32 v23, v28, v23
	v_fmac_f32_e32 v27, v41, v24
	v_add_f32_e32 v35, v35, v37
	v_mul_f32_e32 v37, v29, v25
	v_fma_f32 v34, v28, v22, -v34
	v_fmac_f32_e32 v23, v29, v22
	v_add_f32_e32 v27, v36, v27
	v_mul_f32_e32 v36, v28, v25
	v_fma_f32 v22, v28, v24, -v37
	v_add_f32_e32 v12, v12, v34
	v_add_f32_e32 v14, v14, v23
	s_waitcnt lgkmcnt(0)
	v_mul_f32_e32 v28, v43, v19
	v_fmac_f32_e32 v36, v29, v24
	v_add_f32_e32 v10, v10, v22
	ds_read2_b64 v[22:25], v16 offset0:224 offset1:240
	v_mul_f32_e32 v29, v42, v19
	v_fma_f32 v28, v42, v18, -v28
	v_mul_f32_e32 v34, v43, v21
	v_add_f32_e32 v11, v11, v36
	v_mul_f32_e32 v36, v42, v21
	v_fmac_f32_e32 v29, v43, v18
	v_add_f32_e32 v3, v3, v28
	v_mul_f32_e32 v28, v31, v19
	v_fma_f32 v34, v42, v20, -v34
	v_mul_f32_e32 v19, v30, v19
	v_add_f32_e32 v26, v26, v29
	v_fmac_f32_e32 v36, v43, v20
	v_fma_f32 v28, v30, v18, -v28
	v_add_f32_e32 v29, v35, v34
	v_mul_f32_e32 v34, v31, v21
	v_fmac_f32_e32 v19, v31, v18
	v_mul_f32_e32 v18, v30, v21
	v_add_f32_e32 v12, v12, v28
	v_add_f32_e32 v27, v27, v36
	v_fma_f32 v21, v30, v20, -v34
	s_waitcnt lgkmcnt(0)
	v_mul_f32_e32 v28, v45, v23
	v_mul_f32_e32 v30, v44, v23
	v_add_f32_e32 v14, v14, v19
	v_fmac_f32_e32 v18, v31, v20
	v_add_f32_e32 v10, v10, v21
	v_fma_f32 v19, v44, v22, -v28
	v_fmac_f32_e32 v30, v45, v22
	v_mul_f32_e32 v28, v45, v25
	v_mul_f32_e32 v31, v44, v25
	v_add_f32_e32 v11, v11, v18
	v_add_f32_e32 v20, v3, v19
	;; [unrolled: 1-line block ×3, first 2 shown]
	v_fma_f32 v3, v44, v24, -v28
	v_mul_f32_e32 v19, v33, v23
	v_mul_f32_e32 v23, v32, v23
	;; [unrolled: 1-line block ×4, first 2 shown]
	v_fmac_f32_e32 v31, v45, v24
	v_add_f32_e32 v18, v29, v3
	v_fma_f32 v3, v32, v22, -v19
	v_fmac_f32_e32 v23, v33, v22
	v_fma_f32 v22, v32, v24, -v26
	v_fmac_f32_e32 v25, v33, v24
	v_add_f32_e32 v19, v27, v31
	v_add_f32_e32 v12, v12, v3
	;; [unrolled: 1-line block ×5, first 2 shown]
	s_barrier
	buffer_gl0_inv
	s_cbranch_vccz .LBB519_11
.LBB519_3:                              ; =>This Inner Loop Header: Depth=1
	v_add_co_u32 v22, s9, v9, s6
	v_add_co_ci_u32_e64 v23, null, 0, s7, s9
	v_cmp_le_i64_e32 vcc_lo, s[16:17], v[22:23]
	s_or_b32 s9, s1, vcc_lo
	s_and_saveexec_b32 s20, s9
	s_xor_b32 s9, exec_lo, s20
; %bb.4:                                ;   in Loop: Header=BB519_3 Depth=1
	v_mov_b32_e32 v3, v2
	ds_write_b64 v13, v[2:3]
; %bb.5:                                ;   in Loop: Header=BB519_3 Depth=1
	s_andn2_saveexec_b32 s9, s9
	s_cbranch_execz .LBB519_7
; %bb.6:                                ;   in Loop: Header=BB519_3 Depth=1
	global_load_dwordx2 v[22:23], v[6:7], off
	s_waitcnt vmcnt(0)
	ds_write_b64 v13, v[22:23]
.LBB519_7:                              ;   in Loop: Header=BB519_3 Depth=1
	s_or_b32 exec_lo, exec_lo, s9
	v_add_co_u32 v22, s9, v8, s6
	v_add_co_ci_u32_e64 v23, null, 0, s7, s9
	v_cmp_le_i64_e32 vcc_lo, s[16:17], v[22:23]
	s_or_b32 s9, vcc_lo, s0
	s_and_saveexec_b32 s20, s9
	s_xor_b32 s9, exec_lo, s20
; %bb.8:                                ;   in Loop: Header=BB519_3 Depth=1
	v_mov_b32_e32 v3, v2
	ds_write_b64 v15, v[2:3]
; %bb.9:                                ;   in Loop: Header=BB519_3 Depth=1
	s_andn2_saveexec_b32 s9, s9
	s_cbranch_execz .LBB519_2
; %bb.10:                               ;   in Loop: Header=BB519_3 Depth=1
	global_load_dwordx2 v[22:23], v[4:5], off
	s_waitcnt vmcnt(0)
	ds_write_b64 v15, v[22:23]
	s_branch .LBB519_2
.LBB519_11:
	s_clause 0x1
	s_load_dwordx4 s[28:31], s[4:5], 0x78
	s_load_dwordx8 s[20:27], s[4:5], 0x58
	s_waitcnt lgkmcnt(0)
	s_mul_i32 s1, s31, s8
	s_mul_hi_u32 s2, s30, s8
	s_mul_i32 s0, s30, s8
	s_add_i32 s1, s2, s1
	v_add_co_u32 v1, s2, s36, v1
	v_add_co_ci_u32_e64 v2, null, s37, 0, s2
	s_lshl_b64 s[0:1], s[0:1], 3
	s_add_u32 s3, s26, s0
	s_addc_u32 s4, s27, s1
	s_or_b32 s1, s10, s11
	v_cmp_gt_i64_e64 s0, s[14:15], v[1:2]
	s_bitset0_b32 s1, 31
	s_cmp_lg_u32 s1, 0
	s_mov_b32 s1, -1
	s_cbranch_scc1 .LBB519_23
; %bb.12:
	s_and_saveexec_b32 s5, s0
	s_cbranch_execz .LBB519_22
; %bb.13:
	v_mul_lo_u32 v5, v2, s28
	v_mul_lo_u32 v6, v1, s29
	v_mad_u64_u32 v[3:4], null, v1, s28, 0
	v_add3_u32 v4, v4, v6, v5
	v_add_co_u32 v5, s1, s34, v0
	v_add_co_ci_u32_e64 v6, null, s35, 0, s1
	v_lshlrev_b64 v[7:8], 3, v[3:4]
	v_cmp_gt_i64_e32 vcc_lo, s[12:13], v[5:6]
	v_lshlrev_b64 v[3:4], 3, v[5:6]
	v_add_co_u32 v7, s1, s3, v7
	v_add_co_ci_u32_e64 v8, null, s4, v8, s1
	s_and_saveexec_b32 s2, vcc_lo
	s_cbranch_execz .LBB519_15
; %bb.14:
	v_mul_f32_e32 v9, s19, v21
	v_mul_f32_e32 v16, s18, v21
	v_add_co_u32 v22, s1, v7, v3
	v_add_co_ci_u32_e64 v23, null, v8, v4, s1
	v_fma_f32 v15, v20, s18, -v9
	v_fmac_f32_e32 v16, s19, v20
	global_store_dwordx2 v[22:23], v[15:16], off
.LBB519_15:
	s_or_b32 exec_lo, exec_lo, s2
	v_add_co_u32 v5, s1, v5, 16
	v_add_co_ci_u32_e64 v6, null, 0, v6, s1
	v_cmp_gt_i64_e64 s1, s[12:13], v[5:6]
	s_and_saveexec_b32 s6, s1
	s_cbranch_execz .LBB519_17
; %bb.16:
	v_mul_f32_e32 v5, s19, v19
	v_mul_f32_e32 v6, s18, v19
	v_add_co_u32 v15, s2, v7, v3
	v_add_co_ci_u32_e64 v16, null, v8, v4, s2
	v_fma_f32 v5, v18, s18, -v5
	v_fmac_f32_e32 v6, s19, v18
	global_store_dwordx2 v[15:16], v[5:6], off offset:128
.LBB519_17:
	s_or_b32 exec_lo, exec_lo, s6
	v_add_co_u32 v5, s2, v1, 16
	v_add_co_ci_u32_e64 v6, null, 0, v2, s2
	v_cmp_gt_i64_e64 s2, s[14:15], v[5:6]
	s_and_b32 exec_lo, exec_lo, s2
	s_cbranch_execz .LBB519_22
; %bb.18:
	s_lshl_b64 s[6:7], s[28:29], 7
	v_add_co_u32 v5, s2, v7, s6
	v_add_co_ci_u32_e64 v6, null, s7, v8, s2
	v_add_co_u32 v3, s2, v5, v3
	v_add_co_ci_u32_e64 v4, null, v6, v4, s2
	s_and_saveexec_b32 s2, vcc_lo
	s_cbranch_execz .LBB519_20
; %bb.19:
	v_mul_f32_e32 v5, s19, v14
	v_mul_f32_e32 v6, s18, v14
	v_fma_f32 v5, v12, s18, -v5
	v_fmac_f32_e32 v6, s19, v12
	global_store_dwordx2 v[3:4], v[5:6], off
.LBB519_20:
	s_or_b32 exec_lo, exec_lo, s2
	s_and_b32 exec_lo, exec_lo, s1
	s_cbranch_execz .LBB519_22
; %bb.21:
	v_mul_f32_e32 v5, s19, v11
	v_mul_f32_e32 v6, s18, v11
	v_fma_f32 v5, v10, s18, -v5
	v_fmac_f32_e32 v6, s19, v10
	global_store_dwordx2 v[3:4], v[5:6], off offset:128
.LBB519_22:
	s_or_b32 exec_lo, exec_lo, s5
	s_mov_b32 s1, 0
.LBB519_23:
	s_andn2_b32 vcc_lo, exec_lo, s1
	s_cbranch_vccnz .LBB519_34
; %bb.24:
	s_and_saveexec_b32 s1, s0
	s_cbranch_execz .LBB519_34
; %bb.25:
	v_mul_lo_u32 v5, v2, s22
	v_mul_lo_u32 v6, v1, s23
	v_mad_u64_u32 v[3:4], null, v1, s22, 0
	v_mul_lo_u32 v9, v2, s28
	v_mul_lo_u32 v13, v1, s29
	v_mad_u64_u32 v[7:8], null, v1, s28, 0
	s_mul_i32 s0, s25, s8
	s_mul_hi_u32 s1, s24, s8
	v_add3_u32 v4, v4, v6, v5
	s_add_i32 s1, s1, s0
	s_mul_i32 s0, s24, s8
	v_add_co_u32 v5, s2, s34, v0
	v_add3_u32 v8, v8, v13, v9
	v_lshlrev_b64 v[3:4], 3, v[3:4]
	s_lshl_b64 s[0:1], s[0:1], 3
	v_add_co_ci_u32_e64 v6, null, s35, 0, s2
	v_lshlrev_b64 v[8:9], 3, v[7:8]
	s_add_u32 s0, s20, s0
	s_addc_u32 s1, s21, s1
	v_add_co_u32 v0, s0, s0, v3
	v_add_co_ci_u32_e64 v7, null, s1, v4, s0
	v_add_co_u32 v8, s0, s3, v8
	v_cmp_gt_i64_e32 vcc_lo, s[12:13], v[5:6]
	v_lshlrev_b64 v[3:4], 3, v[5:6]
	v_add_co_ci_u32_e64 v9, null, s4, v9, s0
	s_and_saveexec_b32 s1, vcc_lo
	s_cbranch_execz .LBB519_27
; %bb.26:
	v_add_co_u32 v15, s0, v0, v3
	v_add_co_ci_u32_e64 v16, null, v7, v4, s0
	v_mul_f32_e32 v13, s19, v21
	v_mul_f32_e32 v17, s18, v21
	global_load_dwordx2 v[15:16], v[15:16], off
	v_fma_f32 v13, v20, s18, -v13
	v_fmac_f32_e32 v17, s19, v20
	s_waitcnt vmcnt(0)
	v_mul_f32_e32 v21, s11, v16
	v_mul_f32_e32 v16, s10, v16
	v_fma_f32 v20, v15, s10, -v21
	v_fmac_f32_e32 v16, s11, v15
	v_add_f32_e32 v15, v13, v20
	v_add_co_u32 v20, s0, v8, v3
	v_add_f32_e32 v16, v17, v16
	v_add_co_ci_u32_e64 v21, null, v9, v4, s0
	global_store_dwordx2 v[20:21], v[15:16], off
.LBB519_27:
	s_or_b32 exec_lo, exec_lo, s1
	v_add_co_u32 v5, s0, v5, 16
	v_add_co_ci_u32_e64 v6, null, 0, v6, s0
	v_cmp_gt_i64_e64 s0, s[12:13], v[5:6]
	s_and_saveexec_b32 s2, s0
	s_cbranch_execz .LBB519_29
; %bb.28:
	v_add_co_u32 v5, s1, v0, v3
	v_add_co_ci_u32_e64 v6, null, v7, v4, s1
	v_mul_f32_e32 v15, s18, v19
	v_mul_f32_e32 v13, s19, v19
	global_load_dwordx2 v[5:6], v[5:6], off offset:128
	v_fmac_f32_e32 v15, s19, v18
	v_fma_f32 v13, v18, s18, -v13
	s_waitcnt vmcnt(0)
	v_mul_f32_e32 v16, s11, v6
	v_mul_f32_e32 v6, s10, v6
	v_fma_f32 v16, v5, s10, -v16
	v_fmac_f32_e32 v6, s11, v5
	v_add_f32_e32 v5, v13, v16
	v_add_f32_e32 v6, v15, v6
	v_add_co_u32 v15, s1, v8, v3
	v_add_co_ci_u32_e64 v16, null, v9, v4, s1
	global_store_dwordx2 v[15:16], v[5:6], off offset:128
.LBB519_29:
	s_or_b32 exec_lo, exec_lo, s2
	v_add_co_u32 v1, s1, v1, 16
	v_add_co_ci_u32_e64 v2, null, 0, v2, s1
	v_cmp_gt_i64_e64 s1, s[14:15], v[1:2]
	s_and_b32 exec_lo, exec_lo, s1
	s_cbranch_execz .LBB519_34
; %bb.30:
	s_lshl_b64 s[2:3], s[22:23], 7
	v_add_co_u32 v0, s1, v0, s2
	v_add_co_ci_u32_e64 v1, null, s3, v7, s1
	s_lshl_b64 s[2:3], s[28:29], 7
	v_add_co_u32 v2, s1, v8, s2
	v_add_co_ci_u32_e64 v7, null, s3, v9, s1
	v_add_co_u32 v5, s1, v0, v3
	v_add_co_ci_u32_e64 v6, null, v1, v4, s1
	;; [unrolled: 2-line block ×3, first 2 shown]
	s_and_saveexec_b32 s1, vcc_lo
	s_cbranch_execz .LBB519_32
; %bb.31:
	global_load_dwordx2 v[2:3], v[5:6], off
	v_mul_f32_e32 v4, s19, v14
	v_mul_f32_e32 v7, s18, v14
	v_fma_f32 v4, v12, s18, -v4
	v_fmac_f32_e32 v7, s19, v12
	s_waitcnt vmcnt(0)
	v_mul_f32_e32 v8, s11, v3
	v_mul_f32_e32 v3, s10, v3
	v_fma_f32 v8, v2, s10, -v8
	v_fmac_f32_e32 v3, s11, v2
	v_add_f32_e32 v2, v4, v8
	v_add_f32_e32 v3, v7, v3
	global_store_dwordx2 v[0:1], v[2:3], off
.LBB519_32:
	s_or_b32 exec_lo, exec_lo, s1
	s_and_b32 exec_lo, exec_lo, s0
	s_cbranch_execz .LBB519_34
; %bb.33:
	global_load_dwordx2 v[2:3], v[5:6], off offset:128
	v_mul_f32_e32 v4, s19, v11
	v_mul_f32_e32 v5, s18, v11
	v_fma_f32 v4, v10, s18, -v4
	v_fmac_f32_e32 v5, s19, v10
	s_waitcnt vmcnt(0)
	v_mul_f32_e32 v6, s11, v3
	v_mul_f32_e32 v3, s10, v3
	v_fma_f32 v6, v2, s10, -v6
	v_fmac_f32_e32 v3, s11, v2
	v_add_f32_e32 v2, v4, v6
	v_add_f32_e32 v3, v5, v3
	global_store_dwordx2 v[0:1], v[2:3], off offset:128
.LBB519_34:
	s_endpgm
	.section	.rodata,"a",@progbits
	.p2align	6, 0x0
	.amdhsa_kernel _ZN12_GLOBAL__N_135rocblas_gemm_batched_general_kernelI19rocblas_complex_numIfELi16ELi16ELi32ELi32ELi8ELi32ELi8ELi8ELi32ELc78ELc78EKS2_S3_S2_EEvlllT_PT11_llS6_llS4_PT12_llPT13_lli
		.amdhsa_group_segment_fixed_size 4096
		.amdhsa_private_segment_fixed_size 0
		.amdhsa_kernarg_size 140
		.amdhsa_user_sgpr_count 6
		.amdhsa_user_sgpr_private_segment_buffer 1
		.amdhsa_user_sgpr_dispatch_ptr 0
		.amdhsa_user_sgpr_queue_ptr 0
		.amdhsa_user_sgpr_kernarg_segment_ptr 1
		.amdhsa_user_sgpr_dispatch_id 0
		.amdhsa_user_sgpr_flat_scratch_init 0
		.amdhsa_user_sgpr_private_segment_size 0
		.amdhsa_wavefront_size32 1
		.amdhsa_uses_dynamic_stack 0
		.amdhsa_system_sgpr_private_segment_wavefront_offset 0
		.amdhsa_system_sgpr_workgroup_id_x 1
		.amdhsa_system_sgpr_workgroup_id_y 1
		.amdhsa_system_sgpr_workgroup_id_z 1
		.amdhsa_system_sgpr_workgroup_info 0
		.amdhsa_system_vgpr_workitem_id 1
		.amdhsa_next_free_vgpr 59
		.amdhsa_next_free_sgpr 38
		.amdhsa_reserve_vcc 1
		.amdhsa_reserve_flat_scratch 0
		.amdhsa_float_round_mode_32 0
		.amdhsa_float_round_mode_16_64 0
		.amdhsa_float_denorm_mode_32 3
		.amdhsa_float_denorm_mode_16_64 3
		.amdhsa_dx10_clamp 1
		.amdhsa_ieee_mode 1
		.amdhsa_fp16_overflow 0
		.amdhsa_workgroup_processor_mode 1
		.amdhsa_memory_ordered 1
		.amdhsa_forward_progress 1
		.amdhsa_shared_vgpr_count 0
		.amdhsa_exception_fp_ieee_invalid_op 0
		.amdhsa_exception_fp_denorm_src 0
		.amdhsa_exception_fp_ieee_div_zero 0
		.amdhsa_exception_fp_ieee_overflow 0
		.amdhsa_exception_fp_ieee_underflow 0
		.amdhsa_exception_fp_ieee_inexact 0
		.amdhsa_exception_int_div_zero 0
	.end_amdhsa_kernel
	.section	.text._ZN12_GLOBAL__N_135rocblas_gemm_batched_general_kernelI19rocblas_complex_numIfELi16ELi16ELi32ELi32ELi8ELi32ELi8ELi8ELi32ELc78ELc78EKS2_S3_S2_EEvlllT_PT11_llS6_llS4_PT12_llPT13_lli,"axG",@progbits,_ZN12_GLOBAL__N_135rocblas_gemm_batched_general_kernelI19rocblas_complex_numIfELi16ELi16ELi32ELi32ELi8ELi32ELi8ELi8ELi32ELc78ELc78EKS2_S3_S2_EEvlllT_PT11_llS6_llS4_PT12_llPT13_lli,comdat
.Lfunc_end519:
	.size	_ZN12_GLOBAL__N_135rocblas_gemm_batched_general_kernelI19rocblas_complex_numIfELi16ELi16ELi32ELi32ELi8ELi32ELi8ELi8ELi32ELc78ELc78EKS2_S3_S2_EEvlllT_PT11_llS6_llS4_PT12_llPT13_lli, .Lfunc_end519-_ZN12_GLOBAL__N_135rocblas_gemm_batched_general_kernelI19rocblas_complex_numIfELi16ELi16ELi32ELi32ELi8ELi32ELi8ELi8ELi32ELc78ELc78EKS2_S3_S2_EEvlllT_PT11_llS6_llS4_PT12_llPT13_lli
                                        ; -- End function
	.set _ZN12_GLOBAL__N_135rocblas_gemm_batched_general_kernelI19rocblas_complex_numIfELi16ELi16ELi32ELi32ELi8ELi32ELi8ELi8ELi32ELc78ELc78EKS2_S3_S2_EEvlllT_PT11_llS6_llS4_PT12_llPT13_lli.num_vgpr, 59
	.set _ZN12_GLOBAL__N_135rocblas_gemm_batched_general_kernelI19rocblas_complex_numIfELi16ELi16ELi32ELi32ELi8ELi32ELi8ELi8ELi32ELc78ELc78EKS2_S3_S2_EEvlllT_PT11_llS6_llS4_PT12_llPT13_lli.num_agpr, 0
	.set _ZN12_GLOBAL__N_135rocblas_gemm_batched_general_kernelI19rocblas_complex_numIfELi16ELi16ELi32ELi32ELi8ELi32ELi8ELi8ELi32ELc78ELc78EKS2_S3_S2_EEvlllT_PT11_llS6_llS4_PT12_llPT13_lli.numbered_sgpr, 38
	.set _ZN12_GLOBAL__N_135rocblas_gemm_batched_general_kernelI19rocblas_complex_numIfELi16ELi16ELi32ELi32ELi8ELi32ELi8ELi8ELi32ELc78ELc78EKS2_S3_S2_EEvlllT_PT11_llS6_llS4_PT12_llPT13_lli.num_named_barrier, 0
	.set _ZN12_GLOBAL__N_135rocblas_gemm_batched_general_kernelI19rocblas_complex_numIfELi16ELi16ELi32ELi32ELi8ELi32ELi8ELi8ELi32ELc78ELc78EKS2_S3_S2_EEvlllT_PT11_llS6_llS4_PT12_llPT13_lli.private_seg_size, 0
	.set _ZN12_GLOBAL__N_135rocblas_gemm_batched_general_kernelI19rocblas_complex_numIfELi16ELi16ELi32ELi32ELi8ELi32ELi8ELi8ELi32ELc78ELc78EKS2_S3_S2_EEvlllT_PT11_llS6_llS4_PT12_llPT13_lli.uses_vcc, 1
	.set _ZN12_GLOBAL__N_135rocblas_gemm_batched_general_kernelI19rocblas_complex_numIfELi16ELi16ELi32ELi32ELi8ELi32ELi8ELi8ELi32ELc78ELc78EKS2_S3_S2_EEvlllT_PT11_llS6_llS4_PT12_llPT13_lli.uses_flat_scratch, 0
	.set _ZN12_GLOBAL__N_135rocblas_gemm_batched_general_kernelI19rocblas_complex_numIfELi16ELi16ELi32ELi32ELi8ELi32ELi8ELi8ELi32ELc78ELc78EKS2_S3_S2_EEvlllT_PT11_llS6_llS4_PT12_llPT13_lli.has_dyn_sized_stack, 0
	.set _ZN12_GLOBAL__N_135rocblas_gemm_batched_general_kernelI19rocblas_complex_numIfELi16ELi16ELi32ELi32ELi8ELi32ELi8ELi8ELi32ELc78ELc78EKS2_S3_S2_EEvlllT_PT11_llS6_llS4_PT12_llPT13_lli.has_recursion, 0
	.set _ZN12_GLOBAL__N_135rocblas_gemm_batched_general_kernelI19rocblas_complex_numIfELi16ELi16ELi32ELi32ELi8ELi32ELi8ELi8ELi32ELc78ELc78EKS2_S3_S2_EEvlllT_PT11_llS6_llS4_PT12_llPT13_lli.has_indirect_call, 0
	.section	.AMDGPU.csdata,"",@progbits
; Kernel info:
; codeLenInByte = 2964
; TotalNumSgprs: 40
; NumVgprs: 59
; ScratchSize: 0
; MemoryBound: 1
; FloatMode: 240
; IeeeMode: 1
; LDSByteSize: 4096 bytes/workgroup (compile time only)
; SGPRBlocks: 0
; VGPRBlocks: 7
; NumSGPRsForWavesPerEU: 40
; NumVGPRsForWavesPerEU: 59
; Occupancy: 16
; WaveLimiterHint : 1
; COMPUTE_PGM_RSRC2:SCRATCH_EN: 0
; COMPUTE_PGM_RSRC2:USER_SGPR: 6
; COMPUTE_PGM_RSRC2:TRAP_HANDLER: 0
; COMPUTE_PGM_RSRC2:TGID_X_EN: 1
; COMPUTE_PGM_RSRC2:TGID_Y_EN: 1
; COMPUTE_PGM_RSRC2:TGID_Z_EN: 1
; COMPUTE_PGM_RSRC2:TIDIG_COMP_CNT: 1
	.section	.text._ZN12_GLOBAL__N_135rocblas_gemm_batched_general_kernelI19rocblas_complex_numIfELi16ELi16ELi32ELi32ELi8ELi32ELi8ELi8ELi32ELc84ELc78EKS2_S3_S2_EEvlllT_PT11_llS6_llS4_PT12_llPT13_lli,"axG",@progbits,_ZN12_GLOBAL__N_135rocblas_gemm_batched_general_kernelI19rocblas_complex_numIfELi16ELi16ELi32ELi32ELi8ELi32ELi8ELi8ELi32ELc84ELc78EKS2_S3_S2_EEvlllT_PT11_llS6_llS4_PT12_llPT13_lli,comdat
	.globl	_ZN12_GLOBAL__N_135rocblas_gemm_batched_general_kernelI19rocblas_complex_numIfELi16ELi16ELi32ELi32ELi8ELi32ELi8ELi8ELi32ELc84ELc78EKS2_S3_S2_EEvlllT_PT11_llS6_llS4_PT12_llPT13_lli ; -- Begin function _ZN12_GLOBAL__N_135rocblas_gemm_batched_general_kernelI19rocblas_complex_numIfELi16ELi16ELi32ELi32ELi8ELi32ELi8ELi8ELi32ELc84ELc78EKS2_S3_S2_EEvlllT_PT11_llS6_llS4_PT12_llPT13_lli
	.p2align	8
	.type	_ZN12_GLOBAL__N_135rocblas_gemm_batched_general_kernelI19rocblas_complex_numIfELi16ELi16ELi32ELi32ELi8ELi32ELi8ELi8ELi32ELc84ELc78EKS2_S3_S2_EEvlllT_PT11_llS6_llS4_PT12_llPT13_lli,@function
_ZN12_GLOBAL__N_135rocblas_gemm_batched_general_kernelI19rocblas_complex_numIfELi16ELi16ELi32ELi32ELi8ELi32ELi8ELi8ELi32ELc84ELc78EKS2_S3_S2_EEvlllT_PT11_llS6_llS4_PT12_llPT13_lli: ; @_ZN12_GLOBAL__N_135rocblas_gemm_batched_general_kernelI19rocblas_complex_numIfELi16ELi16ELi32ELi32ELi8ELi32ELi8ELi8ELi32ELc84ELc78EKS2_S3_S2_EEvlllT_PT11_llS6_llS4_PT12_llPT13_lli
; %bb.0:
	s_clause 0x1
	s_load_dwordx16 s[12:27], s[4:5], 0x0
	s_load_dwordx2 s[10:11], s[4:5], 0x50
	s_mov_b32 s0, s7
	v_mov_b32_e32 v20, 0
	v_mov_b32_e32 v21, 0
	;; [unrolled: 1-line block ×8, first 2 shown]
	s_ashr_i32 s7, s6, 31
	s_ashr_i32 s1, s0, 31
	s_lshl_b64 s[6:7], s[6:7], 5
	s_lshl_b64 s[34:35], s[0:1], 5
	s_waitcnt lgkmcnt(0)
	v_cmp_lt_i64_e64 s2, s[16:17], 1
	s_and_b32 vcc_lo, exec_lo, s2
	s_cbranch_vccnz .LBB520_11
; %bb.1:
	s_load_dwordx4 s[0:3], s[4:5], 0x40
	v_lshl_add_u32 v3, v1, 4, v0
	v_and_b32_e32 v8, 7, v0
	v_mov_b32_e32 v4, s7
	v_mov_b32_e32 v2, 0
	v_lshl_add_u32 v17, v1, 6, 0x800
	v_lshrrev_b32_e32 v10, 3, v3
	v_and_b32_e32 v7, 31, v3
	v_lshlrev_b32_e32 v11, 3, v8
	v_lshrrev_b32_e32 v9, 5, v3
	v_mov_b32_e32 v19, 0
	v_add_co_u32 v5, s9, v10, s34
	v_or_b32_e32 v3, s6, v7
	v_add_co_ci_u32_e64 v6, null, 0, s35, s9
	v_lshlrev_b32_e32 v12, 3, v7
	v_lshl_or_b32 v10, v10, 6, v11
	v_cmp_gt_i64_e32 vcc_lo, s[12:13], v[3:4]
	s_mul_hi_u32 s9, s24, s8
	s_waitcnt lgkmcnt(0)
	v_mul_lo_u32 v13, s1, v5
	v_add_co_u32 v7, s1, s6, v7
	v_add_co_ci_u32_e64 v16, null, s7, 0, s1
	v_mul_lo_u32 v14, s0, v6
	v_mad_u64_u32 v[3:4], null, s0, v5, 0
	v_cmp_gt_i64_e64 s0, s[14:15], v[5:6]
	v_add_nc_u32_e32 v15, 0x800, v10
	v_mul_lo_u32 v10, s23, v7
	v_mul_lo_u32 v18, s22, v16
	v_mad_u64_u32 v[5:6], null, s22, v7, 0
	v_add3_u32 v4, v4, v14, v13
	s_mul_i32 s1, s3, s8
	s_mul_hi_u32 s3, s2, s8
	s_mul_i32 s2, s2, s8
	s_add_i32 s3, s3, s1
	v_lshlrev_b64 v[3:4], 3, v[3:4]
	v_add3_u32 v6, v6, v18, v10
	s_lshl_b64 s[2:3], s[2:3], 3
	s_mul_i32 s1, s25, s8
	s_mul_i32 s22, s24, s8
	s_add_i32 s23, s9, s1
	v_lshlrev_b64 v[5:6], 3, v[5:6]
	v_add_co_u32 v3, s1, v3, s2
	v_add_co_ci_u32_e64 v4, null, s3, v4, s1
	s_lshl_b64 s[2:3], s[22:23], 3
	v_lshlrev_b32_e32 v7, 3, v9
	v_add_co_u32 v5, s1, v5, s2
	v_add_co_ci_u32_e64 v6, null, s3, v6, s1
	v_add_co_u32 v3, s1, v3, v11
	v_add_co_ci_u32_e64 v10, null, 0, v4, s1
	;; [unrolled: 2-line block ×4, first 2 shown]
	v_add_co_u32 v6, s1, s20, v7
	v_lshl_or_b32 v12, v9, 8, v12
	v_lshlrev_b32_e32 v16, 3, v0
	v_add_co_ci_u32_e64 v7, null, s21, v11, s1
	v_mov_b32_e32 v11, 0
	v_mov_b32_e32 v10, 0
	v_mov_b32_e32 v14, 0
	v_mov_b32_e32 v13, 0
	v_mov_b32_e32 v18, 0
	v_mov_b32_e32 v21, 0
	v_mov_b32_e32 v20, 0
	s_mov_b64 s[2:3], 0
	s_xor_b32 s1, vcc_lo, -1
	s_xor_b32 s0, s0, -1
	s_branch .LBB520_3
.LBB520_2:                              ;   in Loop: Header=BB520_3 Depth=1
	s_or_b32 exec_lo, exec_lo, s9
	s_waitcnt lgkmcnt(0)
	s_barrier
	buffer_gl0_inv
	ds_read_b128 v[22:25], v17
	ds_read2_b64 v[26:29], v16 offset1:16
	ds_read_b128 v[30:33], v17 offset:1024
	ds_read_b128 v[34:37], v17 offset:16
	;; [unrolled: 1-line block ×4, first 2 shown]
	ds_read2_b64 v[46:49], v16 offset0:32 offset1:48
	ds_read_b128 v[50:53], v17 offset:1040
	s_add_u32 s2, s2, 8
	s_addc_u32 s3, s3, 0
	v_add_co_u32 v4, vcc_lo, v4, 64
	v_cmp_lt_i64_e64 s9, s[2:3], s[16:17]
	v_add_co_ci_u32_e64 v5, null, 0, v5, vcc_lo
	v_add_co_u32 v6, vcc_lo, v6, 64
	v_add_co_ci_u32_e64 v7, null, 0, v7, vcc_lo
	s_and_b32 vcc_lo, exec_lo, s9
	s_waitcnt lgkmcnt(6)
	v_mul_f32_e32 v3, v23, v27
	v_mul_f32_e32 v54, v22, v27
	;; [unrolled: 1-line block ×4, first 2 shown]
	s_waitcnt lgkmcnt(5)
	v_mul_f32_e32 v57, v31, v27
	v_mul_f32_e32 v27, v30, v27
	;; [unrolled: 1-line block ×3, first 2 shown]
	v_fma_f32 v3, v22, v26, -v3
	v_fmac_f32_e32 v54, v23, v26
	v_fma_f32 v22, v22, v28, -v55
	v_fmac_f32_e32 v56, v23, v28
	v_fma_f32 v23, v30, v26, -v57
	v_mul_f32_e32 v29, v30, v29
	v_fmac_f32_e32 v27, v31, v26
	v_fma_f32 v26, v30, v28, -v58
	v_add_f32_e32 v3, v20, v3
	v_add_f32_e32 v30, v21, v54
	;; [unrolled: 1-line block ×5, first 2 shown]
	s_waitcnt lgkmcnt(1)
	v_mul_f32_e32 v23, v25, v47
	ds_read2_b64 v[18:21], v16 offset0:64 offset1:80
	v_add_f32_e32 v14, v14, v27
	v_mul_f32_e32 v27, v25, v49
	v_fmac_f32_e32 v29, v31, v28
	v_fma_f32 v23, v24, v46, -v23
	v_add_f32_e32 v10, v10, v26
	v_mul_f32_e32 v26, v24, v47
	v_mul_f32_e32 v28, v24, v49
	v_add_f32_e32 v11, v11, v29
	v_add_f32_e32 v3, v3, v23
	v_fma_f32 v23, v24, v48, -v27
	v_mul_f32_e32 v24, v33, v47
	v_fmac_f32_e32 v26, v25, v46
	v_fmac_f32_e32 v28, v25, v48
	v_mul_f32_e32 v25, v32, v47
	v_add_f32_e32 v27, v22, v23
	v_fma_f32 v22, v32, v46, -v24
	v_mul_f32_e32 v23, v33, v49
	v_add_f32_e32 v26, v30, v26
	v_fmac_f32_e32 v25, v33, v46
	v_mul_f32_e32 v29, v32, v49
	v_add_f32_e32 v13, v13, v22
	v_fma_f32 v22, v32, v48, -v23
	s_waitcnt lgkmcnt(0)
	v_mul_f32_e32 v23, v35, v19
	v_mul_f32_e32 v30, v34, v19
	;; [unrolled: 1-line block ×3, first 2 shown]
	v_add_f32_e32 v14, v14, v25
	v_add_f32_e32 v10, v10, v22
	v_fma_f32 v31, v34, v18, -v23
	ds_read2_b64 v[22:25], v16 offset0:96 offset1:112
	v_fmac_f32_e32 v30, v35, v18
	v_fmac_f32_e32 v29, v33, v48
	v_add_f32_e32 v28, v54, v28
	v_add_f32_e32 v3, v3, v31
	v_fma_f32 v31, v34, v20, -v32
	v_add_f32_e32 v26, v26, v30
	v_mul_f32_e32 v30, v51, v19
	v_mul_f32_e32 v19, v50, v19
	v_add_f32_e32 v11, v11, v29
	v_add_f32_e32 v27, v27, v31
	v_mul_f32_e32 v31, v51, v21
	v_mul_f32_e32 v29, v34, v21
	v_fma_f32 v30, v50, v18, -v30
	v_fmac_f32_e32 v19, v51, v18
	v_mul_f32_e32 v32, v50, v21
	v_fma_f32 v18, v50, v20, -v31
	v_fmac_f32_e32 v29, v35, v20
	v_add_f32_e32 v13, v13, v30
	v_add_f32_e32 v14, v14, v19
	v_fmac_f32_e32 v32, v51, v20
	v_add_f32_e32 v10, v10, v18
	ds_read2_b64 v[18:21], v16 offset0:128 offset1:144
	v_add_f32_e32 v33, v28, v29
	s_waitcnt lgkmcnt(1)
	v_mul_f32_e32 v28, v37, v23
	v_mul_f32_e32 v29, v36, v23
	v_mul_f32_e32 v30, v37, v25
	v_mul_f32_e32 v31, v36, v25
	v_add_f32_e32 v11, v11, v32
	v_fma_f32 v28, v36, v22, -v28
	v_fmac_f32_e32 v29, v37, v22
	v_fma_f32 v30, v36, v24, -v30
	v_fmac_f32_e32 v31, v37, v24
	v_mul_f32_e32 v32, v53, v25
	v_add_f32_e32 v3, v3, v28
	v_mul_f32_e32 v28, v53, v23
	v_mul_f32_e32 v23, v52, v23
	v_add_f32_e32 v34, v26, v29
	v_add_f32_e32 v35, v27, v30
	;; [unrolled: 1-line block ×3, first 2 shown]
	v_fma_f32 v30, v52, v22, -v28
	ds_read_b128 v[26:29], v17 offset:1056
	v_fmac_f32_e32 v23, v53, v22
	v_mul_f32_e32 v31, v52, v25
	v_fma_f32 v22, v52, v24, -v32
	s_waitcnt lgkmcnt(1)
	v_mul_f32_e32 v25, v39, v19
	v_add_f32_e32 v13, v13, v30
	v_add_f32_e32 v14, v14, v23
	v_fmac_f32_e32 v31, v53, v24
	v_add_f32_e32 v10, v10, v22
	v_fma_f32 v30, v38, v18, -v25
	ds_read2_b64 v[22:25], v16 offset0:160 offset1:176
	v_mul_f32_e32 v32, v39, v21
	v_mul_f32_e32 v37, v38, v19
	;; [unrolled: 1-line block ×3, first 2 shown]
	v_add_f32_e32 v11, v11, v31
	v_add_f32_e32 v3, v3, v30
	v_fma_f32 v38, v38, v20, -v32
	v_fmac_f32_e32 v37, v39, v18
	ds_read_b128 v[30:33], v17 offset:1072
	v_fmac_f32_e32 v46, v39, v20
	s_waitcnt lgkmcnt(2)
	v_mul_f32_e32 v47, v27, v19
	v_mul_f32_e32 v19, v26, v19
	v_add_f32_e32 v35, v35, v38
	v_mul_f32_e32 v38, v27, v21
	v_add_f32_e32 v34, v34, v37
	v_fma_f32 v37, v26, v18, -v47
	v_fmac_f32_e32 v19, v27, v18
	v_mul_f32_e32 v39, v26, v21
	v_fma_f32 v18, v26, v20, -v38
	v_add_f32_e32 v36, v36, v46
	s_waitcnt lgkmcnt(1)
	v_mul_f32_e32 v21, v41, v23
	v_add_f32_e32 v13, v13, v37
	v_add_f32_e32 v14, v14, v19
	v_fmac_f32_e32 v39, v27, v20
	v_mul_f32_e32 v26, v40, v23
	v_add_f32_e32 v10, v10, v18
	v_fma_f32 v27, v40, v22, -v21
	ds_read2_b64 v[18:21], v16 offset0:192 offset1:208
	v_mul_f32_e32 v37, v41, v25
	v_fmac_f32_e32 v26, v41, v22
	v_add_f32_e32 v11, v11, v39
	v_add_f32_e32 v3, v3, v27
	v_mul_f32_e32 v27, v40, v25
	v_fma_f32 v37, v40, v24, -v37
	v_add_f32_e32 v26, v34, v26
	v_mul_f32_e32 v34, v29, v23
	v_mul_f32_e32 v23, v28, v23
	v_fmac_f32_e32 v27, v41, v24
	v_add_f32_e32 v35, v35, v37
	v_mul_f32_e32 v37, v29, v25
	v_fma_f32 v34, v28, v22, -v34
	v_fmac_f32_e32 v23, v29, v22
	v_add_f32_e32 v27, v36, v27
	v_mul_f32_e32 v36, v28, v25
	v_fma_f32 v22, v28, v24, -v37
	v_add_f32_e32 v13, v13, v34
	v_add_f32_e32 v14, v14, v23
	s_waitcnt lgkmcnt(0)
	v_mul_f32_e32 v28, v43, v19
	v_fmac_f32_e32 v36, v29, v24
	v_add_f32_e32 v10, v10, v22
	ds_read2_b64 v[22:25], v16 offset0:224 offset1:240
	v_mul_f32_e32 v29, v42, v19
	v_fma_f32 v28, v42, v18, -v28
	v_mul_f32_e32 v34, v43, v21
	v_add_f32_e32 v11, v11, v36
	v_mul_f32_e32 v36, v42, v21
	v_fmac_f32_e32 v29, v43, v18
	v_add_f32_e32 v3, v3, v28
	v_mul_f32_e32 v28, v31, v19
	v_fma_f32 v34, v42, v20, -v34
	v_mul_f32_e32 v19, v30, v19
	v_add_f32_e32 v26, v26, v29
	v_fmac_f32_e32 v36, v43, v20
	v_fma_f32 v28, v30, v18, -v28
	v_add_f32_e32 v29, v35, v34
	v_mul_f32_e32 v34, v31, v21
	v_fmac_f32_e32 v19, v31, v18
	v_mul_f32_e32 v18, v30, v21
	v_add_f32_e32 v13, v13, v28
	v_add_f32_e32 v27, v27, v36
	v_fma_f32 v21, v30, v20, -v34
	s_waitcnt lgkmcnt(0)
	v_mul_f32_e32 v28, v45, v23
	v_mul_f32_e32 v30, v44, v23
	v_add_f32_e32 v14, v14, v19
	v_fmac_f32_e32 v18, v31, v20
	v_add_f32_e32 v10, v10, v21
	v_fma_f32 v19, v44, v22, -v28
	v_fmac_f32_e32 v30, v45, v22
	v_mul_f32_e32 v28, v45, v25
	v_mul_f32_e32 v31, v44, v25
	v_add_f32_e32 v11, v11, v18
	v_add_f32_e32 v20, v3, v19
	v_add_f32_e32 v21, v26, v30
	v_fma_f32 v3, v44, v24, -v28
	v_mul_f32_e32 v19, v33, v23
	v_mul_f32_e32 v23, v32, v23
	v_mul_f32_e32 v26, v33, v25
	v_mul_f32_e32 v25, v32, v25
	v_fmac_f32_e32 v31, v45, v24
	v_add_f32_e32 v18, v29, v3
	v_fma_f32 v3, v32, v22, -v19
	v_fmac_f32_e32 v23, v33, v22
	v_fma_f32 v22, v32, v24, -v26
	v_fmac_f32_e32 v25, v33, v24
	v_add_f32_e32 v19, v27, v31
	v_add_f32_e32 v13, v13, v3
	;; [unrolled: 1-line block ×5, first 2 shown]
	s_barrier
	buffer_gl0_inv
	s_cbranch_vccz .LBB520_11
.LBB520_3:                              ; =>This Inner Loop Header: Depth=1
	v_add_co_u32 v22, s9, v9, s2
	v_add_co_ci_u32_e64 v23, null, 0, s3, s9
	v_cmp_le_i64_e32 vcc_lo, s[16:17], v[22:23]
	s_or_b32 s9, s1, vcc_lo
	s_and_saveexec_b32 s20, s9
	s_xor_b32 s9, exec_lo, s20
; %bb.4:                                ;   in Loop: Header=BB520_3 Depth=1
	v_mov_b32_e32 v3, v2
	ds_write_b64 v12, v[2:3]
; %bb.5:                                ;   in Loop: Header=BB520_3 Depth=1
	s_andn2_saveexec_b32 s9, s9
	s_cbranch_execz .LBB520_7
; %bb.6:                                ;   in Loop: Header=BB520_3 Depth=1
	global_load_dwordx2 v[22:23], v[6:7], off
	s_waitcnt vmcnt(0)
	ds_write_b64 v12, v[22:23]
.LBB520_7:                              ;   in Loop: Header=BB520_3 Depth=1
	s_or_b32 exec_lo, exec_lo, s9
	v_add_co_u32 v22, s9, v8, s2
	v_add_co_ci_u32_e64 v23, null, 0, s3, s9
	v_cmp_le_i64_e32 vcc_lo, s[16:17], v[22:23]
	s_or_b32 s9, vcc_lo, s0
	s_and_saveexec_b32 s20, s9
	s_xor_b32 s9, exec_lo, s20
; %bb.8:                                ;   in Loop: Header=BB520_3 Depth=1
	v_mov_b32_e32 v3, v2
	ds_write_b64 v15, v[2:3]
; %bb.9:                                ;   in Loop: Header=BB520_3 Depth=1
	s_andn2_saveexec_b32 s9, s9
	s_cbranch_execz .LBB520_2
; %bb.10:                               ;   in Loop: Header=BB520_3 Depth=1
	global_load_dwordx2 v[22:23], v[4:5], off
	s_waitcnt vmcnt(0)
	ds_write_b64 v15, v[22:23]
	s_branch .LBB520_2
.LBB520_11:
	s_clause 0x1
	s_load_dwordx4 s[28:31], s[4:5], 0x78
	s_load_dwordx8 s[20:27], s[4:5], 0x58
	s_waitcnt lgkmcnt(0)
	s_mul_i32 s1, s31, s8
	s_mul_hi_u32 s2, s30, s8
	s_mul_i32 s0, s30, s8
	s_add_i32 s1, s2, s1
	v_add_co_u32 v1, s2, s34, v1
	v_add_co_ci_u32_e64 v2, null, s35, 0, s2
	s_lshl_b64 s[0:1], s[0:1], 3
	s_add_u32 s3, s26, s0
	s_addc_u32 s4, s27, s1
	s_or_b32 s1, s10, s11
	v_cmp_gt_i64_e64 s0, s[14:15], v[1:2]
	s_bitset0_b32 s1, 31
	s_cmp_lg_u32 s1, 0
	s_mov_b32 s1, -1
	s_cbranch_scc1 .LBB520_23
; %bb.12:
	s_and_saveexec_b32 s5, s0
	s_cbranch_execz .LBB520_22
; %bb.13:
	v_mul_lo_u32 v5, v2, s28
	v_mul_lo_u32 v6, v1, s29
	v_mad_u64_u32 v[3:4], null, v1, s28, 0
	v_add3_u32 v4, v4, v6, v5
	v_add_co_u32 v5, s1, s6, v0
	v_add_co_ci_u32_e64 v6, null, s7, 0, s1
	v_lshlrev_b64 v[7:8], 3, v[3:4]
	v_cmp_gt_i64_e32 vcc_lo, s[12:13], v[5:6]
	v_lshlrev_b64 v[3:4], 3, v[5:6]
	v_add_co_u32 v7, s1, s3, v7
	v_add_co_ci_u32_e64 v8, null, s4, v8, s1
	s_and_saveexec_b32 s2, vcc_lo
	s_cbranch_execz .LBB520_15
; %bb.14:
	v_mul_f32_e32 v9, s19, v21
	v_mul_f32_e32 v16, s18, v21
	v_add_co_u32 v22, s1, v7, v3
	v_add_co_ci_u32_e64 v23, null, v8, v4, s1
	v_fma_f32 v15, v20, s18, -v9
	v_fmac_f32_e32 v16, s19, v20
	global_store_dwordx2 v[22:23], v[15:16], off
.LBB520_15:
	s_or_b32 exec_lo, exec_lo, s2
	v_add_co_u32 v5, s1, v5, 16
	v_add_co_ci_u32_e64 v6, null, 0, v6, s1
	v_cmp_gt_i64_e64 s1, s[12:13], v[5:6]
	s_and_saveexec_b32 s9, s1
	s_cbranch_execz .LBB520_17
; %bb.16:
	v_mul_f32_e32 v5, s19, v19
	v_mul_f32_e32 v6, s18, v19
	v_add_co_u32 v15, s2, v7, v3
	v_add_co_ci_u32_e64 v16, null, v8, v4, s2
	v_fma_f32 v5, v18, s18, -v5
	v_fmac_f32_e32 v6, s19, v18
	global_store_dwordx2 v[15:16], v[5:6], off offset:128
.LBB520_17:
	s_or_b32 exec_lo, exec_lo, s9
	v_add_co_u32 v5, s2, v1, 16
	v_add_co_ci_u32_e64 v6, null, 0, v2, s2
	v_cmp_gt_i64_e64 s2, s[14:15], v[5:6]
	s_and_b32 exec_lo, exec_lo, s2
	s_cbranch_execz .LBB520_22
; %bb.18:
	s_lshl_b64 s[16:17], s[28:29], 7
	v_add_co_u32 v5, s2, v7, s16
	v_add_co_ci_u32_e64 v6, null, s17, v8, s2
	v_add_co_u32 v3, s2, v5, v3
	v_add_co_ci_u32_e64 v4, null, v6, v4, s2
	s_and_saveexec_b32 s2, vcc_lo
	s_cbranch_execz .LBB520_20
; %bb.19:
	v_mul_f32_e32 v5, s19, v14
	v_mul_f32_e32 v6, s18, v14
	v_fma_f32 v5, v13, s18, -v5
	v_fmac_f32_e32 v6, s19, v13
	global_store_dwordx2 v[3:4], v[5:6], off
.LBB520_20:
	s_or_b32 exec_lo, exec_lo, s2
	s_and_b32 exec_lo, exec_lo, s1
	s_cbranch_execz .LBB520_22
; %bb.21:
	v_mul_f32_e32 v5, s19, v11
	v_mul_f32_e32 v6, s18, v11
	v_fma_f32 v5, v10, s18, -v5
	v_fmac_f32_e32 v6, s19, v10
	global_store_dwordx2 v[3:4], v[5:6], off offset:128
.LBB520_22:
	s_or_b32 exec_lo, exec_lo, s5
	s_mov_b32 s1, 0
.LBB520_23:
	s_andn2_b32 vcc_lo, exec_lo, s1
	s_cbranch_vccnz .LBB520_34
; %bb.24:
	s_and_saveexec_b32 s1, s0
	s_cbranch_execz .LBB520_34
; %bb.25:
	v_mul_lo_u32 v5, v2, s22
	v_mul_lo_u32 v6, v1, s23
	v_mad_u64_u32 v[3:4], null, v1, s22, 0
	v_mul_lo_u32 v9, v2, s28
	v_mul_lo_u32 v12, v1, s29
	v_mad_u64_u32 v[7:8], null, v1, s28, 0
	s_mul_i32 s0, s25, s8
	s_mul_hi_u32 s1, s24, s8
	v_add3_u32 v4, v4, v6, v5
	s_add_i32 s1, s1, s0
	s_mul_i32 s0, s24, s8
	v_add_co_u32 v5, s2, s6, v0
	v_add3_u32 v8, v8, v12, v9
	v_lshlrev_b64 v[3:4], 3, v[3:4]
	s_lshl_b64 s[0:1], s[0:1], 3
	v_add_co_ci_u32_e64 v6, null, s7, 0, s2
	v_lshlrev_b64 v[8:9], 3, v[7:8]
	s_add_u32 s0, s20, s0
	s_addc_u32 s1, s21, s1
	v_add_co_u32 v0, s0, s0, v3
	v_add_co_ci_u32_e64 v7, null, s1, v4, s0
	v_add_co_u32 v8, s0, s3, v8
	v_cmp_gt_i64_e32 vcc_lo, s[12:13], v[5:6]
	v_lshlrev_b64 v[3:4], 3, v[5:6]
	v_add_co_ci_u32_e64 v9, null, s4, v9, s0
	s_and_saveexec_b32 s1, vcc_lo
	s_cbranch_execz .LBB520_27
; %bb.26:
	v_add_co_u32 v15, s0, v0, v3
	v_add_co_ci_u32_e64 v16, null, v7, v4, s0
	v_mul_f32_e32 v12, s19, v21
	v_mul_f32_e32 v17, s18, v21
	global_load_dwordx2 v[15:16], v[15:16], off
	v_fma_f32 v12, v20, s18, -v12
	v_fmac_f32_e32 v17, s19, v20
	s_waitcnt vmcnt(0)
	v_mul_f32_e32 v21, s11, v16
	v_mul_f32_e32 v16, s10, v16
	v_fma_f32 v20, v15, s10, -v21
	v_fmac_f32_e32 v16, s11, v15
	v_add_f32_e32 v15, v12, v20
	v_add_co_u32 v20, s0, v8, v3
	v_add_f32_e32 v16, v17, v16
	v_add_co_ci_u32_e64 v21, null, v9, v4, s0
	global_store_dwordx2 v[20:21], v[15:16], off
.LBB520_27:
	s_or_b32 exec_lo, exec_lo, s1
	v_add_co_u32 v5, s0, v5, 16
	v_add_co_ci_u32_e64 v6, null, 0, v6, s0
	v_cmp_gt_i64_e64 s0, s[12:13], v[5:6]
	s_and_saveexec_b32 s2, s0
	s_cbranch_execz .LBB520_29
; %bb.28:
	v_add_co_u32 v5, s1, v0, v3
	v_add_co_ci_u32_e64 v6, null, v7, v4, s1
	v_mul_f32_e32 v15, s18, v19
	v_mul_f32_e32 v12, s19, v19
	global_load_dwordx2 v[5:6], v[5:6], off offset:128
	v_fmac_f32_e32 v15, s19, v18
	v_fma_f32 v12, v18, s18, -v12
	s_waitcnt vmcnt(0)
	v_mul_f32_e32 v16, s11, v6
	v_mul_f32_e32 v6, s10, v6
	v_fma_f32 v16, v5, s10, -v16
	v_fmac_f32_e32 v6, s11, v5
	v_add_f32_e32 v5, v12, v16
	v_add_f32_e32 v6, v15, v6
	v_add_co_u32 v15, s1, v8, v3
	v_add_co_ci_u32_e64 v16, null, v9, v4, s1
	global_store_dwordx2 v[15:16], v[5:6], off offset:128
.LBB520_29:
	s_or_b32 exec_lo, exec_lo, s2
	v_add_co_u32 v1, s1, v1, 16
	v_add_co_ci_u32_e64 v2, null, 0, v2, s1
	v_cmp_gt_i64_e64 s1, s[14:15], v[1:2]
	s_and_b32 exec_lo, exec_lo, s1
	s_cbranch_execz .LBB520_34
; %bb.30:
	s_lshl_b64 s[2:3], s[22:23], 7
	v_add_co_u32 v0, s1, v0, s2
	v_add_co_ci_u32_e64 v1, null, s3, v7, s1
	s_lshl_b64 s[2:3], s[28:29], 7
	v_add_co_u32 v2, s1, v8, s2
	v_add_co_ci_u32_e64 v7, null, s3, v9, s1
	v_add_co_u32 v5, s1, v0, v3
	v_add_co_ci_u32_e64 v6, null, v1, v4, s1
	;; [unrolled: 2-line block ×3, first 2 shown]
	s_and_saveexec_b32 s1, vcc_lo
	s_cbranch_execz .LBB520_32
; %bb.31:
	global_load_dwordx2 v[2:3], v[5:6], off
	v_mul_f32_e32 v4, s19, v14
	v_mul_f32_e32 v7, s18, v14
	v_fma_f32 v4, v13, s18, -v4
	v_fmac_f32_e32 v7, s19, v13
	s_waitcnt vmcnt(0)
	v_mul_f32_e32 v8, s11, v3
	v_mul_f32_e32 v3, s10, v3
	v_fma_f32 v8, v2, s10, -v8
	v_fmac_f32_e32 v3, s11, v2
	v_add_f32_e32 v2, v4, v8
	v_add_f32_e32 v3, v7, v3
	global_store_dwordx2 v[0:1], v[2:3], off
.LBB520_32:
	s_or_b32 exec_lo, exec_lo, s1
	s_and_b32 exec_lo, exec_lo, s0
	s_cbranch_execz .LBB520_34
; %bb.33:
	global_load_dwordx2 v[2:3], v[5:6], off offset:128
	v_mul_f32_e32 v4, s19, v11
	v_mul_f32_e32 v5, s18, v11
	v_fma_f32 v4, v10, s18, -v4
	v_fmac_f32_e32 v5, s19, v10
	s_waitcnt vmcnt(0)
	v_mul_f32_e32 v6, s11, v3
	v_mul_f32_e32 v3, s10, v3
	v_fma_f32 v6, v2, s10, -v6
	v_fmac_f32_e32 v3, s11, v2
	v_add_f32_e32 v2, v4, v6
	v_add_f32_e32 v3, v5, v3
	global_store_dwordx2 v[0:1], v[2:3], off offset:128
.LBB520_34:
	s_endpgm
	.section	.rodata,"a",@progbits
	.p2align	6, 0x0
	.amdhsa_kernel _ZN12_GLOBAL__N_135rocblas_gemm_batched_general_kernelI19rocblas_complex_numIfELi16ELi16ELi32ELi32ELi8ELi32ELi8ELi8ELi32ELc84ELc78EKS2_S3_S2_EEvlllT_PT11_llS6_llS4_PT12_llPT13_lli
		.amdhsa_group_segment_fixed_size 4096
		.amdhsa_private_segment_fixed_size 0
		.amdhsa_kernarg_size 140
		.amdhsa_user_sgpr_count 6
		.amdhsa_user_sgpr_private_segment_buffer 1
		.amdhsa_user_sgpr_dispatch_ptr 0
		.amdhsa_user_sgpr_queue_ptr 0
		.amdhsa_user_sgpr_kernarg_segment_ptr 1
		.amdhsa_user_sgpr_dispatch_id 0
		.amdhsa_user_sgpr_flat_scratch_init 0
		.amdhsa_user_sgpr_private_segment_size 0
		.amdhsa_wavefront_size32 1
		.amdhsa_uses_dynamic_stack 0
		.amdhsa_system_sgpr_private_segment_wavefront_offset 0
		.amdhsa_system_sgpr_workgroup_id_x 1
		.amdhsa_system_sgpr_workgroup_id_y 1
		.amdhsa_system_sgpr_workgroup_id_z 1
		.amdhsa_system_sgpr_workgroup_info 0
		.amdhsa_system_vgpr_workitem_id 1
		.amdhsa_next_free_vgpr 59
		.amdhsa_next_free_sgpr 36
		.amdhsa_reserve_vcc 1
		.amdhsa_reserve_flat_scratch 0
		.amdhsa_float_round_mode_32 0
		.amdhsa_float_round_mode_16_64 0
		.amdhsa_float_denorm_mode_32 3
		.amdhsa_float_denorm_mode_16_64 3
		.amdhsa_dx10_clamp 1
		.amdhsa_ieee_mode 1
		.amdhsa_fp16_overflow 0
		.amdhsa_workgroup_processor_mode 1
		.amdhsa_memory_ordered 1
		.amdhsa_forward_progress 1
		.amdhsa_shared_vgpr_count 0
		.amdhsa_exception_fp_ieee_invalid_op 0
		.amdhsa_exception_fp_denorm_src 0
		.amdhsa_exception_fp_ieee_div_zero 0
		.amdhsa_exception_fp_ieee_overflow 0
		.amdhsa_exception_fp_ieee_underflow 0
		.amdhsa_exception_fp_ieee_inexact 0
		.amdhsa_exception_int_div_zero 0
	.end_amdhsa_kernel
	.section	.text._ZN12_GLOBAL__N_135rocblas_gemm_batched_general_kernelI19rocblas_complex_numIfELi16ELi16ELi32ELi32ELi8ELi32ELi8ELi8ELi32ELc84ELc78EKS2_S3_S2_EEvlllT_PT11_llS6_llS4_PT12_llPT13_lli,"axG",@progbits,_ZN12_GLOBAL__N_135rocblas_gemm_batched_general_kernelI19rocblas_complex_numIfELi16ELi16ELi32ELi32ELi8ELi32ELi8ELi8ELi32ELc84ELc78EKS2_S3_S2_EEvlllT_PT11_llS6_llS4_PT12_llPT13_lli,comdat
.Lfunc_end520:
	.size	_ZN12_GLOBAL__N_135rocblas_gemm_batched_general_kernelI19rocblas_complex_numIfELi16ELi16ELi32ELi32ELi8ELi32ELi8ELi8ELi32ELc84ELc78EKS2_S3_S2_EEvlllT_PT11_llS6_llS4_PT12_llPT13_lli, .Lfunc_end520-_ZN12_GLOBAL__N_135rocblas_gemm_batched_general_kernelI19rocblas_complex_numIfELi16ELi16ELi32ELi32ELi8ELi32ELi8ELi8ELi32ELc84ELc78EKS2_S3_S2_EEvlllT_PT11_llS6_llS4_PT12_llPT13_lli
                                        ; -- End function
	.set _ZN12_GLOBAL__N_135rocblas_gemm_batched_general_kernelI19rocblas_complex_numIfELi16ELi16ELi32ELi32ELi8ELi32ELi8ELi8ELi32ELc84ELc78EKS2_S3_S2_EEvlllT_PT11_llS6_llS4_PT12_llPT13_lli.num_vgpr, 59
	.set _ZN12_GLOBAL__N_135rocblas_gemm_batched_general_kernelI19rocblas_complex_numIfELi16ELi16ELi32ELi32ELi8ELi32ELi8ELi8ELi32ELc84ELc78EKS2_S3_S2_EEvlllT_PT11_llS6_llS4_PT12_llPT13_lli.num_agpr, 0
	.set _ZN12_GLOBAL__N_135rocblas_gemm_batched_general_kernelI19rocblas_complex_numIfELi16ELi16ELi32ELi32ELi8ELi32ELi8ELi8ELi32ELc84ELc78EKS2_S3_S2_EEvlllT_PT11_llS6_llS4_PT12_llPT13_lli.numbered_sgpr, 36
	.set _ZN12_GLOBAL__N_135rocblas_gemm_batched_general_kernelI19rocblas_complex_numIfELi16ELi16ELi32ELi32ELi8ELi32ELi8ELi8ELi32ELc84ELc78EKS2_S3_S2_EEvlllT_PT11_llS6_llS4_PT12_llPT13_lli.num_named_barrier, 0
	.set _ZN12_GLOBAL__N_135rocblas_gemm_batched_general_kernelI19rocblas_complex_numIfELi16ELi16ELi32ELi32ELi8ELi32ELi8ELi8ELi32ELc84ELc78EKS2_S3_S2_EEvlllT_PT11_llS6_llS4_PT12_llPT13_lli.private_seg_size, 0
	.set _ZN12_GLOBAL__N_135rocblas_gemm_batched_general_kernelI19rocblas_complex_numIfELi16ELi16ELi32ELi32ELi8ELi32ELi8ELi8ELi32ELc84ELc78EKS2_S3_S2_EEvlllT_PT11_llS6_llS4_PT12_llPT13_lli.uses_vcc, 1
	.set _ZN12_GLOBAL__N_135rocblas_gemm_batched_general_kernelI19rocblas_complex_numIfELi16ELi16ELi32ELi32ELi8ELi32ELi8ELi8ELi32ELc84ELc78EKS2_S3_S2_EEvlllT_PT11_llS6_llS4_PT12_llPT13_lli.uses_flat_scratch, 0
	.set _ZN12_GLOBAL__N_135rocblas_gemm_batched_general_kernelI19rocblas_complex_numIfELi16ELi16ELi32ELi32ELi8ELi32ELi8ELi8ELi32ELc84ELc78EKS2_S3_S2_EEvlllT_PT11_llS6_llS4_PT12_llPT13_lli.has_dyn_sized_stack, 0
	.set _ZN12_GLOBAL__N_135rocblas_gemm_batched_general_kernelI19rocblas_complex_numIfELi16ELi16ELi32ELi32ELi8ELi32ELi8ELi8ELi32ELc84ELc78EKS2_S3_S2_EEvlllT_PT11_llS6_llS4_PT12_llPT13_lli.has_recursion, 0
	.set _ZN12_GLOBAL__N_135rocblas_gemm_batched_general_kernelI19rocblas_complex_numIfELi16ELi16ELi32ELi32ELi8ELi32ELi8ELi8ELi32ELc84ELc78EKS2_S3_S2_EEvlllT_PT11_llS6_llS4_PT12_llPT13_lli.has_indirect_call, 0
	.section	.AMDGPU.csdata,"",@progbits
; Kernel info:
; codeLenInByte = 2976
; TotalNumSgprs: 38
; NumVgprs: 59
; ScratchSize: 0
; MemoryBound: 1
; FloatMode: 240
; IeeeMode: 1
; LDSByteSize: 4096 bytes/workgroup (compile time only)
; SGPRBlocks: 0
; VGPRBlocks: 7
; NumSGPRsForWavesPerEU: 38
; NumVGPRsForWavesPerEU: 59
; Occupancy: 16
; WaveLimiterHint : 1
; COMPUTE_PGM_RSRC2:SCRATCH_EN: 0
; COMPUTE_PGM_RSRC2:USER_SGPR: 6
; COMPUTE_PGM_RSRC2:TRAP_HANDLER: 0
; COMPUTE_PGM_RSRC2:TGID_X_EN: 1
; COMPUTE_PGM_RSRC2:TGID_Y_EN: 1
; COMPUTE_PGM_RSRC2:TGID_Z_EN: 1
; COMPUTE_PGM_RSRC2:TIDIG_COMP_CNT: 1
	.section	.text._ZN12_GLOBAL__N_135rocblas_gemm_batched_general_kernelI19rocblas_complex_numIfELi16ELi16ELi32ELi32ELi8ELi32ELi8ELi8ELi32ELc78ELc84EKS2_S3_S2_EEvlllT_PT11_llS6_llS4_PT12_llPT13_lli,"axG",@progbits,_ZN12_GLOBAL__N_135rocblas_gemm_batched_general_kernelI19rocblas_complex_numIfELi16ELi16ELi32ELi32ELi8ELi32ELi8ELi8ELi32ELc78ELc84EKS2_S3_S2_EEvlllT_PT11_llS6_llS4_PT12_llPT13_lli,comdat
	.globl	_ZN12_GLOBAL__N_135rocblas_gemm_batched_general_kernelI19rocblas_complex_numIfELi16ELi16ELi32ELi32ELi8ELi32ELi8ELi8ELi32ELc78ELc84EKS2_S3_S2_EEvlllT_PT11_llS6_llS4_PT12_llPT13_lli ; -- Begin function _ZN12_GLOBAL__N_135rocblas_gemm_batched_general_kernelI19rocblas_complex_numIfELi16ELi16ELi32ELi32ELi8ELi32ELi8ELi8ELi32ELc78ELc84EKS2_S3_S2_EEvlllT_PT11_llS6_llS4_PT12_llPT13_lli
	.p2align	8
	.type	_ZN12_GLOBAL__N_135rocblas_gemm_batched_general_kernelI19rocblas_complex_numIfELi16ELi16ELi32ELi32ELi8ELi32ELi8ELi8ELi32ELc78ELc84EKS2_S3_S2_EEvlllT_PT11_llS6_llS4_PT12_llPT13_lli,@function
_ZN12_GLOBAL__N_135rocblas_gemm_batched_general_kernelI19rocblas_complex_numIfELi16ELi16ELi32ELi32ELi8ELi32ELi8ELi8ELi32ELc78ELc84EKS2_S3_S2_EEvlllT_PT11_llS6_llS4_PT12_llPT13_lli: ; @_ZN12_GLOBAL__N_135rocblas_gemm_batched_general_kernelI19rocblas_complex_numIfELi16ELi16ELi32ELi32ELi8ELi32ELi8ELi8ELi32ELc78ELc84EKS2_S3_S2_EEvlllT_PT11_llS6_llS4_PT12_llPT13_lli
; %bb.0:
	s_clause 0x1
	s_load_dwordx16 s[12:27], s[4:5], 0x0
	s_load_dwordx2 s[10:11], s[4:5], 0x50
	s_mov_b32 s0, s7
	v_mov_b32_e32 v20, 0
	v_mov_b32_e32 v21, 0
	;; [unrolled: 1-line block ×8, first 2 shown]
	s_ashr_i32 s7, s6, 31
	s_ashr_i32 s1, s0, 31
	s_lshl_b64 s[34:35], s[6:7], 5
	s_waitcnt lgkmcnt(0)
	v_cmp_lt_i64_e64 s2, s[16:17], 1
	s_and_b32 vcc_lo, exec_lo, s2
	s_lshl_b64 s[2:3], s[0:1], 5
	s_cbranch_vccnz .LBB521_11
; %bb.1:
	s_load_dwordx4 s[28:31], s[4:5], 0x40
	v_lshl_add_u32 v3, v1, 4, v0
	v_and_b32_e32 v8, 7, v0
	v_mov_b32_e32 v4, s35
	s_lshl_b64 s[36:37], s[0:1], 8
	s_mul_i32 s1, s25, s8
	v_lshrrev_b32_e32 v13, 5, v3
	v_and_b32_e32 v7, 31, v3
	v_lshrrev_b32_e32 v16, 3, v3
	v_and_b32_e32 v18, 0x1ff8, v3
	s_mul_hi_u32 s9, s24, s8
	v_mad_u64_u32 v[11:12], null, s22, v13, 0
	v_or_b32_e32 v3, s34, v7
	v_lshlrev_b32_e32 v19, 3, v7
	s_mul_i32 s24, s24, s8
	v_lshlrev_b32_e32 v17, 3, v8
	v_add_co_u32 v14, s0, v16, s2
	v_cmp_gt_i64_e32 vcc_lo, s[12:13], v[3:4]
	s_waitcnt lgkmcnt(0)
	v_mad_u64_u32 v[5:6], null, s28, v8, 0
	v_mov_b32_e32 v3, v12
	s_mul_i32 s25, s31, s8
	s_mul_hi_u32 s31, s30, s8
	s_mul_i32 s30, s30, s8
	s_add_i32 s31, s31, s25
	v_mad_u64_u32 v[3:4], null, s23, v13, v[3:4]
	v_mad_u64_u32 v[6:7], null, s29, v8, v[6:7]
	s_lshl_b64 s[30:31], s[30:31], 3
	v_add_co_ci_u32_e64 v15, null, 0, s3, s0
	s_add_u32 s30, s36, s30
	v_mov_b32_e32 v12, v3
	s_addc_u32 s31, s37, s31
	v_lshlrev_b64 v[3:4], 3, v[5:6]
	s_add_i32 s25, s9, s1
	v_lshl_or_b32 v17, v16, 6, v17
	v_lshlrev_b64 v[5:6], 3, v[11:12]
	s_lshl_b64 s[24:25], s[24:25], 3
	v_cmp_gt_i64_e64 s0, s[14:15], v[14:15]
	v_add_co_u32 v3, s1, s30, v3
	v_add_co_ci_u32_e64 v4, null, s31, v4, s1
	s_lshl_b64 s[30:31], s[6:7], 8
	s_lshl_b64 s[6:7], s[28:29], 6
	s_add_u32 s1, s30, s24
	s_addc_u32 s9, s31, s25
	v_add_co_u32 v5, s1, s1, v5
	v_add_co_ci_u32_e64 v6, null, s9, v6, s1
	v_add_co_u32 v3, s1, v3, v18
	v_add_co_ci_u32_e64 v7, null, 0, v4, s1
	;; [unrolled: 2-line block ×4, first 2 shown]
	v_add_co_u32 v6, s1, s20, v11
	v_mov_b32_e32 v2, 0
	v_lshlrev_b32_e32 v9, 3, v0
	v_lshl_add_u32 v10, v1, 6, 0x800
	v_lshl_or_b32 v16, v13, 8, v19
	v_add_nc_u32_e32 v17, 0x800, v17
	v_add_co_ci_u32_e64 v7, null, s21, v12, s1
	v_mov_b32_e32 v12, 0
	v_mov_b32_e32 v11, 0
	;; [unrolled: 1-line block ×8, first 2 shown]
	s_lshl_b64 s[20:21], s[22:23], 6
	s_mov_b64 s[22:23], 0
	s_xor_b32 s1, vcc_lo, -1
	s_xor_b32 s0, s0, -1
	s_branch .LBB521_3
.LBB521_2:                              ;   in Loop: Header=BB521_3 Depth=1
	s_or_b32 exec_lo, exec_lo, s9
	s_waitcnt lgkmcnt(0)
	s_barrier
	buffer_gl0_inv
	ds_read_b128 v[22:25], v10
	ds_read2_b64 v[26:29], v9 offset1:16
	ds_read_b128 v[30:33], v10 offset:1024
	ds_read_b128 v[34:37], v10 offset:16
	;; [unrolled: 1-line block ×4, first 2 shown]
	ds_read2_b64 v[46:49], v9 offset0:32 offset1:48
	ds_read_b128 v[50:53], v10 offset:1040
	s_add_u32 s22, s22, 8
	s_addc_u32 s23, s23, 0
	v_add_co_u32 v4, vcc_lo, v4, s6
	v_cmp_lt_i64_e64 s9, s[22:23], s[16:17]
	v_add_co_ci_u32_e64 v5, null, s7, v5, vcc_lo
	v_add_co_u32 v6, vcc_lo, v6, s20
	v_add_co_ci_u32_e64 v7, null, s21, v7, vcc_lo
	s_and_b32 vcc_lo, exec_lo, s9
	s_waitcnt lgkmcnt(6)
	v_mul_f32_e32 v3, v23, v27
	v_mul_f32_e32 v54, v22, v27
	;; [unrolled: 1-line block ×4, first 2 shown]
	s_waitcnt lgkmcnt(5)
	v_mul_f32_e32 v57, v31, v27
	v_mul_f32_e32 v27, v30, v27
	;; [unrolled: 1-line block ×3, first 2 shown]
	v_fma_f32 v3, v22, v26, -v3
	v_fmac_f32_e32 v54, v23, v26
	v_fma_f32 v22, v22, v28, -v55
	v_fmac_f32_e32 v56, v23, v28
	v_fma_f32 v23, v30, v26, -v57
	v_mul_f32_e32 v29, v30, v29
	v_fmac_f32_e32 v27, v31, v26
	v_fma_f32 v26, v30, v28, -v58
	v_add_f32_e32 v3, v20, v3
	v_add_f32_e32 v30, v21, v54
	;; [unrolled: 1-line block ×5, first 2 shown]
	s_waitcnt lgkmcnt(1)
	v_mul_f32_e32 v23, v25, v47
	ds_read2_b64 v[18:21], v9 offset0:64 offset1:80
	v_add_f32_e32 v15, v15, v27
	v_mul_f32_e32 v27, v25, v49
	v_fmac_f32_e32 v29, v31, v28
	v_fma_f32 v23, v24, v46, -v23
	v_add_f32_e32 v11, v11, v26
	v_mul_f32_e32 v26, v24, v47
	v_mul_f32_e32 v28, v24, v49
	v_add_f32_e32 v12, v12, v29
	v_add_f32_e32 v3, v3, v23
	v_fma_f32 v23, v24, v48, -v27
	v_mul_f32_e32 v24, v33, v47
	v_fmac_f32_e32 v26, v25, v46
	v_fmac_f32_e32 v28, v25, v48
	v_mul_f32_e32 v25, v32, v47
	v_add_f32_e32 v27, v22, v23
	v_fma_f32 v22, v32, v46, -v24
	v_mul_f32_e32 v23, v33, v49
	v_add_f32_e32 v26, v30, v26
	v_fmac_f32_e32 v25, v33, v46
	v_mul_f32_e32 v29, v32, v49
	v_add_f32_e32 v14, v14, v22
	v_fma_f32 v22, v32, v48, -v23
	s_waitcnt lgkmcnt(0)
	v_mul_f32_e32 v23, v35, v19
	v_mul_f32_e32 v30, v34, v19
	;; [unrolled: 1-line block ×3, first 2 shown]
	v_add_f32_e32 v15, v15, v25
	v_add_f32_e32 v11, v11, v22
	v_fma_f32 v31, v34, v18, -v23
	ds_read2_b64 v[22:25], v9 offset0:96 offset1:112
	v_fmac_f32_e32 v30, v35, v18
	v_fmac_f32_e32 v29, v33, v48
	v_add_f32_e32 v28, v54, v28
	v_add_f32_e32 v3, v3, v31
	v_fma_f32 v31, v34, v20, -v32
	v_add_f32_e32 v26, v26, v30
	v_mul_f32_e32 v30, v51, v19
	v_mul_f32_e32 v19, v50, v19
	v_add_f32_e32 v12, v12, v29
	v_add_f32_e32 v27, v27, v31
	v_mul_f32_e32 v31, v51, v21
	v_mul_f32_e32 v29, v34, v21
	v_fma_f32 v30, v50, v18, -v30
	v_fmac_f32_e32 v19, v51, v18
	v_mul_f32_e32 v32, v50, v21
	v_fma_f32 v18, v50, v20, -v31
	v_fmac_f32_e32 v29, v35, v20
	v_add_f32_e32 v14, v14, v30
	v_add_f32_e32 v15, v15, v19
	v_fmac_f32_e32 v32, v51, v20
	v_add_f32_e32 v11, v11, v18
	ds_read2_b64 v[18:21], v9 offset0:128 offset1:144
	v_add_f32_e32 v33, v28, v29
	s_waitcnt lgkmcnt(1)
	v_mul_f32_e32 v28, v37, v23
	v_mul_f32_e32 v29, v36, v23
	;; [unrolled: 1-line block ×4, first 2 shown]
	v_add_f32_e32 v12, v12, v32
	v_fma_f32 v28, v36, v22, -v28
	v_fmac_f32_e32 v29, v37, v22
	v_fma_f32 v30, v36, v24, -v30
	v_fmac_f32_e32 v31, v37, v24
	v_mul_f32_e32 v32, v53, v25
	v_add_f32_e32 v3, v3, v28
	v_mul_f32_e32 v28, v53, v23
	v_mul_f32_e32 v23, v52, v23
	v_add_f32_e32 v34, v26, v29
	v_add_f32_e32 v35, v27, v30
	;; [unrolled: 1-line block ×3, first 2 shown]
	v_fma_f32 v30, v52, v22, -v28
	ds_read_b128 v[26:29], v10 offset:1056
	v_fmac_f32_e32 v23, v53, v22
	v_mul_f32_e32 v31, v52, v25
	v_fma_f32 v22, v52, v24, -v32
	s_waitcnt lgkmcnt(1)
	v_mul_f32_e32 v25, v39, v19
	v_add_f32_e32 v14, v14, v30
	v_add_f32_e32 v15, v15, v23
	v_fmac_f32_e32 v31, v53, v24
	v_add_f32_e32 v11, v11, v22
	v_fma_f32 v30, v38, v18, -v25
	ds_read2_b64 v[22:25], v9 offset0:160 offset1:176
	v_mul_f32_e32 v32, v39, v21
	v_mul_f32_e32 v37, v38, v19
	;; [unrolled: 1-line block ×3, first 2 shown]
	v_add_f32_e32 v12, v12, v31
	v_add_f32_e32 v3, v3, v30
	v_fma_f32 v38, v38, v20, -v32
	v_fmac_f32_e32 v37, v39, v18
	ds_read_b128 v[30:33], v10 offset:1072
	v_fmac_f32_e32 v46, v39, v20
	s_waitcnt lgkmcnt(2)
	v_mul_f32_e32 v47, v27, v19
	v_mul_f32_e32 v19, v26, v19
	v_add_f32_e32 v35, v35, v38
	v_mul_f32_e32 v38, v27, v21
	v_add_f32_e32 v34, v34, v37
	v_fma_f32 v37, v26, v18, -v47
	v_fmac_f32_e32 v19, v27, v18
	v_mul_f32_e32 v39, v26, v21
	v_fma_f32 v18, v26, v20, -v38
	v_add_f32_e32 v36, v36, v46
	s_waitcnt lgkmcnt(1)
	v_mul_f32_e32 v21, v41, v23
	v_add_f32_e32 v14, v14, v37
	v_add_f32_e32 v15, v15, v19
	v_fmac_f32_e32 v39, v27, v20
	v_mul_f32_e32 v26, v40, v23
	v_add_f32_e32 v11, v11, v18
	v_fma_f32 v27, v40, v22, -v21
	ds_read2_b64 v[18:21], v9 offset0:192 offset1:208
	v_mul_f32_e32 v37, v41, v25
	v_fmac_f32_e32 v26, v41, v22
	v_add_f32_e32 v12, v12, v39
	v_add_f32_e32 v3, v3, v27
	v_mul_f32_e32 v27, v40, v25
	v_fma_f32 v37, v40, v24, -v37
	v_add_f32_e32 v26, v34, v26
	v_mul_f32_e32 v34, v29, v23
	v_mul_f32_e32 v23, v28, v23
	v_fmac_f32_e32 v27, v41, v24
	v_add_f32_e32 v35, v35, v37
	v_mul_f32_e32 v37, v29, v25
	v_fma_f32 v34, v28, v22, -v34
	v_fmac_f32_e32 v23, v29, v22
	v_add_f32_e32 v27, v36, v27
	v_mul_f32_e32 v36, v28, v25
	v_fma_f32 v22, v28, v24, -v37
	v_add_f32_e32 v14, v14, v34
	v_add_f32_e32 v15, v15, v23
	s_waitcnt lgkmcnt(0)
	v_mul_f32_e32 v28, v43, v19
	v_fmac_f32_e32 v36, v29, v24
	v_add_f32_e32 v11, v11, v22
	ds_read2_b64 v[22:25], v9 offset0:224 offset1:240
	v_mul_f32_e32 v29, v42, v19
	v_fma_f32 v28, v42, v18, -v28
	v_mul_f32_e32 v34, v43, v21
	v_add_f32_e32 v12, v12, v36
	v_mul_f32_e32 v36, v42, v21
	v_fmac_f32_e32 v29, v43, v18
	v_add_f32_e32 v3, v3, v28
	v_mul_f32_e32 v28, v31, v19
	v_fma_f32 v34, v42, v20, -v34
	v_mul_f32_e32 v19, v30, v19
	v_add_f32_e32 v26, v26, v29
	v_fmac_f32_e32 v36, v43, v20
	v_fma_f32 v28, v30, v18, -v28
	v_add_f32_e32 v29, v35, v34
	v_mul_f32_e32 v34, v31, v21
	v_fmac_f32_e32 v19, v31, v18
	v_mul_f32_e32 v18, v30, v21
	v_add_f32_e32 v14, v14, v28
	v_add_f32_e32 v27, v27, v36
	v_fma_f32 v21, v30, v20, -v34
	s_waitcnt lgkmcnt(0)
	v_mul_f32_e32 v28, v45, v23
	v_mul_f32_e32 v30, v44, v23
	v_add_f32_e32 v15, v15, v19
	v_fmac_f32_e32 v18, v31, v20
	v_add_f32_e32 v11, v11, v21
	v_fma_f32 v19, v44, v22, -v28
	v_fmac_f32_e32 v30, v45, v22
	v_mul_f32_e32 v28, v45, v25
	v_mul_f32_e32 v31, v44, v25
	v_add_f32_e32 v12, v12, v18
	v_add_f32_e32 v20, v3, v19
	;; [unrolled: 1-line block ×3, first 2 shown]
	v_fma_f32 v3, v44, v24, -v28
	v_mul_f32_e32 v19, v33, v23
	v_mul_f32_e32 v23, v32, v23
	;; [unrolled: 1-line block ×4, first 2 shown]
	v_fmac_f32_e32 v31, v45, v24
	v_add_f32_e32 v18, v29, v3
	v_fma_f32 v3, v32, v22, -v19
	v_fmac_f32_e32 v23, v33, v22
	v_fma_f32 v22, v32, v24, -v26
	v_fmac_f32_e32 v25, v33, v24
	v_add_f32_e32 v19, v27, v31
	v_add_f32_e32 v14, v14, v3
	;; [unrolled: 1-line block ×5, first 2 shown]
	s_barrier
	buffer_gl0_inv
	s_cbranch_vccz .LBB521_11
.LBB521_3:                              ; =>This Inner Loop Header: Depth=1
	v_add_co_u32 v22, s9, v13, s22
	v_add_co_ci_u32_e64 v23, null, 0, s23, s9
	v_cmp_le_i64_e32 vcc_lo, s[16:17], v[22:23]
	s_or_b32 s9, s1, vcc_lo
	s_and_saveexec_b32 s24, s9
	s_xor_b32 s9, exec_lo, s24
; %bb.4:                                ;   in Loop: Header=BB521_3 Depth=1
	v_mov_b32_e32 v3, v2
	ds_write_b64 v16, v[2:3]
; %bb.5:                                ;   in Loop: Header=BB521_3 Depth=1
	s_andn2_saveexec_b32 s9, s9
	s_cbranch_execz .LBB521_7
; %bb.6:                                ;   in Loop: Header=BB521_3 Depth=1
	global_load_dwordx2 v[22:23], v[6:7], off
	s_waitcnt vmcnt(0)
	ds_write_b64 v16, v[22:23]
.LBB521_7:                              ;   in Loop: Header=BB521_3 Depth=1
	s_or_b32 exec_lo, exec_lo, s9
	v_add_co_u32 v22, s9, v8, s22
	v_add_co_ci_u32_e64 v23, null, 0, s23, s9
	v_cmp_le_i64_e32 vcc_lo, s[16:17], v[22:23]
	s_or_b32 s9, vcc_lo, s0
	s_and_saveexec_b32 s24, s9
	s_xor_b32 s9, exec_lo, s24
; %bb.8:                                ;   in Loop: Header=BB521_3 Depth=1
	v_mov_b32_e32 v3, v2
	ds_write_b64 v17, v[2:3]
; %bb.9:                                ;   in Loop: Header=BB521_3 Depth=1
	s_andn2_saveexec_b32 s9, s9
	s_cbranch_execz .LBB521_2
; %bb.10:                               ;   in Loop: Header=BB521_3 Depth=1
	global_load_dwordx2 v[22:23], v[4:5], off
	s_waitcnt vmcnt(0)
	ds_write_b64 v17, v[22:23]
	s_branch .LBB521_2
.LBB521_11:
	s_clause 0x1
	s_load_dwordx4 s[28:31], s[4:5], 0x78
	s_load_dwordx8 s[20:27], s[4:5], 0x58
	v_add_co_u32 v1, s2, s2, v1
	v_add_co_ci_u32_e64 v2, null, s3, 0, s2
	s_waitcnt lgkmcnt(0)
	s_mul_i32 s1, s31, s8
	s_mul_hi_u32 s4, s30, s8
	s_mul_i32 s0, s30, s8
	s_add_i32 s1, s4, s1
	s_lshl_b64 s[0:1], s[0:1], 3
	s_add_u32 s3, s26, s0
	s_addc_u32 s4, s27, s1
	s_or_b32 s1, s10, s11
	v_cmp_gt_i64_e64 s0, s[14:15], v[1:2]
	s_bitset0_b32 s1, 31
	s_cmp_lg_u32 s1, 0
	s_mov_b32 s1, -1
	s_cbranch_scc1 .LBB521_23
; %bb.12:
	s_and_saveexec_b32 s5, s0
	s_cbranch_execz .LBB521_22
; %bb.13:
	v_mul_lo_u32 v5, v2, s28
	v_mul_lo_u32 v6, v1, s29
	v_mad_u64_u32 v[3:4], null, v1, s28, 0
	v_add3_u32 v4, v4, v6, v5
	v_add_co_u32 v5, s1, s34, v0
	v_add_co_ci_u32_e64 v6, null, s35, 0, s1
	v_lshlrev_b64 v[7:8], 3, v[3:4]
	v_cmp_gt_i64_e32 vcc_lo, s[12:13], v[5:6]
	v_lshlrev_b64 v[3:4], 3, v[5:6]
	v_add_co_u32 v7, s1, s3, v7
	v_add_co_ci_u32_e64 v8, null, s4, v8, s1
	s_and_saveexec_b32 s2, vcc_lo
	s_cbranch_execz .LBB521_15
; %bb.14:
	v_mul_f32_e32 v9, s19, v21
	v_mul_f32_e32 v10, s18, v21
	v_add_co_u32 v16, s1, v7, v3
	v_add_co_ci_u32_e64 v17, null, v8, v4, s1
	v_fma_f32 v9, v20, s18, -v9
	v_fmac_f32_e32 v10, s19, v20
	global_store_dwordx2 v[16:17], v[9:10], off
.LBB521_15:
	s_or_b32 exec_lo, exec_lo, s2
	v_add_co_u32 v5, s1, v5, 16
	v_add_co_ci_u32_e64 v6, null, 0, v6, s1
	v_cmp_gt_i64_e64 s1, s[12:13], v[5:6]
	s_and_saveexec_b32 s6, s1
	s_cbranch_execz .LBB521_17
; %bb.16:
	v_mul_f32_e32 v5, s19, v19
	v_mul_f32_e32 v6, s18, v19
	v_add_co_u32 v9, s2, v7, v3
	v_add_co_ci_u32_e64 v10, null, v8, v4, s2
	v_fma_f32 v5, v18, s18, -v5
	v_fmac_f32_e32 v6, s19, v18
	global_store_dwordx2 v[9:10], v[5:6], off offset:128
.LBB521_17:
	s_or_b32 exec_lo, exec_lo, s6
	v_add_co_u32 v5, s2, v1, 16
	v_add_co_ci_u32_e64 v6, null, 0, v2, s2
	v_cmp_gt_i64_e64 s2, s[14:15], v[5:6]
	s_and_b32 exec_lo, exec_lo, s2
	s_cbranch_execz .LBB521_22
; %bb.18:
	s_lshl_b64 s[6:7], s[28:29], 7
	v_add_co_u32 v5, s2, v7, s6
	v_add_co_ci_u32_e64 v6, null, s7, v8, s2
	v_add_co_u32 v3, s2, v5, v3
	v_add_co_ci_u32_e64 v4, null, v6, v4, s2
	s_and_saveexec_b32 s2, vcc_lo
	s_cbranch_execz .LBB521_20
; %bb.19:
	v_mul_f32_e32 v5, s19, v15
	v_mul_f32_e32 v6, s18, v15
	v_fma_f32 v5, v14, s18, -v5
	v_fmac_f32_e32 v6, s19, v14
	global_store_dwordx2 v[3:4], v[5:6], off
.LBB521_20:
	s_or_b32 exec_lo, exec_lo, s2
	s_and_b32 exec_lo, exec_lo, s1
	s_cbranch_execz .LBB521_22
; %bb.21:
	v_mul_f32_e32 v5, s19, v12
	v_mul_f32_e32 v6, s18, v12
	v_fma_f32 v5, v11, s18, -v5
	v_fmac_f32_e32 v6, s19, v11
	global_store_dwordx2 v[3:4], v[5:6], off offset:128
.LBB521_22:
	s_or_b32 exec_lo, exec_lo, s5
	s_mov_b32 s1, 0
.LBB521_23:
	s_andn2_b32 vcc_lo, exec_lo, s1
	s_cbranch_vccnz .LBB521_34
; %bb.24:
	s_and_saveexec_b32 s1, s0
	s_cbranch_execz .LBB521_34
; %bb.25:
	v_mul_lo_u32 v5, v2, s22
	v_mul_lo_u32 v6, v1, s23
	v_mad_u64_u32 v[3:4], null, v1, s22, 0
	v_mul_lo_u32 v9, v2, s28
	v_mul_lo_u32 v10, v1, s29
	v_mad_u64_u32 v[7:8], null, v1, s28, 0
	s_mul_i32 s0, s25, s8
	s_mul_hi_u32 s1, s24, s8
	v_add3_u32 v4, v4, v6, v5
	s_add_i32 s1, s1, s0
	s_mul_i32 s0, s24, s8
	v_add_co_u32 v5, s2, s34, v0
	v_add3_u32 v8, v8, v10, v9
	v_lshlrev_b64 v[3:4], 3, v[3:4]
	s_lshl_b64 s[0:1], s[0:1], 3
	v_add_co_ci_u32_e64 v6, null, s35, 0, s2
	v_lshlrev_b64 v[8:9], 3, v[7:8]
	s_add_u32 s0, s20, s0
	s_addc_u32 s1, s21, s1
	v_add_co_u32 v0, s0, s0, v3
	v_add_co_ci_u32_e64 v7, null, s1, v4, s0
	v_add_co_u32 v8, s0, s3, v8
	v_cmp_gt_i64_e32 vcc_lo, s[12:13], v[5:6]
	v_lshlrev_b64 v[3:4], 3, v[5:6]
	v_add_co_ci_u32_e64 v9, null, s4, v9, s0
	s_and_saveexec_b32 s1, vcc_lo
	s_cbranch_execz .LBB521_27
; %bb.26:
	v_add_co_u32 v16, s0, v0, v3
	v_add_co_ci_u32_e64 v17, null, v7, v4, s0
	v_mul_f32_e32 v10, s19, v21
	v_mul_f32_e32 v13, s18, v21
	global_load_dwordx2 v[16:17], v[16:17], off
	v_fma_f32 v10, v20, s18, -v10
	v_fmac_f32_e32 v13, s19, v20
	s_waitcnt vmcnt(0)
	v_mul_f32_e32 v21, s11, v17
	v_mul_f32_e32 v17, s10, v17
	v_fma_f32 v20, v16, s10, -v21
	v_fmac_f32_e32 v17, s11, v16
	v_add_f32_e32 v16, v10, v20
	v_add_co_u32 v20, s0, v8, v3
	v_add_f32_e32 v17, v13, v17
	v_add_co_ci_u32_e64 v21, null, v9, v4, s0
	global_store_dwordx2 v[20:21], v[16:17], off
.LBB521_27:
	s_or_b32 exec_lo, exec_lo, s1
	v_add_co_u32 v5, s0, v5, 16
	v_add_co_ci_u32_e64 v6, null, 0, v6, s0
	v_cmp_gt_i64_e64 s0, s[12:13], v[5:6]
	s_and_saveexec_b32 s2, s0
	s_cbranch_execz .LBB521_29
; %bb.28:
	v_add_co_u32 v5, s1, v0, v3
	v_add_co_ci_u32_e64 v6, null, v7, v4, s1
	v_mul_f32_e32 v10, s19, v19
	v_mul_f32_e32 v13, s18, v19
	global_load_dwordx2 v[5:6], v[5:6], off offset:128
	v_fma_f32 v10, v18, s18, -v10
	v_fmac_f32_e32 v13, s19, v18
	s_waitcnt vmcnt(0)
	v_mul_f32_e32 v16, s11, v6
	v_mul_f32_e32 v6, s10, v6
	v_fma_f32 v16, v5, s10, -v16
	v_fmac_f32_e32 v6, s11, v5
	v_add_f32_e32 v5, v10, v16
	v_add_co_u32 v16, s1, v8, v3
	v_add_f32_e32 v6, v13, v6
	v_add_co_ci_u32_e64 v17, null, v9, v4, s1
	global_store_dwordx2 v[16:17], v[5:6], off offset:128
.LBB521_29:
	s_or_b32 exec_lo, exec_lo, s2
	v_add_co_u32 v1, s1, v1, 16
	v_add_co_ci_u32_e64 v2, null, 0, v2, s1
	v_cmp_gt_i64_e64 s1, s[14:15], v[1:2]
	s_and_b32 exec_lo, exec_lo, s1
	s_cbranch_execz .LBB521_34
; %bb.30:
	s_lshl_b64 s[2:3], s[22:23], 7
	v_add_co_u32 v0, s1, v0, s2
	v_add_co_ci_u32_e64 v1, null, s3, v7, s1
	s_lshl_b64 s[2:3], s[28:29], 7
	v_add_co_u32 v2, s1, v8, s2
	v_add_co_ci_u32_e64 v7, null, s3, v9, s1
	v_add_co_u32 v5, s1, v0, v3
	v_add_co_ci_u32_e64 v6, null, v1, v4, s1
	;; [unrolled: 2-line block ×3, first 2 shown]
	s_and_saveexec_b32 s1, vcc_lo
	s_cbranch_execz .LBB521_32
; %bb.31:
	global_load_dwordx2 v[2:3], v[5:6], off
	v_mul_f32_e32 v4, s19, v15
	v_mul_f32_e32 v7, s18, v15
	v_fma_f32 v4, v14, s18, -v4
	v_fmac_f32_e32 v7, s19, v14
	s_waitcnt vmcnt(0)
	v_mul_f32_e32 v8, s11, v3
	v_mul_f32_e32 v3, s10, v3
	v_fma_f32 v8, v2, s10, -v8
	v_fmac_f32_e32 v3, s11, v2
	v_add_f32_e32 v2, v4, v8
	v_add_f32_e32 v3, v7, v3
	global_store_dwordx2 v[0:1], v[2:3], off
.LBB521_32:
	s_or_b32 exec_lo, exec_lo, s1
	s_and_b32 exec_lo, exec_lo, s0
	s_cbranch_execz .LBB521_34
; %bb.33:
	global_load_dwordx2 v[2:3], v[5:6], off offset:128
	v_mul_f32_e32 v4, s19, v12
	v_mul_f32_e32 v5, s18, v12
	v_fma_f32 v4, v11, s18, -v4
	v_fmac_f32_e32 v5, s19, v11
	s_waitcnt vmcnt(0)
	v_mul_f32_e32 v6, s11, v3
	v_mul_f32_e32 v3, s10, v3
	v_fma_f32 v6, v2, s10, -v6
	v_fmac_f32_e32 v3, s11, v2
	v_add_f32_e32 v2, v4, v6
	v_add_f32_e32 v3, v5, v3
	global_store_dwordx2 v[0:1], v[2:3], off offset:128
.LBB521_34:
	s_endpgm
	.section	.rodata,"a",@progbits
	.p2align	6, 0x0
	.amdhsa_kernel _ZN12_GLOBAL__N_135rocblas_gemm_batched_general_kernelI19rocblas_complex_numIfELi16ELi16ELi32ELi32ELi8ELi32ELi8ELi8ELi32ELc78ELc84EKS2_S3_S2_EEvlllT_PT11_llS6_llS4_PT12_llPT13_lli
		.amdhsa_group_segment_fixed_size 4096
		.amdhsa_private_segment_fixed_size 0
		.amdhsa_kernarg_size 140
		.amdhsa_user_sgpr_count 6
		.amdhsa_user_sgpr_private_segment_buffer 1
		.amdhsa_user_sgpr_dispatch_ptr 0
		.amdhsa_user_sgpr_queue_ptr 0
		.amdhsa_user_sgpr_kernarg_segment_ptr 1
		.amdhsa_user_sgpr_dispatch_id 0
		.amdhsa_user_sgpr_flat_scratch_init 0
		.amdhsa_user_sgpr_private_segment_size 0
		.amdhsa_wavefront_size32 1
		.amdhsa_uses_dynamic_stack 0
		.amdhsa_system_sgpr_private_segment_wavefront_offset 0
		.amdhsa_system_sgpr_workgroup_id_x 1
		.amdhsa_system_sgpr_workgroup_id_y 1
		.amdhsa_system_sgpr_workgroup_id_z 1
		.amdhsa_system_sgpr_workgroup_info 0
		.amdhsa_system_vgpr_workitem_id 1
		.amdhsa_next_free_vgpr 59
		.amdhsa_next_free_sgpr 38
		.amdhsa_reserve_vcc 1
		.amdhsa_reserve_flat_scratch 0
		.amdhsa_float_round_mode_32 0
		.amdhsa_float_round_mode_16_64 0
		.amdhsa_float_denorm_mode_32 3
		.amdhsa_float_denorm_mode_16_64 3
		.amdhsa_dx10_clamp 1
		.amdhsa_ieee_mode 1
		.amdhsa_fp16_overflow 0
		.amdhsa_workgroup_processor_mode 1
		.amdhsa_memory_ordered 1
		.amdhsa_forward_progress 1
		.amdhsa_shared_vgpr_count 0
		.amdhsa_exception_fp_ieee_invalid_op 0
		.amdhsa_exception_fp_denorm_src 0
		.amdhsa_exception_fp_ieee_div_zero 0
		.amdhsa_exception_fp_ieee_overflow 0
		.amdhsa_exception_fp_ieee_underflow 0
		.amdhsa_exception_fp_ieee_inexact 0
		.amdhsa_exception_int_div_zero 0
	.end_amdhsa_kernel
	.section	.text._ZN12_GLOBAL__N_135rocblas_gemm_batched_general_kernelI19rocblas_complex_numIfELi16ELi16ELi32ELi32ELi8ELi32ELi8ELi8ELi32ELc78ELc84EKS2_S3_S2_EEvlllT_PT11_llS6_llS4_PT12_llPT13_lli,"axG",@progbits,_ZN12_GLOBAL__N_135rocblas_gemm_batched_general_kernelI19rocblas_complex_numIfELi16ELi16ELi32ELi32ELi8ELi32ELi8ELi8ELi32ELc78ELc84EKS2_S3_S2_EEvlllT_PT11_llS6_llS4_PT12_llPT13_lli,comdat
.Lfunc_end521:
	.size	_ZN12_GLOBAL__N_135rocblas_gemm_batched_general_kernelI19rocblas_complex_numIfELi16ELi16ELi32ELi32ELi8ELi32ELi8ELi8ELi32ELc78ELc84EKS2_S3_S2_EEvlllT_PT11_llS6_llS4_PT12_llPT13_lli, .Lfunc_end521-_ZN12_GLOBAL__N_135rocblas_gemm_batched_general_kernelI19rocblas_complex_numIfELi16ELi16ELi32ELi32ELi8ELi32ELi8ELi8ELi32ELc78ELc84EKS2_S3_S2_EEvlllT_PT11_llS6_llS4_PT12_llPT13_lli
                                        ; -- End function
	.set _ZN12_GLOBAL__N_135rocblas_gemm_batched_general_kernelI19rocblas_complex_numIfELi16ELi16ELi32ELi32ELi8ELi32ELi8ELi8ELi32ELc78ELc84EKS2_S3_S2_EEvlllT_PT11_llS6_llS4_PT12_llPT13_lli.num_vgpr, 59
	.set _ZN12_GLOBAL__N_135rocblas_gemm_batched_general_kernelI19rocblas_complex_numIfELi16ELi16ELi32ELi32ELi8ELi32ELi8ELi8ELi32ELc78ELc84EKS2_S3_S2_EEvlllT_PT11_llS6_llS4_PT12_llPT13_lli.num_agpr, 0
	.set _ZN12_GLOBAL__N_135rocblas_gemm_batched_general_kernelI19rocblas_complex_numIfELi16ELi16ELi32ELi32ELi8ELi32ELi8ELi8ELi32ELc78ELc84EKS2_S3_S2_EEvlllT_PT11_llS6_llS4_PT12_llPT13_lli.numbered_sgpr, 38
	.set _ZN12_GLOBAL__N_135rocblas_gemm_batched_general_kernelI19rocblas_complex_numIfELi16ELi16ELi32ELi32ELi8ELi32ELi8ELi8ELi32ELc78ELc84EKS2_S3_S2_EEvlllT_PT11_llS6_llS4_PT12_llPT13_lli.num_named_barrier, 0
	.set _ZN12_GLOBAL__N_135rocblas_gemm_batched_general_kernelI19rocblas_complex_numIfELi16ELi16ELi32ELi32ELi8ELi32ELi8ELi8ELi32ELc78ELc84EKS2_S3_S2_EEvlllT_PT11_llS6_llS4_PT12_llPT13_lli.private_seg_size, 0
	.set _ZN12_GLOBAL__N_135rocblas_gemm_batched_general_kernelI19rocblas_complex_numIfELi16ELi16ELi32ELi32ELi8ELi32ELi8ELi8ELi32ELc78ELc84EKS2_S3_S2_EEvlllT_PT11_llS6_llS4_PT12_llPT13_lli.uses_vcc, 1
	.set _ZN12_GLOBAL__N_135rocblas_gemm_batched_general_kernelI19rocblas_complex_numIfELi16ELi16ELi32ELi32ELi8ELi32ELi8ELi8ELi32ELc78ELc84EKS2_S3_S2_EEvlllT_PT11_llS6_llS4_PT12_llPT13_lli.uses_flat_scratch, 0
	.set _ZN12_GLOBAL__N_135rocblas_gemm_batched_general_kernelI19rocblas_complex_numIfELi16ELi16ELi32ELi32ELi8ELi32ELi8ELi8ELi32ELc78ELc84EKS2_S3_S2_EEvlllT_PT11_llS6_llS4_PT12_llPT13_lli.has_dyn_sized_stack, 0
	.set _ZN12_GLOBAL__N_135rocblas_gemm_batched_general_kernelI19rocblas_complex_numIfELi16ELi16ELi32ELi32ELi8ELi32ELi8ELi8ELi32ELc78ELc84EKS2_S3_S2_EEvlllT_PT11_llS6_llS4_PT12_llPT13_lli.has_recursion, 0
	.set _ZN12_GLOBAL__N_135rocblas_gemm_batched_general_kernelI19rocblas_complex_numIfELi16ELi16ELi32ELi32ELi8ELi32ELi8ELi8ELi32ELc78ELc84EKS2_S3_S2_EEvlllT_PT11_llS6_llS4_PT12_llPT13_lli.has_indirect_call, 0
	.section	.AMDGPU.csdata,"",@progbits
; Kernel info:
; codeLenInByte = 2972
; TotalNumSgprs: 40
; NumVgprs: 59
; ScratchSize: 0
; MemoryBound: 1
; FloatMode: 240
; IeeeMode: 1
; LDSByteSize: 4096 bytes/workgroup (compile time only)
; SGPRBlocks: 0
; VGPRBlocks: 7
; NumSGPRsForWavesPerEU: 40
; NumVGPRsForWavesPerEU: 59
; Occupancy: 16
; WaveLimiterHint : 1
; COMPUTE_PGM_RSRC2:SCRATCH_EN: 0
; COMPUTE_PGM_RSRC2:USER_SGPR: 6
; COMPUTE_PGM_RSRC2:TRAP_HANDLER: 0
; COMPUTE_PGM_RSRC2:TGID_X_EN: 1
; COMPUTE_PGM_RSRC2:TGID_Y_EN: 1
; COMPUTE_PGM_RSRC2:TGID_Z_EN: 1
; COMPUTE_PGM_RSRC2:TIDIG_COMP_CNT: 1
	.section	.text._ZN12_GLOBAL__N_135rocblas_gemm_batched_general_kernelI19rocblas_complex_numIfELi16ELi16ELi32ELi32ELi8ELi32ELi8ELi8ELi32ELc84ELc84EKS2_S3_S2_EEvlllT_PT11_llS6_llS4_PT12_llPT13_lli,"axG",@progbits,_ZN12_GLOBAL__N_135rocblas_gemm_batched_general_kernelI19rocblas_complex_numIfELi16ELi16ELi32ELi32ELi8ELi32ELi8ELi8ELi32ELc84ELc84EKS2_S3_S2_EEvlllT_PT11_llS6_llS4_PT12_llPT13_lli,comdat
	.globl	_ZN12_GLOBAL__N_135rocblas_gemm_batched_general_kernelI19rocblas_complex_numIfELi16ELi16ELi32ELi32ELi8ELi32ELi8ELi8ELi32ELc84ELc84EKS2_S3_S2_EEvlllT_PT11_llS6_llS4_PT12_llPT13_lli ; -- Begin function _ZN12_GLOBAL__N_135rocblas_gemm_batched_general_kernelI19rocblas_complex_numIfELi16ELi16ELi32ELi32ELi8ELi32ELi8ELi8ELi32ELc84ELc84EKS2_S3_S2_EEvlllT_PT11_llS6_llS4_PT12_llPT13_lli
	.p2align	8
	.type	_ZN12_GLOBAL__N_135rocblas_gemm_batched_general_kernelI19rocblas_complex_numIfELi16ELi16ELi32ELi32ELi8ELi32ELi8ELi8ELi32ELc84ELc84EKS2_S3_S2_EEvlllT_PT11_llS6_llS4_PT12_llPT13_lli,@function
_ZN12_GLOBAL__N_135rocblas_gemm_batched_general_kernelI19rocblas_complex_numIfELi16ELi16ELi32ELi32ELi8ELi32ELi8ELi8ELi32ELc84ELc84EKS2_S3_S2_EEvlllT_PT11_llS6_llS4_PT12_llPT13_lli: ; @_ZN12_GLOBAL__N_135rocblas_gemm_batched_general_kernelI19rocblas_complex_numIfELi16ELi16ELi32ELi32ELi8ELi32ELi8ELi8ELi32ELc84ELc84EKS2_S3_S2_EEvlllT_PT11_llS6_llS4_PT12_llPT13_lli
; %bb.0:
	s_clause 0x1
	s_load_dwordx16 s[12:27], s[4:5], 0x0
	s_load_dwordx2 s[10:11], s[4:5], 0x50
	s_mov_b32 s0, s7
	v_mov_b32_e32 v20, 0
	v_mov_b32_e32 v21, 0
	;; [unrolled: 1-line block ×8, first 2 shown]
	s_ashr_i32 s7, s6, 31
	s_ashr_i32 s1, s0, 31
	s_lshl_b64 s[6:7], s[6:7], 5
	s_waitcnt lgkmcnt(0)
	v_cmp_lt_i64_e64 s2, s[16:17], 1
	s_and_b32 vcc_lo, exec_lo, s2
	s_lshl_b64 s[2:3], s[0:1], 5
	s_cbranch_vccnz .LBB522_11
; %bb.1:
	s_load_dwordx4 s[28:31], s[4:5], 0x40
	v_lshl_add_u32 v3, v1, 4, v0
	v_and_b32_e32 v8, 7, v0
	v_mov_b32_e32 v4, s7
	s_lshl_b64 s[34:35], s[0:1], 8
	s_mul_i32 s1, s25, s8
	v_lshrrev_b32_e32 v7, 3, v3
	v_and_b32_e32 v14, 31, v3
	v_lshlrev_b32_e32 v15, 3, v8
	v_lshrrev_b32_e32 v13, 5, v3
	v_and_b32_e32 v18, 0x1ff8, v3
	v_add_co_u32 v11, s0, v7, s2
	v_or_b32_e32 v3, s6, v14
	v_lshl_or_b32 v7, v7, 6, v15
	v_add_co_ci_u32_e64 v12, null, 0, s3, s0
	v_lshlrev_b32_e32 v16, 3, v14
	v_cmp_gt_i64_e32 vcc_lo, s[12:13], v[3:4]
	v_add_co_u32 v14, s0, s6, v14
	s_waitcnt lgkmcnt(0)
	v_mad_u64_u32 v[5:6], null, s28, v8, 0
	v_add_co_ci_u32_e64 v15, null, s7, 0, s0
	v_cmp_gt_i64_e64 s0, s[14:15], v[11:12]
	v_mul_lo_u32 v19, s23, v14
	v_mad_u64_u32 v[11:12], null, s22, v14, 0
	v_mad_u64_u32 v[3:4], null, s29, v8, v[6:7]
	v_mul_lo_u32 v15, s22, v15
	s_mul_i32 s23, s31, s8
	s_mul_hi_u32 s25, s30, s8
	s_mul_i32 s22, s30, s8
	s_add_i32 s23, s25, s23
	s_mul_hi_u32 s9, s24, s8
	v_mov_b32_e32 v6, v3
	s_lshl_b64 s[22:23], s[22:23], 3
	v_add3_u32 v12, v12, v15, v19
	s_add_u32 s22, s34, s22
	s_addc_u32 s23, s35, s23
	v_lshlrev_b64 v[3:4], 3, v[5:6]
	s_add_i32 s25, s9, s1
	s_mul_i32 s24, s24, s8
	v_add_nc_u32_e32 v17, 0x800, v7
	v_mov_b32_e32 v2, 0
	v_lshlrev_b32_e32 v9, 3, v0
	v_add_co_u32 v5, s1, s22, v3
	v_add_co_ci_u32_e64 v6, null, s23, v4, s1
	v_lshlrev_b64 v[3:4], 3, v[11:12]
	v_add_co_u32 v5, s1, v5, v18
	s_lshl_b64 s[22:23], s[24:25], 3
	v_add_co_ci_u32_e64 v6, null, 0, v6, s1
	v_add_co_u32 v3, s1, v3, s22
	v_lshlrev_b32_e32 v11, 3, v13
	v_add_co_ci_u32_e64 v7, null, s23, v4, s1
	v_add_co_u32 v4, s1, s26, v5
	v_add_co_ci_u32_e64 v5, null, s27, v6, s1
	v_add_co_u32 v3, s1, v3, v11
	v_add_co_ci_u32_e64 v7, null, 0, v7, s1
	v_lshl_add_u32 v10, v1, 6, 0x800
	v_add_co_u32 v6, s1, s20, v3
	v_lshl_or_b32 v16, v13, 8, v16
	v_add_co_ci_u32_e64 v7, null, s21, v7, s1
	v_mov_b32_e32 v12, 0
	v_mov_b32_e32 v11, 0
	;; [unrolled: 1-line block ×8, first 2 shown]
	s_lshl_b64 s[22:23], s[28:29], 6
	s_mov_b64 s[20:21], 0
	s_xor_b32 s1, vcc_lo, -1
	s_xor_b32 s0, s0, -1
	s_branch .LBB522_3
.LBB522_2:                              ;   in Loop: Header=BB522_3 Depth=1
	s_or_b32 exec_lo, exec_lo, s9
	s_waitcnt lgkmcnt(0)
	s_barrier
	buffer_gl0_inv
	ds_read_b128 v[22:25], v10
	ds_read2_b64 v[26:29], v9 offset1:16
	ds_read_b128 v[30:33], v10 offset:1024
	ds_read_b128 v[34:37], v10 offset:16
	;; [unrolled: 1-line block ×4, first 2 shown]
	ds_read2_b64 v[46:49], v9 offset0:32 offset1:48
	ds_read_b128 v[50:53], v10 offset:1040
	s_add_u32 s20, s20, 8
	s_addc_u32 s21, s21, 0
	v_add_co_u32 v4, vcc_lo, v4, s22
	v_cmp_lt_i64_e64 s9, s[20:21], s[16:17]
	v_add_co_ci_u32_e64 v5, null, s23, v5, vcc_lo
	v_add_co_u32 v6, vcc_lo, v6, 64
	v_add_co_ci_u32_e64 v7, null, 0, v7, vcc_lo
	s_and_b32 vcc_lo, exec_lo, s9
	s_waitcnt lgkmcnt(6)
	v_mul_f32_e32 v3, v23, v27
	v_mul_f32_e32 v54, v22, v27
	;; [unrolled: 1-line block ×4, first 2 shown]
	s_waitcnt lgkmcnt(5)
	v_mul_f32_e32 v57, v31, v27
	v_mul_f32_e32 v27, v30, v27
	;; [unrolled: 1-line block ×3, first 2 shown]
	v_fma_f32 v3, v22, v26, -v3
	v_fmac_f32_e32 v54, v23, v26
	v_fma_f32 v22, v22, v28, -v55
	v_fmac_f32_e32 v56, v23, v28
	v_fma_f32 v23, v30, v26, -v57
	v_mul_f32_e32 v29, v30, v29
	v_fmac_f32_e32 v27, v31, v26
	v_fma_f32 v26, v30, v28, -v58
	v_add_f32_e32 v3, v20, v3
	v_add_f32_e32 v30, v21, v54
	v_add_f32_e32 v22, v18, v22
	v_add_f32_e32 v54, v19, v56
	v_add_f32_e32 v14, v14, v23
	s_waitcnt lgkmcnt(1)
	v_mul_f32_e32 v23, v25, v47
	ds_read2_b64 v[18:21], v9 offset0:64 offset1:80
	v_add_f32_e32 v15, v15, v27
	v_mul_f32_e32 v27, v25, v49
	v_fmac_f32_e32 v29, v31, v28
	v_fma_f32 v23, v24, v46, -v23
	v_add_f32_e32 v11, v11, v26
	v_mul_f32_e32 v26, v24, v47
	v_mul_f32_e32 v28, v24, v49
	v_add_f32_e32 v12, v12, v29
	v_add_f32_e32 v3, v3, v23
	v_fma_f32 v23, v24, v48, -v27
	v_mul_f32_e32 v24, v33, v47
	v_fmac_f32_e32 v26, v25, v46
	v_fmac_f32_e32 v28, v25, v48
	v_mul_f32_e32 v25, v32, v47
	v_add_f32_e32 v27, v22, v23
	v_fma_f32 v22, v32, v46, -v24
	v_mul_f32_e32 v23, v33, v49
	v_add_f32_e32 v26, v30, v26
	v_fmac_f32_e32 v25, v33, v46
	v_mul_f32_e32 v29, v32, v49
	v_add_f32_e32 v14, v14, v22
	v_fma_f32 v22, v32, v48, -v23
	s_waitcnt lgkmcnt(0)
	v_mul_f32_e32 v23, v35, v19
	v_mul_f32_e32 v30, v34, v19
	;; [unrolled: 1-line block ×3, first 2 shown]
	v_add_f32_e32 v15, v15, v25
	v_add_f32_e32 v11, v11, v22
	v_fma_f32 v31, v34, v18, -v23
	ds_read2_b64 v[22:25], v9 offset0:96 offset1:112
	v_fmac_f32_e32 v30, v35, v18
	v_fmac_f32_e32 v29, v33, v48
	v_add_f32_e32 v28, v54, v28
	v_add_f32_e32 v3, v3, v31
	v_fma_f32 v31, v34, v20, -v32
	v_add_f32_e32 v26, v26, v30
	v_mul_f32_e32 v30, v51, v19
	v_mul_f32_e32 v19, v50, v19
	v_add_f32_e32 v12, v12, v29
	v_add_f32_e32 v27, v27, v31
	v_mul_f32_e32 v31, v51, v21
	v_mul_f32_e32 v29, v34, v21
	v_fma_f32 v30, v50, v18, -v30
	v_fmac_f32_e32 v19, v51, v18
	v_mul_f32_e32 v32, v50, v21
	v_fma_f32 v18, v50, v20, -v31
	v_fmac_f32_e32 v29, v35, v20
	v_add_f32_e32 v14, v14, v30
	v_add_f32_e32 v15, v15, v19
	v_fmac_f32_e32 v32, v51, v20
	v_add_f32_e32 v11, v11, v18
	ds_read2_b64 v[18:21], v9 offset0:128 offset1:144
	v_add_f32_e32 v33, v28, v29
	s_waitcnt lgkmcnt(1)
	v_mul_f32_e32 v28, v37, v23
	v_mul_f32_e32 v29, v36, v23
	;; [unrolled: 1-line block ×4, first 2 shown]
	v_add_f32_e32 v12, v12, v32
	v_fma_f32 v28, v36, v22, -v28
	v_fmac_f32_e32 v29, v37, v22
	v_fma_f32 v30, v36, v24, -v30
	v_fmac_f32_e32 v31, v37, v24
	v_mul_f32_e32 v32, v53, v25
	v_add_f32_e32 v3, v3, v28
	v_mul_f32_e32 v28, v53, v23
	v_mul_f32_e32 v23, v52, v23
	v_add_f32_e32 v34, v26, v29
	v_add_f32_e32 v35, v27, v30
	;; [unrolled: 1-line block ×3, first 2 shown]
	v_fma_f32 v30, v52, v22, -v28
	ds_read_b128 v[26:29], v10 offset:1056
	v_fmac_f32_e32 v23, v53, v22
	v_mul_f32_e32 v31, v52, v25
	v_fma_f32 v22, v52, v24, -v32
	s_waitcnt lgkmcnt(1)
	v_mul_f32_e32 v25, v39, v19
	v_add_f32_e32 v14, v14, v30
	v_add_f32_e32 v15, v15, v23
	v_fmac_f32_e32 v31, v53, v24
	v_add_f32_e32 v11, v11, v22
	v_fma_f32 v30, v38, v18, -v25
	ds_read2_b64 v[22:25], v9 offset0:160 offset1:176
	v_mul_f32_e32 v32, v39, v21
	v_mul_f32_e32 v37, v38, v19
	;; [unrolled: 1-line block ×3, first 2 shown]
	v_add_f32_e32 v12, v12, v31
	v_add_f32_e32 v3, v3, v30
	v_fma_f32 v38, v38, v20, -v32
	v_fmac_f32_e32 v37, v39, v18
	ds_read_b128 v[30:33], v10 offset:1072
	v_fmac_f32_e32 v46, v39, v20
	s_waitcnt lgkmcnt(2)
	v_mul_f32_e32 v47, v27, v19
	v_mul_f32_e32 v19, v26, v19
	v_add_f32_e32 v35, v35, v38
	v_mul_f32_e32 v38, v27, v21
	v_add_f32_e32 v34, v34, v37
	v_fma_f32 v37, v26, v18, -v47
	v_fmac_f32_e32 v19, v27, v18
	v_mul_f32_e32 v39, v26, v21
	v_fma_f32 v18, v26, v20, -v38
	v_add_f32_e32 v36, v36, v46
	s_waitcnt lgkmcnt(1)
	v_mul_f32_e32 v21, v41, v23
	v_add_f32_e32 v14, v14, v37
	v_add_f32_e32 v15, v15, v19
	v_fmac_f32_e32 v39, v27, v20
	v_mul_f32_e32 v26, v40, v23
	v_add_f32_e32 v11, v11, v18
	v_fma_f32 v27, v40, v22, -v21
	ds_read2_b64 v[18:21], v9 offset0:192 offset1:208
	v_mul_f32_e32 v37, v41, v25
	v_fmac_f32_e32 v26, v41, v22
	v_add_f32_e32 v12, v12, v39
	v_add_f32_e32 v3, v3, v27
	v_mul_f32_e32 v27, v40, v25
	v_fma_f32 v37, v40, v24, -v37
	v_add_f32_e32 v26, v34, v26
	v_mul_f32_e32 v34, v29, v23
	v_mul_f32_e32 v23, v28, v23
	v_fmac_f32_e32 v27, v41, v24
	v_add_f32_e32 v35, v35, v37
	v_mul_f32_e32 v37, v29, v25
	v_fma_f32 v34, v28, v22, -v34
	v_fmac_f32_e32 v23, v29, v22
	v_add_f32_e32 v27, v36, v27
	v_mul_f32_e32 v36, v28, v25
	v_fma_f32 v22, v28, v24, -v37
	v_add_f32_e32 v14, v14, v34
	v_add_f32_e32 v15, v15, v23
	s_waitcnt lgkmcnt(0)
	v_mul_f32_e32 v28, v43, v19
	v_fmac_f32_e32 v36, v29, v24
	v_add_f32_e32 v11, v11, v22
	ds_read2_b64 v[22:25], v9 offset0:224 offset1:240
	v_mul_f32_e32 v29, v42, v19
	v_fma_f32 v28, v42, v18, -v28
	v_mul_f32_e32 v34, v43, v21
	v_add_f32_e32 v12, v12, v36
	v_mul_f32_e32 v36, v42, v21
	v_fmac_f32_e32 v29, v43, v18
	v_add_f32_e32 v3, v3, v28
	v_mul_f32_e32 v28, v31, v19
	v_fma_f32 v34, v42, v20, -v34
	v_mul_f32_e32 v19, v30, v19
	v_add_f32_e32 v26, v26, v29
	v_fmac_f32_e32 v36, v43, v20
	v_fma_f32 v28, v30, v18, -v28
	v_add_f32_e32 v29, v35, v34
	v_mul_f32_e32 v34, v31, v21
	v_fmac_f32_e32 v19, v31, v18
	v_mul_f32_e32 v18, v30, v21
	v_add_f32_e32 v14, v14, v28
	v_add_f32_e32 v27, v27, v36
	v_fma_f32 v21, v30, v20, -v34
	s_waitcnt lgkmcnt(0)
	v_mul_f32_e32 v28, v45, v23
	v_mul_f32_e32 v30, v44, v23
	v_add_f32_e32 v15, v15, v19
	v_fmac_f32_e32 v18, v31, v20
	v_add_f32_e32 v11, v11, v21
	v_fma_f32 v19, v44, v22, -v28
	v_fmac_f32_e32 v30, v45, v22
	v_mul_f32_e32 v28, v45, v25
	v_mul_f32_e32 v31, v44, v25
	v_add_f32_e32 v12, v12, v18
	v_add_f32_e32 v20, v3, v19
	v_add_f32_e32 v21, v26, v30
	v_fma_f32 v3, v44, v24, -v28
	v_mul_f32_e32 v19, v33, v23
	v_mul_f32_e32 v23, v32, v23
	;; [unrolled: 1-line block ×4, first 2 shown]
	v_fmac_f32_e32 v31, v45, v24
	v_add_f32_e32 v18, v29, v3
	v_fma_f32 v3, v32, v22, -v19
	v_fmac_f32_e32 v23, v33, v22
	v_fma_f32 v22, v32, v24, -v26
	v_fmac_f32_e32 v25, v33, v24
	v_add_f32_e32 v19, v27, v31
	v_add_f32_e32 v14, v14, v3
	;; [unrolled: 1-line block ×5, first 2 shown]
	s_barrier
	buffer_gl0_inv
	s_cbranch_vccz .LBB522_11
.LBB522_3:                              ; =>This Inner Loop Header: Depth=1
	v_add_co_u32 v22, s9, v13, s20
	v_add_co_ci_u32_e64 v23, null, 0, s21, s9
	v_cmp_le_i64_e32 vcc_lo, s[16:17], v[22:23]
	s_or_b32 s9, s1, vcc_lo
	s_and_saveexec_b32 s24, s9
	s_xor_b32 s9, exec_lo, s24
; %bb.4:                                ;   in Loop: Header=BB522_3 Depth=1
	v_mov_b32_e32 v3, v2
	ds_write_b64 v16, v[2:3]
; %bb.5:                                ;   in Loop: Header=BB522_3 Depth=1
	s_andn2_saveexec_b32 s9, s9
	s_cbranch_execz .LBB522_7
; %bb.6:                                ;   in Loop: Header=BB522_3 Depth=1
	global_load_dwordx2 v[22:23], v[6:7], off
	s_waitcnt vmcnt(0)
	ds_write_b64 v16, v[22:23]
.LBB522_7:                              ;   in Loop: Header=BB522_3 Depth=1
	s_or_b32 exec_lo, exec_lo, s9
	v_add_co_u32 v22, s9, v8, s20
	v_add_co_ci_u32_e64 v23, null, 0, s21, s9
	v_cmp_le_i64_e32 vcc_lo, s[16:17], v[22:23]
	s_or_b32 s9, vcc_lo, s0
	s_and_saveexec_b32 s24, s9
	s_xor_b32 s9, exec_lo, s24
; %bb.8:                                ;   in Loop: Header=BB522_3 Depth=1
	v_mov_b32_e32 v3, v2
	ds_write_b64 v17, v[2:3]
; %bb.9:                                ;   in Loop: Header=BB522_3 Depth=1
	s_andn2_saveexec_b32 s9, s9
	s_cbranch_execz .LBB522_2
; %bb.10:                               ;   in Loop: Header=BB522_3 Depth=1
	global_load_dwordx2 v[22:23], v[4:5], off
	s_waitcnt vmcnt(0)
	ds_write_b64 v17, v[22:23]
	s_branch .LBB522_2
.LBB522_11:
	s_clause 0x1
	s_load_dwordx4 s[28:31], s[4:5], 0x78
	s_load_dwordx8 s[20:27], s[4:5], 0x58
	v_add_co_u32 v1, s2, s2, v1
	v_add_co_ci_u32_e64 v2, null, s3, 0, s2
	s_waitcnt lgkmcnt(0)
	s_mul_i32 s1, s31, s8
	s_mul_hi_u32 s4, s30, s8
	s_mul_i32 s0, s30, s8
	s_add_i32 s1, s4, s1
	s_lshl_b64 s[0:1], s[0:1], 3
	s_add_u32 s3, s26, s0
	s_addc_u32 s4, s27, s1
	s_or_b32 s1, s10, s11
	v_cmp_gt_i64_e64 s0, s[14:15], v[1:2]
	s_bitset0_b32 s1, 31
	s_cmp_lg_u32 s1, 0
	s_mov_b32 s1, -1
	s_cbranch_scc1 .LBB522_23
; %bb.12:
	s_and_saveexec_b32 s5, s0
	s_cbranch_execz .LBB522_22
; %bb.13:
	v_mul_lo_u32 v5, v2, s28
	v_mul_lo_u32 v6, v1, s29
	v_mad_u64_u32 v[3:4], null, v1, s28, 0
	v_add3_u32 v4, v4, v6, v5
	v_add_co_u32 v5, s1, s6, v0
	v_add_co_ci_u32_e64 v6, null, s7, 0, s1
	v_lshlrev_b64 v[7:8], 3, v[3:4]
	v_cmp_gt_i64_e32 vcc_lo, s[12:13], v[5:6]
	v_lshlrev_b64 v[3:4], 3, v[5:6]
	v_add_co_u32 v7, s1, s3, v7
	v_add_co_ci_u32_e64 v8, null, s4, v8, s1
	s_and_saveexec_b32 s2, vcc_lo
	s_cbranch_execz .LBB522_15
; %bb.14:
	v_mul_f32_e32 v9, s19, v21
	v_mul_f32_e32 v10, s18, v21
	v_add_co_u32 v16, s1, v7, v3
	v_add_co_ci_u32_e64 v17, null, v8, v4, s1
	v_fma_f32 v9, v20, s18, -v9
	v_fmac_f32_e32 v10, s19, v20
	global_store_dwordx2 v[16:17], v[9:10], off
.LBB522_15:
	s_or_b32 exec_lo, exec_lo, s2
	v_add_co_u32 v5, s1, v5, 16
	v_add_co_ci_u32_e64 v6, null, 0, v6, s1
	v_cmp_gt_i64_e64 s1, s[12:13], v[5:6]
	s_and_saveexec_b32 s9, s1
	s_cbranch_execz .LBB522_17
; %bb.16:
	v_mul_f32_e32 v5, s19, v19
	v_mul_f32_e32 v6, s18, v19
	v_add_co_u32 v9, s2, v7, v3
	v_add_co_ci_u32_e64 v10, null, v8, v4, s2
	v_fma_f32 v5, v18, s18, -v5
	v_fmac_f32_e32 v6, s19, v18
	global_store_dwordx2 v[9:10], v[5:6], off offset:128
.LBB522_17:
	s_or_b32 exec_lo, exec_lo, s9
	v_add_co_u32 v5, s2, v1, 16
	v_add_co_ci_u32_e64 v6, null, 0, v2, s2
	v_cmp_gt_i64_e64 s2, s[14:15], v[5:6]
	s_and_b32 exec_lo, exec_lo, s2
	s_cbranch_execz .LBB522_22
; %bb.18:
	s_lshl_b64 s[16:17], s[28:29], 7
	v_add_co_u32 v5, s2, v7, s16
	v_add_co_ci_u32_e64 v6, null, s17, v8, s2
	v_add_co_u32 v3, s2, v5, v3
	v_add_co_ci_u32_e64 v4, null, v6, v4, s2
	s_and_saveexec_b32 s2, vcc_lo
	s_cbranch_execz .LBB522_20
; %bb.19:
	v_mul_f32_e32 v5, s19, v15
	v_mul_f32_e32 v6, s18, v15
	v_fma_f32 v5, v14, s18, -v5
	v_fmac_f32_e32 v6, s19, v14
	global_store_dwordx2 v[3:4], v[5:6], off
.LBB522_20:
	s_or_b32 exec_lo, exec_lo, s2
	s_and_b32 exec_lo, exec_lo, s1
	s_cbranch_execz .LBB522_22
; %bb.21:
	v_mul_f32_e32 v5, s19, v12
	v_mul_f32_e32 v6, s18, v12
	v_fma_f32 v5, v11, s18, -v5
	v_fmac_f32_e32 v6, s19, v11
	global_store_dwordx2 v[3:4], v[5:6], off offset:128
.LBB522_22:
	s_or_b32 exec_lo, exec_lo, s5
	s_mov_b32 s1, 0
.LBB522_23:
	s_andn2_b32 vcc_lo, exec_lo, s1
	s_cbranch_vccnz .LBB522_34
; %bb.24:
	s_and_saveexec_b32 s1, s0
	s_cbranch_execz .LBB522_34
; %bb.25:
	v_mul_lo_u32 v5, v2, s22
	v_mul_lo_u32 v6, v1, s23
	v_mad_u64_u32 v[3:4], null, v1, s22, 0
	v_mul_lo_u32 v9, v2, s28
	v_mul_lo_u32 v10, v1, s29
	v_mad_u64_u32 v[7:8], null, v1, s28, 0
	s_mul_i32 s0, s25, s8
	s_mul_hi_u32 s1, s24, s8
	v_add3_u32 v4, v4, v6, v5
	s_add_i32 s1, s1, s0
	s_mul_i32 s0, s24, s8
	v_add_co_u32 v5, s2, s6, v0
	v_add3_u32 v8, v8, v10, v9
	v_lshlrev_b64 v[3:4], 3, v[3:4]
	s_lshl_b64 s[0:1], s[0:1], 3
	v_add_co_ci_u32_e64 v6, null, s7, 0, s2
	v_lshlrev_b64 v[8:9], 3, v[7:8]
	s_add_u32 s0, s20, s0
	s_addc_u32 s1, s21, s1
	v_add_co_u32 v0, s0, s0, v3
	v_add_co_ci_u32_e64 v7, null, s1, v4, s0
	v_add_co_u32 v8, s0, s3, v8
	v_cmp_gt_i64_e32 vcc_lo, s[12:13], v[5:6]
	v_lshlrev_b64 v[3:4], 3, v[5:6]
	v_add_co_ci_u32_e64 v9, null, s4, v9, s0
	s_and_saveexec_b32 s1, vcc_lo
	s_cbranch_execz .LBB522_27
; %bb.26:
	v_add_co_u32 v16, s0, v0, v3
	v_add_co_ci_u32_e64 v17, null, v7, v4, s0
	v_mul_f32_e32 v10, s19, v21
	v_mul_f32_e32 v13, s18, v21
	global_load_dwordx2 v[16:17], v[16:17], off
	v_fma_f32 v10, v20, s18, -v10
	v_fmac_f32_e32 v13, s19, v20
	s_waitcnt vmcnt(0)
	v_mul_f32_e32 v21, s11, v17
	v_mul_f32_e32 v17, s10, v17
	v_fma_f32 v20, v16, s10, -v21
	v_fmac_f32_e32 v17, s11, v16
	v_add_f32_e32 v16, v10, v20
	v_add_co_u32 v20, s0, v8, v3
	v_add_f32_e32 v17, v13, v17
	v_add_co_ci_u32_e64 v21, null, v9, v4, s0
	global_store_dwordx2 v[20:21], v[16:17], off
.LBB522_27:
	s_or_b32 exec_lo, exec_lo, s1
	v_add_co_u32 v5, s0, v5, 16
	v_add_co_ci_u32_e64 v6, null, 0, v6, s0
	v_cmp_gt_i64_e64 s0, s[12:13], v[5:6]
	s_and_saveexec_b32 s2, s0
	s_cbranch_execz .LBB522_29
; %bb.28:
	v_add_co_u32 v5, s1, v0, v3
	v_add_co_ci_u32_e64 v6, null, v7, v4, s1
	v_mul_f32_e32 v10, s19, v19
	v_mul_f32_e32 v13, s18, v19
	global_load_dwordx2 v[5:6], v[5:6], off offset:128
	v_fma_f32 v10, v18, s18, -v10
	v_fmac_f32_e32 v13, s19, v18
	s_waitcnt vmcnt(0)
	v_mul_f32_e32 v16, s11, v6
	v_mul_f32_e32 v6, s10, v6
	v_fma_f32 v16, v5, s10, -v16
	v_fmac_f32_e32 v6, s11, v5
	v_add_f32_e32 v5, v10, v16
	v_add_co_u32 v16, s1, v8, v3
	v_add_f32_e32 v6, v13, v6
	v_add_co_ci_u32_e64 v17, null, v9, v4, s1
	global_store_dwordx2 v[16:17], v[5:6], off offset:128
.LBB522_29:
	s_or_b32 exec_lo, exec_lo, s2
	v_add_co_u32 v1, s1, v1, 16
	v_add_co_ci_u32_e64 v2, null, 0, v2, s1
	v_cmp_gt_i64_e64 s1, s[14:15], v[1:2]
	s_and_b32 exec_lo, exec_lo, s1
	s_cbranch_execz .LBB522_34
; %bb.30:
	s_lshl_b64 s[2:3], s[22:23], 7
	v_add_co_u32 v0, s1, v0, s2
	v_add_co_ci_u32_e64 v1, null, s3, v7, s1
	s_lshl_b64 s[2:3], s[28:29], 7
	v_add_co_u32 v2, s1, v8, s2
	v_add_co_ci_u32_e64 v7, null, s3, v9, s1
	v_add_co_u32 v5, s1, v0, v3
	v_add_co_ci_u32_e64 v6, null, v1, v4, s1
	;; [unrolled: 2-line block ×3, first 2 shown]
	s_and_saveexec_b32 s1, vcc_lo
	s_cbranch_execz .LBB522_32
; %bb.31:
	global_load_dwordx2 v[2:3], v[5:6], off
	v_mul_f32_e32 v4, s19, v15
	v_mul_f32_e32 v7, s18, v15
	v_fma_f32 v4, v14, s18, -v4
	v_fmac_f32_e32 v7, s19, v14
	s_waitcnt vmcnt(0)
	v_mul_f32_e32 v8, s11, v3
	v_mul_f32_e32 v3, s10, v3
	v_fma_f32 v8, v2, s10, -v8
	v_fmac_f32_e32 v3, s11, v2
	v_add_f32_e32 v2, v4, v8
	v_add_f32_e32 v3, v7, v3
	global_store_dwordx2 v[0:1], v[2:3], off
.LBB522_32:
	s_or_b32 exec_lo, exec_lo, s1
	s_and_b32 exec_lo, exec_lo, s0
	s_cbranch_execz .LBB522_34
; %bb.33:
	global_load_dwordx2 v[2:3], v[5:6], off offset:128
	v_mul_f32_e32 v4, s19, v12
	v_mul_f32_e32 v5, s18, v12
	v_fma_f32 v4, v11, s18, -v4
	v_fmac_f32_e32 v5, s19, v11
	s_waitcnt vmcnt(0)
	v_mul_f32_e32 v6, s11, v3
	v_mul_f32_e32 v3, s10, v3
	v_fma_f32 v6, v2, s10, -v6
	v_fmac_f32_e32 v3, s11, v2
	v_add_f32_e32 v2, v4, v6
	v_add_f32_e32 v3, v5, v3
	global_store_dwordx2 v[0:1], v[2:3], off offset:128
.LBB522_34:
	s_endpgm
	.section	.rodata,"a",@progbits
	.p2align	6, 0x0
	.amdhsa_kernel _ZN12_GLOBAL__N_135rocblas_gemm_batched_general_kernelI19rocblas_complex_numIfELi16ELi16ELi32ELi32ELi8ELi32ELi8ELi8ELi32ELc84ELc84EKS2_S3_S2_EEvlllT_PT11_llS6_llS4_PT12_llPT13_lli
		.amdhsa_group_segment_fixed_size 4096
		.amdhsa_private_segment_fixed_size 0
		.amdhsa_kernarg_size 140
		.amdhsa_user_sgpr_count 6
		.amdhsa_user_sgpr_private_segment_buffer 1
		.amdhsa_user_sgpr_dispatch_ptr 0
		.amdhsa_user_sgpr_queue_ptr 0
		.amdhsa_user_sgpr_kernarg_segment_ptr 1
		.amdhsa_user_sgpr_dispatch_id 0
		.amdhsa_user_sgpr_flat_scratch_init 0
		.amdhsa_user_sgpr_private_segment_size 0
		.amdhsa_wavefront_size32 1
		.amdhsa_uses_dynamic_stack 0
		.amdhsa_system_sgpr_private_segment_wavefront_offset 0
		.amdhsa_system_sgpr_workgroup_id_x 1
		.amdhsa_system_sgpr_workgroup_id_y 1
		.amdhsa_system_sgpr_workgroup_id_z 1
		.amdhsa_system_sgpr_workgroup_info 0
		.amdhsa_system_vgpr_workitem_id 1
		.amdhsa_next_free_vgpr 59
		.amdhsa_next_free_sgpr 36
		.amdhsa_reserve_vcc 1
		.amdhsa_reserve_flat_scratch 0
		.amdhsa_float_round_mode_32 0
		.amdhsa_float_round_mode_16_64 0
		.amdhsa_float_denorm_mode_32 3
		.amdhsa_float_denorm_mode_16_64 3
		.amdhsa_dx10_clamp 1
		.amdhsa_ieee_mode 1
		.amdhsa_fp16_overflow 0
		.amdhsa_workgroup_processor_mode 1
		.amdhsa_memory_ordered 1
		.amdhsa_forward_progress 1
		.amdhsa_shared_vgpr_count 0
		.amdhsa_exception_fp_ieee_invalid_op 0
		.amdhsa_exception_fp_denorm_src 0
		.amdhsa_exception_fp_ieee_div_zero 0
		.amdhsa_exception_fp_ieee_overflow 0
		.amdhsa_exception_fp_ieee_underflow 0
		.amdhsa_exception_fp_ieee_inexact 0
		.amdhsa_exception_int_div_zero 0
	.end_amdhsa_kernel
	.section	.text._ZN12_GLOBAL__N_135rocblas_gemm_batched_general_kernelI19rocblas_complex_numIfELi16ELi16ELi32ELi32ELi8ELi32ELi8ELi8ELi32ELc84ELc84EKS2_S3_S2_EEvlllT_PT11_llS6_llS4_PT12_llPT13_lli,"axG",@progbits,_ZN12_GLOBAL__N_135rocblas_gemm_batched_general_kernelI19rocblas_complex_numIfELi16ELi16ELi32ELi32ELi8ELi32ELi8ELi8ELi32ELc84ELc84EKS2_S3_S2_EEvlllT_PT11_llS6_llS4_PT12_llPT13_lli,comdat
.Lfunc_end522:
	.size	_ZN12_GLOBAL__N_135rocblas_gemm_batched_general_kernelI19rocblas_complex_numIfELi16ELi16ELi32ELi32ELi8ELi32ELi8ELi8ELi32ELc84ELc84EKS2_S3_S2_EEvlllT_PT11_llS6_llS4_PT12_llPT13_lli, .Lfunc_end522-_ZN12_GLOBAL__N_135rocblas_gemm_batched_general_kernelI19rocblas_complex_numIfELi16ELi16ELi32ELi32ELi8ELi32ELi8ELi8ELi32ELc84ELc84EKS2_S3_S2_EEvlllT_PT11_llS6_llS4_PT12_llPT13_lli
                                        ; -- End function
	.set _ZN12_GLOBAL__N_135rocblas_gemm_batched_general_kernelI19rocblas_complex_numIfELi16ELi16ELi32ELi32ELi8ELi32ELi8ELi8ELi32ELc84ELc84EKS2_S3_S2_EEvlllT_PT11_llS6_llS4_PT12_llPT13_lli.num_vgpr, 59
	.set _ZN12_GLOBAL__N_135rocblas_gemm_batched_general_kernelI19rocblas_complex_numIfELi16ELi16ELi32ELi32ELi8ELi32ELi8ELi8ELi32ELc84ELc84EKS2_S3_S2_EEvlllT_PT11_llS6_llS4_PT12_llPT13_lli.num_agpr, 0
	.set _ZN12_GLOBAL__N_135rocblas_gemm_batched_general_kernelI19rocblas_complex_numIfELi16ELi16ELi32ELi32ELi8ELi32ELi8ELi8ELi32ELc84ELc84EKS2_S3_S2_EEvlllT_PT11_llS6_llS4_PT12_llPT13_lli.numbered_sgpr, 36
	.set _ZN12_GLOBAL__N_135rocblas_gemm_batched_general_kernelI19rocblas_complex_numIfELi16ELi16ELi32ELi32ELi8ELi32ELi8ELi8ELi32ELc84ELc84EKS2_S3_S2_EEvlllT_PT11_llS6_llS4_PT12_llPT13_lli.num_named_barrier, 0
	.set _ZN12_GLOBAL__N_135rocblas_gemm_batched_general_kernelI19rocblas_complex_numIfELi16ELi16ELi32ELi32ELi8ELi32ELi8ELi8ELi32ELc84ELc84EKS2_S3_S2_EEvlllT_PT11_llS6_llS4_PT12_llPT13_lli.private_seg_size, 0
	.set _ZN12_GLOBAL__N_135rocblas_gemm_batched_general_kernelI19rocblas_complex_numIfELi16ELi16ELi32ELi32ELi8ELi32ELi8ELi8ELi32ELc84ELc84EKS2_S3_S2_EEvlllT_PT11_llS6_llS4_PT12_llPT13_lli.uses_vcc, 1
	.set _ZN12_GLOBAL__N_135rocblas_gemm_batched_general_kernelI19rocblas_complex_numIfELi16ELi16ELi32ELi32ELi8ELi32ELi8ELi8ELi32ELc84ELc84EKS2_S3_S2_EEvlllT_PT11_llS6_llS4_PT12_llPT13_lli.uses_flat_scratch, 0
	.set _ZN12_GLOBAL__N_135rocblas_gemm_batched_general_kernelI19rocblas_complex_numIfELi16ELi16ELi32ELi32ELi8ELi32ELi8ELi8ELi32ELc84ELc84EKS2_S3_S2_EEvlllT_PT11_llS6_llS4_PT12_llPT13_lli.has_dyn_sized_stack, 0
	.set _ZN12_GLOBAL__N_135rocblas_gemm_batched_general_kernelI19rocblas_complex_numIfELi16ELi16ELi32ELi32ELi8ELi32ELi8ELi8ELi32ELc84ELc84EKS2_S3_S2_EEvlllT_PT11_llS6_llS4_PT12_llPT13_lli.has_recursion, 0
	.set _ZN12_GLOBAL__N_135rocblas_gemm_batched_general_kernelI19rocblas_complex_numIfELi16ELi16ELi32ELi32ELi8ELi32ELi8ELi8ELi32ELc84ELc84EKS2_S3_S2_EEvlllT_PT11_llS6_llS4_PT12_llPT13_lli.has_indirect_call, 0
	.section	.AMDGPU.csdata,"",@progbits
; Kernel info:
; codeLenInByte = 2988
; TotalNumSgprs: 38
; NumVgprs: 59
; ScratchSize: 0
; MemoryBound: 1
; FloatMode: 240
; IeeeMode: 1
; LDSByteSize: 4096 bytes/workgroup (compile time only)
; SGPRBlocks: 0
; VGPRBlocks: 7
; NumSGPRsForWavesPerEU: 38
; NumVGPRsForWavesPerEU: 59
; Occupancy: 16
; WaveLimiterHint : 1
; COMPUTE_PGM_RSRC2:SCRATCH_EN: 0
; COMPUTE_PGM_RSRC2:USER_SGPR: 6
; COMPUTE_PGM_RSRC2:TRAP_HANDLER: 0
; COMPUTE_PGM_RSRC2:TGID_X_EN: 1
; COMPUTE_PGM_RSRC2:TGID_Y_EN: 1
; COMPUTE_PGM_RSRC2:TGID_Z_EN: 1
; COMPUTE_PGM_RSRC2:TIDIG_COMP_CNT: 1
	.section	.text._ZN12_GLOBAL__N_135rocblas_gemm_batched_general_kernelI19rocblas_complex_numIfELi16ELi16ELi32ELi32ELi8ELi32ELi8ELi8ELi32ELc67ELc67EKS2_S3_S2_EEvlllT_PT11_llS6_llS4_PT12_llPT13_lli,"axG",@progbits,_ZN12_GLOBAL__N_135rocblas_gemm_batched_general_kernelI19rocblas_complex_numIfELi16ELi16ELi32ELi32ELi8ELi32ELi8ELi8ELi32ELc67ELc67EKS2_S3_S2_EEvlllT_PT11_llS6_llS4_PT12_llPT13_lli,comdat
	.globl	_ZN12_GLOBAL__N_135rocblas_gemm_batched_general_kernelI19rocblas_complex_numIfELi16ELi16ELi32ELi32ELi8ELi32ELi8ELi8ELi32ELc67ELc67EKS2_S3_S2_EEvlllT_PT11_llS6_llS4_PT12_llPT13_lli ; -- Begin function _ZN12_GLOBAL__N_135rocblas_gemm_batched_general_kernelI19rocblas_complex_numIfELi16ELi16ELi32ELi32ELi8ELi32ELi8ELi8ELi32ELc67ELc67EKS2_S3_S2_EEvlllT_PT11_llS6_llS4_PT12_llPT13_lli
	.p2align	8
	.type	_ZN12_GLOBAL__N_135rocblas_gemm_batched_general_kernelI19rocblas_complex_numIfELi16ELi16ELi32ELi32ELi8ELi32ELi8ELi8ELi32ELc67ELc67EKS2_S3_S2_EEvlllT_PT11_llS6_llS4_PT12_llPT13_lli,@function
_ZN12_GLOBAL__N_135rocblas_gemm_batched_general_kernelI19rocblas_complex_numIfELi16ELi16ELi32ELi32ELi8ELi32ELi8ELi8ELi32ELc67ELc67EKS2_S3_S2_EEvlllT_PT11_llS6_llS4_PT12_llPT13_lli: ; @_ZN12_GLOBAL__N_135rocblas_gemm_batched_general_kernelI19rocblas_complex_numIfELi16ELi16ELi32ELi32ELi8ELi32ELi8ELi8ELi32ELc67ELc67EKS2_S3_S2_EEvlllT_PT11_llS6_llS4_PT12_llPT13_lli
; %bb.0:
	s_clause 0x1
	s_load_dwordx16 s[12:27], s[4:5], 0x0
	s_load_dwordx2 s[10:11], s[4:5], 0x50
	s_mov_b32 s0, s7
	v_mov_b32_e32 v19, 0
	v_mov_b32_e32 v20, 0
	;; [unrolled: 1-line block ×8, first 2 shown]
	s_ashr_i32 s7, s6, 31
	s_ashr_i32 s1, s0, 31
	s_lshl_b64 s[6:7], s[6:7], 5
	s_waitcnt lgkmcnt(0)
	v_cmp_lt_i64_e64 s2, s[16:17], 1
	s_and_b32 vcc_lo, exec_lo, s2
	s_lshl_b64 s[2:3], s[0:1], 5
	s_cbranch_vccnz .LBB523_11
; %bb.1:
	s_load_dwordx4 s[28:31], s[4:5], 0x40
	v_lshl_add_u32 v2, v1, 4, v0
	v_and_b32_e32 v7, 7, v0
	v_mov_b32_e32 v6, 0
	v_mov_b32_e32 v3, s7
	s_lshl_b64 s[34:35], s[0:1], 8
	v_and_b32_e32 v14, 31, v2
	v_lshrrev_b32_e32 v13, 3, v2
	v_lshrrev_b32_e32 v12, 5, v2
	v_and_b32_e32 v17, 0x1ff8, v2
	v_lshlrev_b32_e32 v15, 3, v7
	v_or_b32_e32 v2, s6, v14
	v_add_co_u32 v10, s0, v13, s2
	v_add_co_ci_u32_e64 v11, null, 0, s3, s0
	v_cmp_gt_i64_e32 vcc_lo, s[12:13], v[2:3]
	v_lshl_or_b32 v13, v13, 6, v15
	v_add_co_u32 v15, s0, s6, v14
	s_waitcnt lgkmcnt(0)
	v_mad_u64_u32 v[4:5], null, s28, v7, 0
	v_add_co_ci_u32_e64 v18, null, s7, 0, s0
	v_cmp_gt_i64_e64 s0, s[14:15], v[10:11]
	v_mul_lo_u32 v19, s23, v15
	v_mad_u64_u32 v[10:11], null, s22, v15, 0
	v_mad_u64_u32 v[2:3], null, s29, v7, v[5:6]
	v_mul_lo_u32 v18, s22, v18
	s_mul_i32 s1, s25, s8
	s_mul_i32 s23, s31, s8
	s_mul_hi_u32 s25, s30, s8
	s_mul_i32 s22, s30, s8
	s_add_i32 s23, s25, s23
	v_mov_b32_e32 v5, v2
	s_lshl_b64 s[22:23], s[22:23], 3
	v_add3_u32 v11, v11, v18, v19
	s_mul_hi_u32 s9, s24, s8
	s_add_u32 s22, s34, s22
	v_lshlrev_b64 v[2:3], 3, v[4:5]
	s_addc_u32 s23, s35, s23
	s_add_i32 s25, s9, s1
	s_mul_i32 s24, s24, s8
	v_lshlrev_b32_e32 v16, 3, v14
	v_lshlrev_b32_e32 v8, 3, v0
	v_add_co_u32 v4, s1, s22, v2
	v_add_co_ci_u32_e64 v5, null, s23, v3, s1
	v_lshlrev_b64 v[2:3], 3, v[10:11]
	v_add_co_u32 v4, s1, v4, v17
	s_lshl_b64 s[22:23], s[24:25], 3
	v_add_co_ci_u32_e64 v5, null, 0, v5, s1
	v_add_co_u32 v2, s1, v2, s22
	v_lshlrev_b32_e32 v10, 3, v12
	v_add_co_ci_u32_e64 v3, null, s23, v3, s1
	v_add_co_u32 v4, s1, s26, v4
	v_add_co_ci_u32_e64 v5, null, s27, v5, s1
	v_add_co_u32 v10, s1, v2, v10
	;; [unrolled: 2-line block ×4, first 2 shown]
	v_add_co_ci_u32_e64 v5, null, s21, v11, s1
	v_lshl_add_u32 v9, v1, 6, 0x800
	v_add_co_u32 v4, s1, v4, 4
	v_lshl_or_b32 v14, v12, 8, v16
	v_add_nc_u32_e32 v16, 0x800, v13
	v_add_co_ci_u32_e64 v5, null, 0, v5, s1
	v_mov_b32_e32 v11, 0
	v_mov_b32_e32 v10, 0
	;; [unrolled: 1-line block ×8, first 2 shown]
	s_lshl_b64 s[20:21], s[28:29], 6
	s_mov_b64 s[22:23], 0
	s_xor_b32 s1, vcc_lo, -1
	s_xor_b32 s0, s0, -1
	s_branch .LBB523_3
.LBB523_2:                              ;   in Loop: Header=BB523_3 Depth=1
	s_or_b32 exec_lo, exec_lo, s9
	ds_write_b32 v16, v21 offset:4
	s_waitcnt lgkmcnt(0)
	s_barrier
	buffer_gl0_inv
	ds_read_b128 v[21:24], v9
	ds_read2_b64 v[25:28], v8 offset1:16
	ds_read_b128 v[29:32], v9 offset:1024
	ds_read_b128 v[33:36], v9 offset:16
	;; [unrolled: 1-line block ×4, first 2 shown]
	ds_read2_b64 v[45:48], v8 offset0:32 offset1:48
	ds_read_b128 v[49:52], v9 offset:1040
	s_add_u32 s22, s22, 8
	s_addc_u32 s23, s23, 0
	v_add_co_u32 v2, vcc_lo, v2, s20
	v_cmp_lt_i64_e64 s9, s[22:23], s[16:17]
	v_add_co_ci_u32_e64 v3, null, s21, v3, vcc_lo
	v_add_co_u32 v4, vcc_lo, v4, 64
	v_add_co_ci_u32_e64 v5, null, 0, v5, vcc_lo
	s_and_b32 vcc_lo, exec_lo, s9
	s_waitcnt lgkmcnt(6)
	v_mul_f32_e32 v53, v22, v26
	v_mul_f32_e32 v54, v21, v26
	;; [unrolled: 1-line block ×4, first 2 shown]
	s_waitcnt lgkmcnt(5)
	v_mul_f32_e32 v57, v30, v26
	v_mul_f32_e32 v26, v29, v26
	;; [unrolled: 1-line block ×3, first 2 shown]
	v_fma_f32 v53, v21, v25, -v53
	v_fmac_f32_e32 v54, v22, v25
	v_fma_f32 v21, v21, v27, -v55
	v_fmac_f32_e32 v56, v22, v27
	v_fma_f32 v22, v29, v25, -v57
	v_mul_f32_e32 v28, v29, v28
	v_fmac_f32_e32 v26, v30, v25
	v_fma_f32 v25, v29, v27, -v58
	v_add_f32_e32 v29, v19, v53
	v_add_f32_e32 v53, v20, v54
	;; [unrolled: 1-line block ×5, first 2 shown]
	s_waitcnt lgkmcnt(1)
	v_mul_f32_e32 v22, v24, v46
	ds_read2_b64 v[17:20], v8 offset0:64 offset1:80
	v_add_f32_e32 v15, v15, v26
	v_fmac_f32_e32 v28, v30, v27
	v_mul_f32_e32 v26, v24, v48
	v_fma_f32 v22, v23, v45, -v22
	v_add_f32_e32 v10, v10, v25
	v_mul_f32_e32 v25, v23, v46
	v_add_f32_e32 v11, v11, v28
	v_mul_f32_e32 v27, v23, v48
	v_add_f32_e32 v28, v29, v22
	v_fma_f32 v22, v23, v47, -v26
	v_mul_f32_e32 v23, v32, v46
	v_fmac_f32_e32 v25, v24, v45
	v_fmac_f32_e32 v27, v24, v47
	v_mul_f32_e32 v24, v31, v46
	v_add_f32_e32 v26, v21, v22
	v_fma_f32 v21, v31, v45, -v23
	v_mul_f32_e32 v22, v32, v48
	v_mul_f32_e32 v29, v31, v48
	v_fmac_f32_e32 v24, v32, v45
	s_waitcnt lgkmcnt(0)
	v_mul_f32_e32 v30, v33, v18
	v_add_f32_e32 v13, v13, v21
	v_fma_f32 v21, v31, v47, -v22
	v_mul_f32_e32 v22, v34, v18
	v_fmac_f32_e32 v29, v32, v47
	v_mul_f32_e32 v32, v34, v20
	v_add_f32_e32 v25, v53, v25
	v_add_f32_e32 v15, v15, v24
	v_fma_f32 v31, v33, v17, -v22
	v_add_f32_e32 v10, v10, v21
	ds_read2_b64 v[21:24], v8 offset0:96 offset1:112
	v_fmac_f32_e32 v30, v34, v17
	v_add_f32_e32 v11, v11, v29
	v_add_f32_e32 v28, v28, v31
	v_fma_f32 v31, v33, v19, -v32
	v_mul_f32_e32 v29, v33, v20
	v_add_f32_e32 v25, v25, v30
	v_mul_f32_e32 v30, v50, v18
	v_mul_f32_e32 v18, v49, v18
	v_add_f32_e32 v26, v26, v31
	v_mul_f32_e32 v31, v50, v20
	v_mul_f32_e32 v32, v49, v20
	v_fma_f32 v30, v49, v17, -v30
	v_fmac_f32_e32 v18, v50, v17
	v_add_f32_e32 v27, v54, v27
	v_fma_f32 v17, v49, v19, -v31
	v_fmac_f32_e32 v29, v34, v19
	v_fmac_f32_e32 v32, v50, v19
	v_add_f32_e32 v15, v15, v18
	v_add_f32_e32 v13, v13, v30
	;; [unrolled: 1-line block ×3, first 2 shown]
	ds_read2_b64 v[17:20], v8 offset0:128 offset1:144
	v_add_f32_e32 v29, v27, v29
	s_waitcnt lgkmcnt(1)
	v_mul_f32_e32 v27, v36, v22
	v_mul_f32_e32 v31, v36, v24
	;; [unrolled: 1-line block ×3, first 2 shown]
	v_add_f32_e32 v11, v11, v32
	v_mul_f32_e32 v32, v35, v24
	v_fma_f32 v27, v35, v21, -v27
	v_fma_f32 v31, v35, v23, -v31
	v_fmac_f32_e32 v30, v36, v21
	v_fmac_f32_e32 v32, v36, v23
	v_add_f32_e32 v33, v28, v27
	v_mul_f32_e32 v27, v52, v22
	v_add_f32_e32 v35, v26, v31
	v_mul_f32_e32 v22, v51, v22
	v_mul_f32_e32 v31, v52, v24
	v_add_f32_e32 v34, v25, v30
	v_fma_f32 v30, v51, v21, -v27
	ds_read_b128 v[25:28], v9 offset:1056
	v_add_f32_e32 v36, v29, v32
	v_fmac_f32_e32 v22, v52, v21
	v_mul_f32_e32 v29, v51, v24
	v_fma_f32 v21, v51, v23, -v31
	s_waitcnt lgkmcnt(1)
	v_mul_f32_e32 v24, v38, v18
	v_add_f32_e32 v13, v13, v30
	v_add_f32_e32 v15, v15, v22
	v_fmac_f32_e32 v29, v52, v23
	v_add_f32_e32 v10, v10, v21
	v_fma_f32 v30, v37, v17, -v24
	ds_read2_b64 v[21:24], v8 offset0:160 offset1:176
	v_mul_f32_e32 v45, v37, v18
	v_mul_f32_e32 v31, v38, v20
	;; [unrolled: 1-line block ×3, first 2 shown]
	v_add_f32_e32 v11, v11, v29
	v_add_f32_e32 v33, v33, v30
	v_fmac_f32_e32 v45, v38, v17
	v_fma_f32 v37, v37, v19, -v31
	ds_read_b128 v[29:32], v9 offset:1072
	s_waitcnt lgkmcnt(2)
	v_mul_f32_e32 v47, v26, v18
	v_fmac_f32_e32 v46, v38, v19
	v_mul_f32_e32 v18, v25, v18
	v_mul_f32_e32 v38, v26, v20
	v_add_f32_e32 v34, v34, v45
	v_add_f32_e32 v35, v35, v37
	v_fma_f32 v37, v25, v17, -v47
	v_fmac_f32_e32 v18, v26, v17
	v_mul_f32_e32 v45, v25, v20
	v_fma_f32 v17, v25, v19, -v38
	v_add_f32_e32 v36, v36, v46
	s_waitcnt lgkmcnt(1)
	v_mul_f32_e32 v20, v40, v22
	v_add_f32_e32 v13, v13, v37
	v_add_f32_e32 v15, v15, v18
	v_fmac_f32_e32 v45, v26, v19
	v_mul_f32_e32 v25, v39, v22
	v_add_f32_e32 v10, v10, v17
	v_fma_f32 v26, v39, v21, -v20
	ds_read2_b64 v[17:20], v8 offset0:192 offset1:208
	v_mul_f32_e32 v37, v40, v24
	v_fmac_f32_e32 v25, v40, v21
	v_add_f32_e32 v11, v11, v45
	v_add_f32_e32 v26, v33, v26
	v_mul_f32_e32 v33, v39, v24
	v_fma_f32 v37, v39, v23, -v37
	v_add_f32_e32 v25, v34, v25
	v_mul_f32_e32 v34, v28, v22
	v_mul_f32_e32 v22, v27, v22
	v_fmac_f32_e32 v33, v40, v23
	v_add_f32_e32 v35, v35, v37
	v_mul_f32_e32 v37, v28, v24
	v_fma_f32 v34, v27, v21, -v34
	v_fmac_f32_e32 v22, v28, v21
	v_add_f32_e32 v33, v36, v33
	v_mul_f32_e32 v36, v27, v24
	v_fma_f32 v21, v27, v23, -v37
	v_add_f32_e32 v13, v13, v34
	v_add_f32_e32 v15, v15, v22
	s_waitcnt lgkmcnt(0)
	v_mul_f32_e32 v27, v42, v18
	v_fmac_f32_e32 v36, v28, v23
	v_add_f32_e32 v10, v10, v21
	ds_read2_b64 v[21:24], v8 offset0:224 offset1:240
	v_mul_f32_e32 v28, v41, v18
	v_fma_f32 v27, v41, v17, -v27
	v_mul_f32_e32 v34, v42, v20
	v_add_f32_e32 v11, v11, v36
	v_mul_f32_e32 v36, v41, v20
	v_fmac_f32_e32 v28, v42, v17
	v_add_f32_e32 v26, v26, v27
	v_mul_f32_e32 v27, v30, v18
	v_fma_f32 v34, v41, v19, -v34
	v_mul_f32_e32 v18, v29, v18
	v_add_f32_e32 v25, v25, v28
	v_fmac_f32_e32 v36, v42, v19
	v_fma_f32 v27, v29, v17, -v27
	v_add_f32_e32 v28, v35, v34
	v_mul_f32_e32 v34, v30, v20
	v_fmac_f32_e32 v18, v30, v17
	v_mul_f32_e32 v17, v29, v20
	v_add_f32_e32 v13, v13, v27
	v_add_f32_e32 v33, v33, v36
	v_fma_f32 v20, v29, v19, -v34
	s_waitcnt lgkmcnt(0)
	v_mul_f32_e32 v27, v44, v22
	v_mul_f32_e32 v29, v43, v22
	v_add_f32_e32 v15, v15, v18
	v_fmac_f32_e32 v17, v30, v19
	v_add_f32_e32 v10, v10, v20
	v_fma_f32 v18, v43, v21, -v27
	v_fmac_f32_e32 v29, v44, v21
	v_mul_f32_e32 v27, v44, v24
	v_mul_f32_e32 v30, v43, v24
	v_add_f32_e32 v11, v11, v17
	v_add_f32_e32 v19, v26, v18
	v_add_f32_e32 v20, v25, v29
	v_mul_f32_e32 v18, v32, v22
	v_mul_f32_e32 v22, v31, v22
	v_mul_f32_e32 v25, v32, v24
	v_mul_f32_e32 v24, v31, v24
	v_fma_f32 v17, v43, v23, -v27
	v_fmac_f32_e32 v30, v44, v23
	v_fma_f32 v26, v31, v21, -v18
	v_fmac_f32_e32 v22, v32, v21
	;; [unrolled: 2-line block ×3, first 2 shown]
	v_add_f32_e32 v17, v28, v17
	v_add_f32_e32 v18, v33, v30
	;; [unrolled: 1-line block ×6, first 2 shown]
	s_barrier
	buffer_gl0_inv
	s_cbranch_vccz .LBB523_11
.LBB523_3:                              ; =>This Inner Loop Header: Depth=1
	v_add_co_u32 v21, s9, v12, s22
	v_add_co_ci_u32_e64 v22, null, 0, s23, s9
	v_cmp_le_i64_e32 vcc_lo, s[16:17], v[21:22]
	s_or_b32 s9, s1, vcc_lo
	s_and_saveexec_b32 s24, s9
	s_xor_b32 s9, exec_lo, s24
; %bb.4:                                ;   in Loop: Header=BB523_3 Depth=1
	ds_write_b32 v14, v6
; %bb.5:                                ;   in Loop: Header=BB523_3 Depth=1
	s_or_saveexec_b32 s9, s9
	v_mov_b32_e32 v21, 0
	s_xor_b32 exec_lo, exec_lo, s9
	s_cbranch_execz .LBB523_7
; %bb.6:                                ;   in Loop: Header=BB523_3 Depth=1
	global_load_dwordx2 v[22:23], v[4:5], off offset:-4
	s_waitcnt vmcnt(0)
	v_xor_b32_e32 v21, 0x80000000, v23
	ds_write_b32 v14, v22
.LBB523_7:                              ;   in Loop: Header=BB523_3 Depth=1
	s_or_b32 exec_lo, exec_lo, s9
	v_add_co_u32 v22, s9, v7, s22
	v_add_co_ci_u32_e64 v23, null, 0, s23, s9
	ds_write_b32 v14, v21 offset:4
	v_cmp_le_i64_e32 vcc_lo, s[16:17], v[22:23]
	s_or_b32 s9, vcc_lo, s0
	s_and_saveexec_b32 s24, s9
	s_xor_b32 s9, exec_lo, s24
; %bb.8:                                ;   in Loop: Header=BB523_3 Depth=1
	ds_write_b32 v16, v6
; %bb.9:                                ;   in Loop: Header=BB523_3 Depth=1
	s_or_saveexec_b32 s9, s9
	v_mov_b32_e32 v21, 0
	s_xor_b32 exec_lo, exec_lo, s9
	s_cbranch_execz .LBB523_2
; %bb.10:                               ;   in Loop: Header=BB523_3 Depth=1
	global_load_dwordx2 v[22:23], v[2:3], off offset:-4
	s_waitcnt vmcnt(0)
	v_xor_b32_e32 v21, 0x80000000, v23
	ds_write_b32 v16, v22
	s_branch .LBB523_2
.LBB523_11:
	s_clause 0x1
	s_load_dwordx4 s[28:31], s[4:5], 0x78
	s_load_dwordx8 s[20:27], s[4:5], 0x58
	v_add_co_u32 v1, s2, s2, v1
	v_add_co_ci_u32_e64 v2, null, s3, 0, s2
	s_waitcnt lgkmcnt(0)
	s_mul_i32 s1, s31, s8
	s_mul_hi_u32 s4, s30, s8
	s_mul_i32 s0, s30, s8
	s_add_i32 s1, s4, s1
	s_lshl_b64 s[0:1], s[0:1], 3
	s_add_u32 s3, s26, s0
	s_addc_u32 s4, s27, s1
	s_or_b32 s1, s10, s11
	v_cmp_gt_i64_e64 s0, s[14:15], v[1:2]
	s_bitset0_b32 s1, 31
	s_cmp_lg_u32 s1, 0
	s_mov_b32 s1, -1
	s_cbranch_scc1 .LBB523_23
; %bb.12:
	s_and_saveexec_b32 s5, s0
	s_cbranch_execz .LBB523_22
; %bb.13:
	v_mul_lo_u32 v5, v2, s28
	v_mul_lo_u32 v6, v1, s29
	v_mad_u64_u32 v[3:4], null, v1, s28, 0
	v_add3_u32 v4, v4, v6, v5
	v_add_co_u32 v5, s1, s6, v0
	v_add_co_ci_u32_e64 v6, null, s7, 0, s1
	v_lshlrev_b64 v[7:8], 3, v[3:4]
	v_cmp_gt_i64_e32 vcc_lo, s[12:13], v[5:6]
	v_lshlrev_b64 v[3:4], 3, v[5:6]
	v_add_co_u32 v7, s1, s3, v7
	v_add_co_ci_u32_e64 v8, null, s4, v8, s1
	s_and_saveexec_b32 s2, vcc_lo
	s_cbranch_execz .LBB523_15
; %bb.14:
	v_mul_f32_e32 v9, s19, v20
	v_mul_f32_e32 v22, s18, v20
	v_add_co_u32 v23, s1, v7, v3
	v_add_co_ci_u32_e64 v24, null, v8, v4, s1
	v_fma_f32 v21, v19, s18, -v9
	v_fmac_f32_e32 v22, s19, v19
	global_store_dwordx2 v[23:24], v[21:22], off
.LBB523_15:
	s_or_b32 exec_lo, exec_lo, s2
	v_add_co_u32 v5, s1, v5, 16
	v_add_co_ci_u32_e64 v6, null, 0, v6, s1
	v_cmp_gt_i64_e64 s1, s[12:13], v[5:6]
	s_and_saveexec_b32 s9, s1
	s_cbranch_execz .LBB523_17
; %bb.16:
	v_mul_f32_e32 v5, s19, v18
	v_mul_f32_e32 v6, s18, v18
	v_add_co_u32 v21, s2, v7, v3
	v_add_co_ci_u32_e64 v22, null, v8, v4, s2
	v_fma_f32 v5, v17, s18, -v5
	v_fmac_f32_e32 v6, s19, v17
	global_store_dwordx2 v[21:22], v[5:6], off offset:128
.LBB523_17:
	s_or_b32 exec_lo, exec_lo, s9
	v_add_co_u32 v5, s2, v1, 16
	v_add_co_ci_u32_e64 v6, null, 0, v2, s2
	v_cmp_gt_i64_e64 s2, s[14:15], v[5:6]
	s_and_b32 exec_lo, exec_lo, s2
	s_cbranch_execz .LBB523_22
; %bb.18:
	s_lshl_b64 s[16:17], s[28:29], 7
	v_add_co_u32 v5, s2, v7, s16
	v_add_co_ci_u32_e64 v6, null, s17, v8, s2
	v_add_co_u32 v3, s2, v5, v3
	v_add_co_ci_u32_e64 v4, null, v6, v4, s2
	s_and_saveexec_b32 s2, vcc_lo
	s_cbranch_execz .LBB523_20
; %bb.19:
	v_mul_f32_e32 v5, s19, v15
	v_mul_f32_e32 v6, s18, v15
	v_fma_f32 v5, v13, s18, -v5
	v_fmac_f32_e32 v6, s19, v13
	global_store_dwordx2 v[3:4], v[5:6], off
.LBB523_20:
	s_or_b32 exec_lo, exec_lo, s2
	s_and_b32 exec_lo, exec_lo, s1
	s_cbranch_execz .LBB523_22
; %bb.21:
	v_mul_f32_e32 v5, s19, v11
	v_mul_f32_e32 v6, s18, v11
	v_fma_f32 v5, v10, s18, -v5
	v_fmac_f32_e32 v6, s19, v10
	global_store_dwordx2 v[3:4], v[5:6], off offset:128
.LBB523_22:
	s_or_b32 exec_lo, exec_lo, s5
	s_mov_b32 s1, 0
.LBB523_23:
	s_andn2_b32 vcc_lo, exec_lo, s1
	s_cbranch_vccnz .LBB523_34
; %bb.24:
	s_and_saveexec_b32 s1, s0
	s_cbranch_execz .LBB523_34
; %bb.25:
	v_mul_lo_u32 v5, v2, s22
	v_mul_lo_u32 v6, v1, s23
	v_mad_u64_u32 v[3:4], null, v1, s22, 0
	v_mul_lo_u32 v9, v2, s28
	v_mul_lo_u32 v12, v1, s29
	v_mad_u64_u32 v[7:8], null, v1, s28, 0
	s_mul_i32 s0, s25, s8
	s_mul_hi_u32 s1, s24, s8
	v_add3_u32 v4, v4, v6, v5
	s_add_i32 s1, s1, s0
	s_mul_i32 s0, s24, s8
	v_add_co_u32 v5, s2, s6, v0
	v_add3_u32 v8, v8, v12, v9
	v_lshlrev_b64 v[3:4], 3, v[3:4]
	s_lshl_b64 s[0:1], s[0:1], 3
	v_add_co_ci_u32_e64 v6, null, s7, 0, s2
	v_lshlrev_b64 v[8:9], 3, v[7:8]
	s_add_u32 s0, s20, s0
	s_addc_u32 s1, s21, s1
	v_add_co_u32 v0, s0, s0, v3
	v_add_co_ci_u32_e64 v7, null, s1, v4, s0
	v_add_co_u32 v8, s0, s3, v8
	v_cmp_gt_i64_e32 vcc_lo, s[12:13], v[5:6]
	v_lshlrev_b64 v[3:4], 3, v[5:6]
	v_add_co_ci_u32_e64 v9, null, s4, v9, s0
	s_and_saveexec_b32 s1, vcc_lo
	s_cbranch_execz .LBB523_27
; %bb.26:
	v_add_co_u32 v21, s0, v0, v3
	v_add_co_ci_u32_e64 v22, null, v7, v4, s0
	v_mul_f32_e32 v12, s19, v20
	v_mul_f32_e32 v14, s18, v20
	global_load_dwordx2 v[21:22], v[21:22], off
	v_fma_f32 v12, v19, s18, -v12
	v_fmac_f32_e32 v14, s19, v19
	s_waitcnt vmcnt(0)
	v_mul_f32_e32 v16, s11, v22
	v_mul_f32_e32 v20, s10, v22
	v_fma_f32 v16, v21, s10, -v16
	v_fmac_f32_e32 v20, s11, v21
	v_add_co_u32 v21, s0, v8, v3
	v_add_co_ci_u32_e64 v22, null, v9, v4, s0
	v_add_f32_e32 v19, v12, v16
	v_add_f32_e32 v20, v14, v20
	global_store_dwordx2 v[21:22], v[19:20], off
.LBB523_27:
	s_or_b32 exec_lo, exec_lo, s1
	v_add_co_u32 v5, s0, v5, 16
	v_add_co_ci_u32_e64 v6, null, 0, v6, s0
	v_cmp_gt_i64_e64 s0, s[12:13], v[5:6]
	s_and_saveexec_b32 s2, s0
	s_cbranch_execz .LBB523_29
; %bb.28:
	v_add_co_u32 v5, s1, v0, v3
	v_add_co_ci_u32_e64 v6, null, v7, v4, s1
	v_mul_f32_e32 v12, s19, v18
	v_mul_f32_e32 v14, s18, v18
	global_load_dwordx2 v[5:6], v[5:6], off offset:128
	v_fma_f32 v12, v17, s18, -v12
	v_fmac_f32_e32 v14, s19, v17
	s_waitcnt vmcnt(0)
	v_mul_f32_e32 v16, s11, v6
	v_mul_f32_e32 v6, s10, v6
	v_fma_f32 v16, v5, s10, -v16
	v_fmac_f32_e32 v6, s11, v5
	v_add_f32_e32 v5, v12, v16
	v_add_co_u32 v16, s1, v8, v3
	v_add_f32_e32 v6, v14, v6
	v_add_co_ci_u32_e64 v17, null, v9, v4, s1
	global_store_dwordx2 v[16:17], v[5:6], off offset:128
.LBB523_29:
	s_or_b32 exec_lo, exec_lo, s2
	v_add_co_u32 v1, s1, v1, 16
	v_add_co_ci_u32_e64 v2, null, 0, v2, s1
	v_cmp_gt_i64_e64 s1, s[14:15], v[1:2]
	s_and_b32 exec_lo, exec_lo, s1
	s_cbranch_execz .LBB523_34
; %bb.30:
	s_lshl_b64 s[2:3], s[22:23], 7
	v_add_co_u32 v0, s1, v0, s2
	v_add_co_ci_u32_e64 v1, null, s3, v7, s1
	s_lshl_b64 s[2:3], s[28:29], 7
	v_add_co_u32 v2, s1, v8, s2
	v_add_co_ci_u32_e64 v7, null, s3, v9, s1
	v_add_co_u32 v5, s1, v0, v3
	v_add_co_ci_u32_e64 v6, null, v1, v4, s1
	v_add_co_u32 v0, s1, v2, v3
	v_add_co_ci_u32_e64 v1, null, v7, v4, s1
	s_and_saveexec_b32 s1, vcc_lo
	s_cbranch_execz .LBB523_32
; %bb.31:
	global_load_dwordx2 v[2:3], v[5:6], off
	v_mul_f32_e32 v4, s19, v15
	v_mul_f32_e32 v7, s18, v15
	v_fma_f32 v4, v13, s18, -v4
	v_fmac_f32_e32 v7, s19, v13
	s_waitcnt vmcnt(0)
	v_mul_f32_e32 v8, s11, v3
	v_mul_f32_e32 v3, s10, v3
	v_fma_f32 v8, v2, s10, -v8
	v_fmac_f32_e32 v3, s11, v2
	v_add_f32_e32 v2, v4, v8
	v_add_f32_e32 v3, v7, v3
	global_store_dwordx2 v[0:1], v[2:3], off
.LBB523_32:
	s_or_b32 exec_lo, exec_lo, s1
	s_and_b32 exec_lo, exec_lo, s0
	s_cbranch_execz .LBB523_34
; %bb.33:
	global_load_dwordx2 v[2:3], v[5:6], off offset:128
	v_mul_f32_e32 v4, s19, v11
	v_mul_f32_e32 v5, s18, v11
	v_fma_f32 v4, v10, s18, -v4
	v_fmac_f32_e32 v5, s19, v10
	s_waitcnt vmcnt(0)
	v_mul_f32_e32 v6, s11, v3
	v_mul_f32_e32 v3, s10, v3
	v_fma_f32 v6, v2, s10, -v6
	v_fmac_f32_e32 v3, s11, v2
	v_add_f32_e32 v2, v4, v6
	v_add_f32_e32 v3, v5, v3
	global_store_dwordx2 v[0:1], v[2:3], off offset:128
.LBB523_34:
	s_endpgm
	.section	.rodata,"a",@progbits
	.p2align	6, 0x0
	.amdhsa_kernel _ZN12_GLOBAL__N_135rocblas_gemm_batched_general_kernelI19rocblas_complex_numIfELi16ELi16ELi32ELi32ELi8ELi32ELi8ELi8ELi32ELc67ELc67EKS2_S3_S2_EEvlllT_PT11_llS6_llS4_PT12_llPT13_lli
		.amdhsa_group_segment_fixed_size 4096
		.amdhsa_private_segment_fixed_size 0
		.amdhsa_kernarg_size 140
		.amdhsa_user_sgpr_count 6
		.amdhsa_user_sgpr_private_segment_buffer 1
		.amdhsa_user_sgpr_dispatch_ptr 0
		.amdhsa_user_sgpr_queue_ptr 0
		.amdhsa_user_sgpr_kernarg_segment_ptr 1
		.amdhsa_user_sgpr_dispatch_id 0
		.amdhsa_user_sgpr_flat_scratch_init 0
		.amdhsa_user_sgpr_private_segment_size 0
		.amdhsa_wavefront_size32 1
		.amdhsa_uses_dynamic_stack 0
		.amdhsa_system_sgpr_private_segment_wavefront_offset 0
		.amdhsa_system_sgpr_workgroup_id_x 1
		.amdhsa_system_sgpr_workgroup_id_y 1
		.amdhsa_system_sgpr_workgroup_id_z 1
		.amdhsa_system_sgpr_workgroup_info 0
		.amdhsa_system_vgpr_workitem_id 1
		.amdhsa_next_free_vgpr 59
		.amdhsa_next_free_sgpr 36
		.amdhsa_reserve_vcc 1
		.amdhsa_reserve_flat_scratch 0
		.amdhsa_float_round_mode_32 0
		.amdhsa_float_round_mode_16_64 0
		.amdhsa_float_denorm_mode_32 3
		.amdhsa_float_denorm_mode_16_64 3
		.amdhsa_dx10_clamp 1
		.amdhsa_ieee_mode 1
		.amdhsa_fp16_overflow 0
		.amdhsa_workgroup_processor_mode 1
		.amdhsa_memory_ordered 1
		.amdhsa_forward_progress 1
		.amdhsa_shared_vgpr_count 0
		.amdhsa_exception_fp_ieee_invalid_op 0
		.amdhsa_exception_fp_denorm_src 0
		.amdhsa_exception_fp_ieee_div_zero 0
		.amdhsa_exception_fp_ieee_overflow 0
		.amdhsa_exception_fp_ieee_underflow 0
		.amdhsa_exception_fp_ieee_inexact 0
		.amdhsa_exception_int_div_zero 0
	.end_amdhsa_kernel
	.section	.text._ZN12_GLOBAL__N_135rocblas_gemm_batched_general_kernelI19rocblas_complex_numIfELi16ELi16ELi32ELi32ELi8ELi32ELi8ELi8ELi32ELc67ELc67EKS2_S3_S2_EEvlllT_PT11_llS6_llS4_PT12_llPT13_lli,"axG",@progbits,_ZN12_GLOBAL__N_135rocblas_gemm_batched_general_kernelI19rocblas_complex_numIfELi16ELi16ELi32ELi32ELi8ELi32ELi8ELi8ELi32ELc67ELc67EKS2_S3_S2_EEvlllT_PT11_llS6_llS4_PT12_llPT13_lli,comdat
.Lfunc_end523:
	.size	_ZN12_GLOBAL__N_135rocblas_gemm_batched_general_kernelI19rocblas_complex_numIfELi16ELi16ELi32ELi32ELi8ELi32ELi8ELi8ELi32ELc67ELc67EKS2_S3_S2_EEvlllT_PT11_llS6_llS4_PT12_llPT13_lli, .Lfunc_end523-_ZN12_GLOBAL__N_135rocblas_gemm_batched_general_kernelI19rocblas_complex_numIfELi16ELi16ELi32ELi32ELi8ELi32ELi8ELi8ELi32ELc67ELc67EKS2_S3_S2_EEvlllT_PT11_llS6_llS4_PT12_llPT13_lli
                                        ; -- End function
	.set _ZN12_GLOBAL__N_135rocblas_gemm_batched_general_kernelI19rocblas_complex_numIfELi16ELi16ELi32ELi32ELi8ELi32ELi8ELi8ELi32ELc67ELc67EKS2_S3_S2_EEvlllT_PT11_llS6_llS4_PT12_llPT13_lli.num_vgpr, 59
	.set _ZN12_GLOBAL__N_135rocblas_gemm_batched_general_kernelI19rocblas_complex_numIfELi16ELi16ELi32ELi32ELi8ELi32ELi8ELi8ELi32ELc67ELc67EKS2_S3_S2_EEvlllT_PT11_llS6_llS4_PT12_llPT13_lli.num_agpr, 0
	.set _ZN12_GLOBAL__N_135rocblas_gemm_batched_general_kernelI19rocblas_complex_numIfELi16ELi16ELi32ELi32ELi8ELi32ELi8ELi8ELi32ELc67ELc67EKS2_S3_S2_EEvlllT_PT11_llS6_llS4_PT12_llPT13_lli.numbered_sgpr, 36
	.set _ZN12_GLOBAL__N_135rocblas_gemm_batched_general_kernelI19rocblas_complex_numIfELi16ELi16ELi32ELi32ELi8ELi32ELi8ELi8ELi32ELc67ELc67EKS2_S3_S2_EEvlllT_PT11_llS6_llS4_PT12_llPT13_lli.num_named_barrier, 0
	.set _ZN12_GLOBAL__N_135rocblas_gemm_batched_general_kernelI19rocblas_complex_numIfELi16ELi16ELi32ELi32ELi8ELi32ELi8ELi8ELi32ELc67ELc67EKS2_S3_S2_EEvlllT_PT11_llS6_llS4_PT12_llPT13_lli.private_seg_size, 0
	.set _ZN12_GLOBAL__N_135rocblas_gemm_batched_general_kernelI19rocblas_complex_numIfELi16ELi16ELi32ELi32ELi8ELi32ELi8ELi8ELi32ELc67ELc67EKS2_S3_S2_EEvlllT_PT11_llS6_llS4_PT12_llPT13_lli.uses_vcc, 1
	.set _ZN12_GLOBAL__N_135rocblas_gemm_batched_general_kernelI19rocblas_complex_numIfELi16ELi16ELi32ELi32ELi8ELi32ELi8ELi8ELi32ELc67ELc67EKS2_S3_S2_EEvlllT_PT11_llS6_llS4_PT12_llPT13_lli.uses_flat_scratch, 0
	.set _ZN12_GLOBAL__N_135rocblas_gemm_batched_general_kernelI19rocblas_complex_numIfELi16ELi16ELi32ELi32ELi8ELi32ELi8ELi8ELi32ELc67ELc67EKS2_S3_S2_EEvlllT_PT11_llS6_llS4_PT12_llPT13_lli.has_dyn_sized_stack, 0
	.set _ZN12_GLOBAL__N_135rocblas_gemm_batched_general_kernelI19rocblas_complex_numIfELi16ELi16ELi32ELi32ELi8ELi32ELi8ELi8ELi32ELc67ELc67EKS2_S3_S2_EEvlllT_PT11_llS6_llS4_PT12_llPT13_lli.has_recursion, 0
	.set _ZN12_GLOBAL__N_135rocblas_gemm_batched_general_kernelI19rocblas_complex_numIfELi16ELi16ELi32ELi32ELi8ELi32ELi8ELi8ELi32ELc67ELc67EKS2_S3_S2_EEvlllT_PT11_llS6_llS4_PT12_llPT13_lli.has_indirect_call, 0
	.section	.AMDGPU.csdata,"",@progbits
; Kernel info:
; codeLenInByte = 3060
; TotalNumSgprs: 38
; NumVgprs: 59
; ScratchSize: 0
; MemoryBound: 0
; FloatMode: 240
; IeeeMode: 1
; LDSByteSize: 4096 bytes/workgroup (compile time only)
; SGPRBlocks: 0
; VGPRBlocks: 7
; NumSGPRsForWavesPerEU: 38
; NumVGPRsForWavesPerEU: 59
; Occupancy: 16
; WaveLimiterHint : 1
; COMPUTE_PGM_RSRC2:SCRATCH_EN: 0
; COMPUTE_PGM_RSRC2:USER_SGPR: 6
; COMPUTE_PGM_RSRC2:TRAP_HANDLER: 0
; COMPUTE_PGM_RSRC2:TGID_X_EN: 1
; COMPUTE_PGM_RSRC2:TGID_Y_EN: 1
; COMPUTE_PGM_RSRC2:TGID_Z_EN: 1
; COMPUTE_PGM_RSRC2:TIDIG_COMP_CNT: 1
	.section	.text._ZN12_GLOBAL__N_135rocblas_gemm_batched_general_kernelI19rocblas_complex_numIfELi16ELi16ELi32ELi32ELi8ELi32ELi8ELi8ELi32ELc67ELc78EKS2_S3_S2_EEvlllT_PT11_llS6_llS4_PT12_llPT13_lli,"axG",@progbits,_ZN12_GLOBAL__N_135rocblas_gemm_batched_general_kernelI19rocblas_complex_numIfELi16ELi16ELi32ELi32ELi8ELi32ELi8ELi8ELi32ELc67ELc78EKS2_S3_S2_EEvlllT_PT11_llS6_llS4_PT12_llPT13_lli,comdat
	.globl	_ZN12_GLOBAL__N_135rocblas_gemm_batched_general_kernelI19rocblas_complex_numIfELi16ELi16ELi32ELi32ELi8ELi32ELi8ELi8ELi32ELc67ELc78EKS2_S3_S2_EEvlllT_PT11_llS6_llS4_PT12_llPT13_lli ; -- Begin function _ZN12_GLOBAL__N_135rocblas_gemm_batched_general_kernelI19rocblas_complex_numIfELi16ELi16ELi32ELi32ELi8ELi32ELi8ELi8ELi32ELc67ELc78EKS2_S3_S2_EEvlllT_PT11_llS6_llS4_PT12_llPT13_lli
	.p2align	8
	.type	_ZN12_GLOBAL__N_135rocblas_gemm_batched_general_kernelI19rocblas_complex_numIfELi16ELi16ELi32ELi32ELi8ELi32ELi8ELi8ELi32ELc67ELc78EKS2_S3_S2_EEvlllT_PT11_llS6_llS4_PT12_llPT13_lli,@function
_ZN12_GLOBAL__N_135rocblas_gemm_batched_general_kernelI19rocblas_complex_numIfELi16ELi16ELi32ELi32ELi8ELi32ELi8ELi8ELi32ELc67ELc78EKS2_S3_S2_EEvlllT_PT11_llS6_llS4_PT12_llPT13_lli: ; @_ZN12_GLOBAL__N_135rocblas_gemm_batched_general_kernelI19rocblas_complex_numIfELi16ELi16ELi32ELi32ELi8ELi32ELi8ELi8ELi32ELc67ELc78EKS2_S3_S2_EEvlllT_PT11_llS6_llS4_PT12_llPT13_lli
; %bb.0:
	s_clause 0x1
	s_load_dwordx16 s[12:27], s[4:5], 0x0
	s_load_dwordx2 s[10:11], s[4:5], 0x50
	s_mov_b32 s0, s7
	v_mov_b32_e32 v20, 0
	v_mov_b32_e32 v21, 0
	;; [unrolled: 1-line block ×8, first 2 shown]
	s_ashr_i32 s7, s6, 31
	s_ashr_i32 s1, s0, 31
	s_lshl_b64 s[6:7], s[6:7], 5
	s_lshl_b64 s[34:35], s[0:1], 5
	s_waitcnt lgkmcnt(0)
	v_cmp_lt_i64_e64 s2, s[16:17], 1
	s_and_b32 vcc_lo, exec_lo, s2
	s_cbranch_vccnz .LBB524_11
; %bb.1:
	s_load_dwordx4 s[0:3], s[4:5], 0x40
	v_lshl_add_u32 v3, v1, 4, v0
	v_mov_b32_e32 v4, s7
	v_and_b32_e32 v8, 7, v0
	v_mov_b32_e32 v2, 0
	v_mov_b32_e32 v21, 0
	v_lshrrev_b32_e32 v7, 3, v3
	v_and_b32_e32 v12, 31, v3
	v_lshrrev_b32_e32 v9, 5, v3
	v_lshlrev_b32_e32 v14, 3, v8
	v_mov_b32_e32 v20, 0
	v_add_co_u32 v5, s9, v7, s34
	v_add_co_ci_u32_e64 v6, null, 0, s35, s9
	v_or_b32_e32 v3, s6, v12
	v_lshlrev_b32_e32 v13, 3, v12
	s_mul_hi_u32 s9, s24, s8
	v_lshl_or_b32 v7, v7, 6, v14
	v_cmp_gt_i64_e32 vcc_lo, s[12:13], v[3:4]
	s_waitcnt lgkmcnt(0)
	v_mul_lo_u32 v16, s0, v6
	v_mad_u64_u32 v[10:11], null, s0, v5, 0
	v_add_co_u32 v12, s0, s6, v12
	v_add_co_ci_u32_e64 v17, null, s7, 0, s0
	v_mul_lo_u32 v15, s1, v5
	v_mul_lo_u32 v18, s23, v12
	v_mad_u64_u32 v[3:4], null, s22, v12, 0
	v_mul_lo_u32 v19, s22, v17
	s_mul_i32 s1, s3, s8
	s_mul_hi_u32 s3, s2, s8
	s_mul_i32 s22, s24, s8
	v_add3_u32 v11, v11, v16, v15
	s_add_i32 s3, s3, s1
	s_mul_i32 s1, s25, s8
	v_cmp_gt_i64_e64 s0, s[14:15], v[5:6]
	v_add3_u32 v4, v4, v19, v18
	s_add_i32 s23, s9, s1
	v_lshlrev_b64 v[5:6], 3, v[10:11]
	s_lshl_b64 s[22:23], s[22:23], 3
	s_mul_i32 s2, s2, s8
	v_lshlrev_b64 v[3:4], 3, v[3:4]
	v_add_nc_u32_e32 v15, 0x800, v7
	v_lshlrev_b32_e32 v7, 3, v9
	s_lshl_b64 s[2:3], s[2:3], 3
	v_lshl_or_b32 v13, v9, 8, v13
	v_lshlrev_b32_e32 v16, 3, v0
	v_add_co_u32 v3, s1, v3, s22
	v_add_co_ci_u32_e64 v4, null, s23, v4, s1
	v_add_co_u32 v5, s1, v5, s2
	v_add_co_ci_u32_e64 v6, null, s3, v6, s1
	v_add_co_u32 v3, s1, v3, v7
	v_add_co_ci_u32_e64 v4, null, 0, v4, s1
	v_add_co_u32 v5, s1, v5, v14
	v_add_co_ci_u32_e64 v6, null, 0, v6, s1
	v_add_co_u32 v3, s1, s20, v3
	v_add_co_ci_u32_e64 v7, null, s21, v4, s1
	v_add_co_u32 v4, s1, s26, v5
	v_add_co_ci_u32_e64 v5, null, s27, v6, s1
	v_add_co_u32 v6, s1, v3, 4
	v_lshl_add_u32 v17, v1, 6, 0x800
	v_add_co_ci_u32_e64 v7, null, 0, v7, s1
	v_mov_b32_e32 v11, 0
	v_mov_b32_e32 v10, 0
	v_mov_b32_e32 v14, 0
	v_mov_b32_e32 v12, 0
	v_mov_b32_e32 v19, 0
	v_mov_b32_e32 v18, 0
	s_mov_b64 s[2:3], 0
	s_xor_b32 s1, vcc_lo, -1
	s_xor_b32 s0, s0, -1
	s_branch .LBB524_3
.LBB524_2:                              ;   in Loop: Header=BB524_3 Depth=1
	s_or_b32 exec_lo, exec_lo, s9
	s_waitcnt lgkmcnt(0)
	s_barrier
	buffer_gl0_inv
	ds_read_b128 v[22:25], v17
	ds_read2_b64 v[26:29], v16 offset1:16
	ds_read_b128 v[30:33], v17 offset:1024
	ds_read_b128 v[34:37], v17 offset:16
	;; [unrolled: 1-line block ×4, first 2 shown]
	ds_read2_b64 v[46:49], v16 offset0:32 offset1:48
	ds_read_b128 v[50:53], v17 offset:1040
	s_add_u32 s2, s2, 8
	s_addc_u32 s3, s3, 0
	v_add_co_u32 v4, vcc_lo, v4, 64
	v_cmp_lt_i64_e64 s9, s[2:3], s[16:17]
	v_add_co_ci_u32_e64 v5, null, 0, v5, vcc_lo
	v_add_co_u32 v6, vcc_lo, v6, 64
	v_add_co_ci_u32_e64 v7, null, 0, v7, vcc_lo
	s_and_b32 vcc_lo, exec_lo, s9
	s_waitcnt lgkmcnt(6)
	v_mul_f32_e32 v3, v23, v27
	v_mul_f32_e32 v54, v22, v27
	;; [unrolled: 1-line block ×4, first 2 shown]
	s_waitcnt lgkmcnt(5)
	v_mul_f32_e32 v57, v31, v27
	v_mul_f32_e32 v27, v30, v27
	v_mul_f32_e32 v58, v31, v29
	v_fma_f32 v3, v22, v26, -v3
	v_fmac_f32_e32 v54, v23, v26
	v_fma_f32 v22, v22, v28, -v55
	v_fmac_f32_e32 v56, v23, v28
	v_fma_f32 v23, v30, v26, -v57
	v_mul_f32_e32 v29, v30, v29
	v_fmac_f32_e32 v27, v31, v26
	v_fma_f32 v26, v30, v28, -v58
	v_add_f32_e32 v3, v20, v3
	v_add_f32_e32 v30, v21, v54
	;; [unrolled: 1-line block ×5, first 2 shown]
	s_waitcnt lgkmcnt(1)
	v_mul_f32_e32 v23, v25, v47
	ds_read2_b64 v[18:21], v16 offset0:64 offset1:80
	v_add_f32_e32 v14, v14, v27
	v_mul_f32_e32 v27, v25, v49
	v_fmac_f32_e32 v29, v31, v28
	v_fma_f32 v23, v24, v46, -v23
	v_add_f32_e32 v10, v10, v26
	v_mul_f32_e32 v26, v24, v47
	v_mul_f32_e32 v28, v24, v49
	v_add_f32_e32 v11, v11, v29
	v_add_f32_e32 v3, v3, v23
	v_fma_f32 v23, v24, v48, -v27
	v_mul_f32_e32 v24, v33, v47
	v_fmac_f32_e32 v26, v25, v46
	v_fmac_f32_e32 v28, v25, v48
	v_mul_f32_e32 v25, v32, v47
	v_add_f32_e32 v27, v22, v23
	v_fma_f32 v22, v32, v46, -v24
	v_mul_f32_e32 v23, v33, v49
	v_add_f32_e32 v26, v30, v26
	v_fmac_f32_e32 v25, v33, v46
	v_mul_f32_e32 v29, v32, v49
	v_add_f32_e32 v12, v12, v22
	v_fma_f32 v22, v32, v48, -v23
	s_waitcnt lgkmcnt(0)
	v_mul_f32_e32 v23, v35, v19
	v_mul_f32_e32 v30, v34, v19
	;; [unrolled: 1-line block ×3, first 2 shown]
	v_add_f32_e32 v14, v14, v25
	v_add_f32_e32 v10, v10, v22
	v_fma_f32 v31, v34, v18, -v23
	ds_read2_b64 v[22:25], v16 offset0:96 offset1:112
	v_fmac_f32_e32 v30, v35, v18
	v_fmac_f32_e32 v29, v33, v48
	v_add_f32_e32 v28, v54, v28
	v_add_f32_e32 v3, v3, v31
	v_fma_f32 v31, v34, v20, -v32
	v_add_f32_e32 v26, v26, v30
	v_mul_f32_e32 v30, v51, v19
	v_mul_f32_e32 v19, v50, v19
	v_add_f32_e32 v11, v11, v29
	v_add_f32_e32 v27, v27, v31
	v_mul_f32_e32 v31, v51, v21
	v_mul_f32_e32 v29, v34, v21
	v_fma_f32 v30, v50, v18, -v30
	v_fmac_f32_e32 v19, v51, v18
	v_mul_f32_e32 v32, v50, v21
	v_fma_f32 v18, v50, v20, -v31
	v_fmac_f32_e32 v29, v35, v20
	v_add_f32_e32 v12, v12, v30
	v_add_f32_e32 v14, v14, v19
	v_fmac_f32_e32 v32, v51, v20
	v_add_f32_e32 v10, v10, v18
	ds_read2_b64 v[18:21], v16 offset0:128 offset1:144
	v_add_f32_e32 v33, v28, v29
	s_waitcnt lgkmcnt(1)
	v_mul_f32_e32 v28, v37, v23
	v_mul_f32_e32 v29, v36, v23
	v_mul_f32_e32 v30, v37, v25
	v_mul_f32_e32 v31, v36, v25
	v_add_f32_e32 v11, v11, v32
	v_fma_f32 v28, v36, v22, -v28
	v_fmac_f32_e32 v29, v37, v22
	v_fma_f32 v30, v36, v24, -v30
	v_fmac_f32_e32 v31, v37, v24
	v_mul_f32_e32 v32, v53, v25
	v_add_f32_e32 v3, v3, v28
	v_mul_f32_e32 v28, v53, v23
	v_mul_f32_e32 v23, v52, v23
	v_add_f32_e32 v34, v26, v29
	v_add_f32_e32 v35, v27, v30
	v_add_f32_e32 v36, v33, v31
	v_fma_f32 v30, v52, v22, -v28
	ds_read_b128 v[26:29], v17 offset:1056
	v_fmac_f32_e32 v23, v53, v22
	v_mul_f32_e32 v31, v52, v25
	v_fma_f32 v22, v52, v24, -v32
	s_waitcnt lgkmcnt(1)
	v_mul_f32_e32 v25, v39, v19
	v_add_f32_e32 v12, v12, v30
	v_add_f32_e32 v14, v14, v23
	v_fmac_f32_e32 v31, v53, v24
	v_add_f32_e32 v10, v10, v22
	v_fma_f32 v30, v38, v18, -v25
	ds_read2_b64 v[22:25], v16 offset0:160 offset1:176
	v_mul_f32_e32 v32, v39, v21
	v_mul_f32_e32 v37, v38, v19
	;; [unrolled: 1-line block ×3, first 2 shown]
	v_add_f32_e32 v11, v11, v31
	v_add_f32_e32 v3, v3, v30
	v_fma_f32 v38, v38, v20, -v32
	v_fmac_f32_e32 v37, v39, v18
	ds_read_b128 v[30:33], v17 offset:1072
	v_fmac_f32_e32 v46, v39, v20
	s_waitcnt lgkmcnt(2)
	v_mul_f32_e32 v47, v27, v19
	v_mul_f32_e32 v19, v26, v19
	v_add_f32_e32 v35, v35, v38
	v_mul_f32_e32 v38, v27, v21
	v_add_f32_e32 v34, v34, v37
	v_fma_f32 v37, v26, v18, -v47
	v_fmac_f32_e32 v19, v27, v18
	v_mul_f32_e32 v39, v26, v21
	v_fma_f32 v18, v26, v20, -v38
	v_add_f32_e32 v36, v36, v46
	s_waitcnt lgkmcnt(1)
	v_mul_f32_e32 v21, v41, v23
	v_add_f32_e32 v12, v12, v37
	v_add_f32_e32 v14, v14, v19
	v_fmac_f32_e32 v39, v27, v20
	v_mul_f32_e32 v26, v40, v23
	v_add_f32_e32 v10, v10, v18
	v_fma_f32 v27, v40, v22, -v21
	ds_read2_b64 v[18:21], v16 offset0:192 offset1:208
	v_mul_f32_e32 v37, v41, v25
	v_fmac_f32_e32 v26, v41, v22
	v_add_f32_e32 v11, v11, v39
	v_add_f32_e32 v3, v3, v27
	v_mul_f32_e32 v27, v40, v25
	v_fma_f32 v37, v40, v24, -v37
	v_add_f32_e32 v26, v34, v26
	v_mul_f32_e32 v34, v29, v23
	v_mul_f32_e32 v23, v28, v23
	v_fmac_f32_e32 v27, v41, v24
	v_add_f32_e32 v35, v35, v37
	v_mul_f32_e32 v37, v29, v25
	v_fma_f32 v34, v28, v22, -v34
	v_fmac_f32_e32 v23, v29, v22
	v_add_f32_e32 v27, v36, v27
	v_mul_f32_e32 v36, v28, v25
	v_fma_f32 v22, v28, v24, -v37
	v_add_f32_e32 v12, v12, v34
	v_add_f32_e32 v14, v14, v23
	s_waitcnt lgkmcnt(0)
	v_mul_f32_e32 v28, v43, v19
	v_fmac_f32_e32 v36, v29, v24
	v_add_f32_e32 v10, v10, v22
	ds_read2_b64 v[22:25], v16 offset0:224 offset1:240
	v_mul_f32_e32 v29, v42, v19
	v_fma_f32 v28, v42, v18, -v28
	v_mul_f32_e32 v34, v43, v21
	v_add_f32_e32 v11, v11, v36
	v_mul_f32_e32 v36, v42, v21
	v_fmac_f32_e32 v29, v43, v18
	v_add_f32_e32 v3, v3, v28
	v_mul_f32_e32 v28, v31, v19
	v_fma_f32 v34, v42, v20, -v34
	v_mul_f32_e32 v19, v30, v19
	v_add_f32_e32 v26, v26, v29
	v_fmac_f32_e32 v36, v43, v20
	v_fma_f32 v28, v30, v18, -v28
	v_add_f32_e32 v29, v35, v34
	v_mul_f32_e32 v34, v31, v21
	v_fmac_f32_e32 v19, v31, v18
	v_mul_f32_e32 v18, v30, v21
	v_add_f32_e32 v12, v12, v28
	v_add_f32_e32 v27, v27, v36
	v_fma_f32 v21, v30, v20, -v34
	s_waitcnt lgkmcnt(0)
	v_mul_f32_e32 v28, v45, v23
	v_mul_f32_e32 v30, v44, v23
	v_add_f32_e32 v14, v14, v19
	v_fmac_f32_e32 v18, v31, v20
	v_add_f32_e32 v10, v10, v21
	v_fma_f32 v19, v44, v22, -v28
	v_fmac_f32_e32 v30, v45, v22
	v_mul_f32_e32 v28, v45, v25
	v_mul_f32_e32 v31, v44, v25
	v_add_f32_e32 v11, v11, v18
	v_add_f32_e32 v20, v3, v19
	;; [unrolled: 1-line block ×3, first 2 shown]
	v_fma_f32 v3, v44, v24, -v28
	v_mul_f32_e32 v19, v33, v23
	v_mul_f32_e32 v23, v32, v23
	;; [unrolled: 1-line block ×4, first 2 shown]
	v_fmac_f32_e32 v31, v45, v24
	v_add_f32_e32 v18, v29, v3
	v_fma_f32 v3, v32, v22, -v19
	v_fmac_f32_e32 v23, v33, v22
	v_fma_f32 v22, v32, v24, -v26
	v_fmac_f32_e32 v25, v33, v24
	v_add_f32_e32 v19, v27, v31
	v_add_f32_e32 v12, v12, v3
	;; [unrolled: 1-line block ×5, first 2 shown]
	s_barrier
	buffer_gl0_inv
	s_cbranch_vccz .LBB524_11
.LBB524_3:                              ; =>This Inner Loop Header: Depth=1
	v_add_co_u32 v22, s9, v9, s2
	v_add_co_ci_u32_e64 v23, null, 0, s3, s9
	v_cmp_le_i64_e32 vcc_lo, s[16:17], v[22:23]
	s_or_b32 s9, s1, vcc_lo
	s_and_saveexec_b32 s20, s9
	s_xor_b32 s9, exec_lo, s20
; %bb.4:                                ;   in Loop: Header=BB524_3 Depth=1
	ds_write_b32 v13, v2
; %bb.5:                                ;   in Loop: Header=BB524_3 Depth=1
	s_or_saveexec_b32 s9, s9
	v_mov_b32_e32 v3, 0
	s_xor_b32 exec_lo, exec_lo, s9
	s_cbranch_execz .LBB524_7
; %bb.6:                                ;   in Loop: Header=BB524_3 Depth=1
	global_load_dwordx2 v[22:23], v[6:7], off offset:-4
	s_waitcnt vmcnt(0)
	v_xor_b32_e32 v3, 0x80000000, v23
	ds_write_b32 v13, v22
.LBB524_7:                              ;   in Loop: Header=BB524_3 Depth=1
	s_or_b32 exec_lo, exec_lo, s9
	v_add_co_u32 v22, s9, v8, s2
	v_add_co_ci_u32_e64 v23, null, 0, s3, s9
	ds_write_b32 v13, v3 offset:4
	v_cmp_le_i64_e32 vcc_lo, s[16:17], v[22:23]
	s_or_b32 s9, vcc_lo, s0
	s_and_saveexec_b32 s20, s9
	s_xor_b32 s9, exec_lo, s20
; %bb.8:                                ;   in Loop: Header=BB524_3 Depth=1
	v_mov_b32_e32 v3, v2
	ds_write_b64 v15, v[2:3]
; %bb.9:                                ;   in Loop: Header=BB524_3 Depth=1
	s_andn2_saveexec_b32 s9, s9
	s_cbranch_execz .LBB524_2
; %bb.10:                               ;   in Loop: Header=BB524_3 Depth=1
	global_load_dwordx2 v[22:23], v[4:5], off
	s_waitcnt vmcnt(0)
	ds_write_b64 v15, v[22:23]
	s_branch .LBB524_2
.LBB524_11:
	s_clause 0x1
	s_load_dwordx4 s[28:31], s[4:5], 0x78
	s_load_dwordx8 s[20:27], s[4:5], 0x58
	s_waitcnt lgkmcnt(0)
	s_mul_i32 s1, s31, s8
	s_mul_hi_u32 s2, s30, s8
	s_mul_i32 s0, s30, s8
	s_add_i32 s1, s2, s1
	v_add_co_u32 v1, s2, s34, v1
	v_add_co_ci_u32_e64 v2, null, s35, 0, s2
	s_lshl_b64 s[0:1], s[0:1], 3
	s_add_u32 s3, s26, s0
	s_addc_u32 s4, s27, s1
	s_or_b32 s1, s10, s11
	v_cmp_gt_i64_e64 s0, s[14:15], v[1:2]
	s_bitset0_b32 s1, 31
	s_cmp_lg_u32 s1, 0
	s_mov_b32 s1, -1
	s_cbranch_scc1 .LBB524_23
; %bb.12:
	s_and_saveexec_b32 s5, s0
	s_cbranch_execz .LBB524_22
; %bb.13:
	v_mul_lo_u32 v5, v2, s28
	v_mul_lo_u32 v6, v1, s29
	v_mad_u64_u32 v[3:4], null, v1, s28, 0
	v_add3_u32 v4, v4, v6, v5
	v_add_co_u32 v5, s1, s6, v0
	v_add_co_ci_u32_e64 v6, null, s7, 0, s1
	v_lshlrev_b64 v[7:8], 3, v[3:4]
	v_cmp_gt_i64_e32 vcc_lo, s[12:13], v[5:6]
	v_lshlrev_b64 v[3:4], 3, v[5:6]
	v_add_co_u32 v7, s1, s3, v7
	v_add_co_ci_u32_e64 v8, null, s4, v8, s1
	s_and_saveexec_b32 s2, vcc_lo
	s_cbranch_execz .LBB524_15
; %bb.14:
	v_mul_f32_e32 v9, s19, v21
	v_mul_f32_e32 v16, s18, v21
	v_add_co_u32 v22, s1, v7, v3
	v_add_co_ci_u32_e64 v23, null, v8, v4, s1
	v_fma_f32 v15, v20, s18, -v9
	v_fmac_f32_e32 v16, s19, v20
	global_store_dwordx2 v[22:23], v[15:16], off
.LBB524_15:
	s_or_b32 exec_lo, exec_lo, s2
	v_add_co_u32 v5, s1, v5, 16
	v_add_co_ci_u32_e64 v6, null, 0, v6, s1
	v_cmp_gt_i64_e64 s1, s[12:13], v[5:6]
	s_and_saveexec_b32 s9, s1
	s_cbranch_execz .LBB524_17
; %bb.16:
	v_mul_f32_e32 v5, s19, v19
	v_mul_f32_e32 v6, s18, v19
	v_add_co_u32 v15, s2, v7, v3
	v_add_co_ci_u32_e64 v16, null, v8, v4, s2
	v_fma_f32 v5, v18, s18, -v5
	v_fmac_f32_e32 v6, s19, v18
	global_store_dwordx2 v[15:16], v[5:6], off offset:128
.LBB524_17:
	s_or_b32 exec_lo, exec_lo, s9
	v_add_co_u32 v5, s2, v1, 16
	v_add_co_ci_u32_e64 v6, null, 0, v2, s2
	v_cmp_gt_i64_e64 s2, s[14:15], v[5:6]
	s_and_b32 exec_lo, exec_lo, s2
	s_cbranch_execz .LBB524_22
; %bb.18:
	s_lshl_b64 s[16:17], s[28:29], 7
	v_add_co_u32 v5, s2, v7, s16
	v_add_co_ci_u32_e64 v6, null, s17, v8, s2
	v_add_co_u32 v3, s2, v5, v3
	v_add_co_ci_u32_e64 v4, null, v6, v4, s2
	s_and_saveexec_b32 s2, vcc_lo
	s_cbranch_execz .LBB524_20
; %bb.19:
	v_mul_f32_e32 v5, s19, v14
	v_mul_f32_e32 v6, s18, v14
	v_fma_f32 v5, v12, s18, -v5
	v_fmac_f32_e32 v6, s19, v12
	global_store_dwordx2 v[3:4], v[5:6], off
.LBB524_20:
	s_or_b32 exec_lo, exec_lo, s2
	s_and_b32 exec_lo, exec_lo, s1
	s_cbranch_execz .LBB524_22
; %bb.21:
	v_mul_f32_e32 v5, s19, v11
	v_mul_f32_e32 v6, s18, v11
	v_fma_f32 v5, v10, s18, -v5
	v_fmac_f32_e32 v6, s19, v10
	global_store_dwordx2 v[3:4], v[5:6], off offset:128
.LBB524_22:
	s_or_b32 exec_lo, exec_lo, s5
	s_mov_b32 s1, 0
.LBB524_23:
	s_andn2_b32 vcc_lo, exec_lo, s1
	s_cbranch_vccnz .LBB524_34
; %bb.24:
	s_and_saveexec_b32 s1, s0
	s_cbranch_execz .LBB524_34
; %bb.25:
	v_mul_lo_u32 v5, v2, s22
	v_mul_lo_u32 v6, v1, s23
	v_mad_u64_u32 v[3:4], null, v1, s22, 0
	v_mul_lo_u32 v9, v2, s28
	v_mul_lo_u32 v13, v1, s29
	v_mad_u64_u32 v[7:8], null, v1, s28, 0
	s_mul_i32 s0, s25, s8
	s_mul_hi_u32 s1, s24, s8
	v_add3_u32 v4, v4, v6, v5
	s_add_i32 s1, s1, s0
	s_mul_i32 s0, s24, s8
	v_add_co_u32 v5, s2, s6, v0
	v_add3_u32 v8, v8, v13, v9
	v_lshlrev_b64 v[3:4], 3, v[3:4]
	s_lshl_b64 s[0:1], s[0:1], 3
	v_add_co_ci_u32_e64 v6, null, s7, 0, s2
	v_lshlrev_b64 v[8:9], 3, v[7:8]
	s_add_u32 s0, s20, s0
	s_addc_u32 s1, s21, s1
	v_add_co_u32 v0, s0, s0, v3
	v_add_co_ci_u32_e64 v7, null, s1, v4, s0
	v_add_co_u32 v8, s0, s3, v8
	v_cmp_gt_i64_e32 vcc_lo, s[12:13], v[5:6]
	v_lshlrev_b64 v[3:4], 3, v[5:6]
	v_add_co_ci_u32_e64 v9, null, s4, v9, s0
	s_and_saveexec_b32 s1, vcc_lo
	s_cbranch_execz .LBB524_27
; %bb.26:
	v_add_co_u32 v15, s0, v0, v3
	v_add_co_ci_u32_e64 v16, null, v7, v4, s0
	v_mul_f32_e32 v13, s19, v21
	v_mul_f32_e32 v17, s18, v21
	global_load_dwordx2 v[15:16], v[15:16], off
	v_fma_f32 v13, v20, s18, -v13
	v_fmac_f32_e32 v17, s19, v20
	s_waitcnt vmcnt(0)
	v_mul_f32_e32 v21, s11, v16
	v_mul_f32_e32 v16, s10, v16
	v_fma_f32 v20, v15, s10, -v21
	v_fmac_f32_e32 v16, s11, v15
	v_add_f32_e32 v15, v13, v20
	v_add_co_u32 v20, s0, v8, v3
	v_add_f32_e32 v16, v17, v16
	v_add_co_ci_u32_e64 v21, null, v9, v4, s0
	global_store_dwordx2 v[20:21], v[15:16], off
.LBB524_27:
	s_or_b32 exec_lo, exec_lo, s1
	v_add_co_u32 v5, s0, v5, 16
	v_add_co_ci_u32_e64 v6, null, 0, v6, s0
	v_cmp_gt_i64_e64 s0, s[12:13], v[5:6]
	s_and_saveexec_b32 s2, s0
	s_cbranch_execz .LBB524_29
; %bb.28:
	v_add_co_u32 v5, s1, v0, v3
	v_add_co_ci_u32_e64 v6, null, v7, v4, s1
	v_mul_f32_e32 v15, s18, v19
	v_mul_f32_e32 v13, s19, v19
	global_load_dwordx2 v[5:6], v[5:6], off offset:128
	v_fmac_f32_e32 v15, s19, v18
	v_fma_f32 v13, v18, s18, -v13
	s_waitcnt vmcnt(0)
	v_mul_f32_e32 v16, s11, v6
	v_mul_f32_e32 v6, s10, v6
	v_fma_f32 v16, v5, s10, -v16
	v_fmac_f32_e32 v6, s11, v5
	v_add_f32_e32 v5, v13, v16
	v_add_f32_e32 v6, v15, v6
	v_add_co_u32 v15, s1, v8, v3
	v_add_co_ci_u32_e64 v16, null, v9, v4, s1
	global_store_dwordx2 v[15:16], v[5:6], off offset:128
.LBB524_29:
	s_or_b32 exec_lo, exec_lo, s2
	v_add_co_u32 v1, s1, v1, 16
	v_add_co_ci_u32_e64 v2, null, 0, v2, s1
	v_cmp_gt_i64_e64 s1, s[14:15], v[1:2]
	s_and_b32 exec_lo, exec_lo, s1
	s_cbranch_execz .LBB524_34
; %bb.30:
	s_lshl_b64 s[2:3], s[22:23], 7
	v_add_co_u32 v0, s1, v0, s2
	v_add_co_ci_u32_e64 v1, null, s3, v7, s1
	s_lshl_b64 s[2:3], s[28:29], 7
	v_add_co_u32 v2, s1, v8, s2
	v_add_co_ci_u32_e64 v7, null, s3, v9, s1
	v_add_co_u32 v5, s1, v0, v3
	v_add_co_ci_u32_e64 v6, null, v1, v4, s1
	;; [unrolled: 2-line block ×3, first 2 shown]
	s_and_saveexec_b32 s1, vcc_lo
	s_cbranch_execz .LBB524_32
; %bb.31:
	global_load_dwordx2 v[2:3], v[5:6], off
	v_mul_f32_e32 v4, s19, v14
	v_mul_f32_e32 v7, s18, v14
	v_fma_f32 v4, v12, s18, -v4
	v_fmac_f32_e32 v7, s19, v12
	s_waitcnt vmcnt(0)
	v_mul_f32_e32 v8, s11, v3
	v_mul_f32_e32 v3, s10, v3
	v_fma_f32 v8, v2, s10, -v8
	v_fmac_f32_e32 v3, s11, v2
	v_add_f32_e32 v2, v4, v8
	v_add_f32_e32 v3, v7, v3
	global_store_dwordx2 v[0:1], v[2:3], off
.LBB524_32:
	s_or_b32 exec_lo, exec_lo, s1
	s_and_b32 exec_lo, exec_lo, s0
	s_cbranch_execz .LBB524_34
; %bb.33:
	global_load_dwordx2 v[2:3], v[5:6], off offset:128
	v_mul_f32_e32 v4, s19, v11
	v_mul_f32_e32 v5, s18, v11
	v_fma_f32 v4, v10, s18, -v4
	v_fmac_f32_e32 v5, s19, v10
	s_waitcnt vmcnt(0)
	v_mul_f32_e32 v6, s11, v3
	v_mul_f32_e32 v3, s10, v3
	v_fma_f32 v6, v2, s10, -v6
	v_fmac_f32_e32 v3, s11, v2
	v_add_f32_e32 v2, v4, v6
	v_add_f32_e32 v3, v5, v3
	global_store_dwordx2 v[0:1], v[2:3], off offset:128
.LBB524_34:
	s_endpgm
	.section	.rodata,"a",@progbits
	.p2align	6, 0x0
	.amdhsa_kernel _ZN12_GLOBAL__N_135rocblas_gemm_batched_general_kernelI19rocblas_complex_numIfELi16ELi16ELi32ELi32ELi8ELi32ELi8ELi8ELi32ELc67ELc78EKS2_S3_S2_EEvlllT_PT11_llS6_llS4_PT12_llPT13_lli
		.amdhsa_group_segment_fixed_size 4096
		.amdhsa_private_segment_fixed_size 0
		.amdhsa_kernarg_size 140
		.amdhsa_user_sgpr_count 6
		.amdhsa_user_sgpr_private_segment_buffer 1
		.amdhsa_user_sgpr_dispatch_ptr 0
		.amdhsa_user_sgpr_queue_ptr 0
		.amdhsa_user_sgpr_kernarg_segment_ptr 1
		.amdhsa_user_sgpr_dispatch_id 0
		.amdhsa_user_sgpr_flat_scratch_init 0
		.amdhsa_user_sgpr_private_segment_size 0
		.amdhsa_wavefront_size32 1
		.amdhsa_uses_dynamic_stack 0
		.amdhsa_system_sgpr_private_segment_wavefront_offset 0
		.amdhsa_system_sgpr_workgroup_id_x 1
		.amdhsa_system_sgpr_workgroup_id_y 1
		.amdhsa_system_sgpr_workgroup_id_z 1
		.amdhsa_system_sgpr_workgroup_info 0
		.amdhsa_system_vgpr_workitem_id 1
		.amdhsa_next_free_vgpr 59
		.amdhsa_next_free_sgpr 36
		.amdhsa_reserve_vcc 1
		.amdhsa_reserve_flat_scratch 0
		.amdhsa_float_round_mode_32 0
		.amdhsa_float_round_mode_16_64 0
		.amdhsa_float_denorm_mode_32 3
		.amdhsa_float_denorm_mode_16_64 3
		.amdhsa_dx10_clamp 1
		.amdhsa_ieee_mode 1
		.amdhsa_fp16_overflow 0
		.amdhsa_workgroup_processor_mode 1
		.amdhsa_memory_ordered 1
		.amdhsa_forward_progress 1
		.amdhsa_shared_vgpr_count 0
		.amdhsa_exception_fp_ieee_invalid_op 0
		.amdhsa_exception_fp_denorm_src 0
		.amdhsa_exception_fp_ieee_div_zero 0
		.amdhsa_exception_fp_ieee_overflow 0
		.amdhsa_exception_fp_ieee_underflow 0
		.amdhsa_exception_fp_ieee_inexact 0
		.amdhsa_exception_int_div_zero 0
	.end_amdhsa_kernel
	.section	.text._ZN12_GLOBAL__N_135rocblas_gemm_batched_general_kernelI19rocblas_complex_numIfELi16ELi16ELi32ELi32ELi8ELi32ELi8ELi8ELi32ELc67ELc78EKS2_S3_S2_EEvlllT_PT11_llS6_llS4_PT12_llPT13_lli,"axG",@progbits,_ZN12_GLOBAL__N_135rocblas_gemm_batched_general_kernelI19rocblas_complex_numIfELi16ELi16ELi32ELi32ELi8ELi32ELi8ELi8ELi32ELc67ELc78EKS2_S3_S2_EEvlllT_PT11_llS6_llS4_PT12_llPT13_lli,comdat
.Lfunc_end524:
	.size	_ZN12_GLOBAL__N_135rocblas_gemm_batched_general_kernelI19rocblas_complex_numIfELi16ELi16ELi32ELi32ELi8ELi32ELi8ELi8ELi32ELc67ELc78EKS2_S3_S2_EEvlllT_PT11_llS6_llS4_PT12_llPT13_lli, .Lfunc_end524-_ZN12_GLOBAL__N_135rocblas_gemm_batched_general_kernelI19rocblas_complex_numIfELi16ELi16ELi32ELi32ELi8ELi32ELi8ELi8ELi32ELc67ELc78EKS2_S3_S2_EEvlllT_PT11_llS6_llS4_PT12_llPT13_lli
                                        ; -- End function
	.set _ZN12_GLOBAL__N_135rocblas_gemm_batched_general_kernelI19rocblas_complex_numIfELi16ELi16ELi32ELi32ELi8ELi32ELi8ELi8ELi32ELc67ELc78EKS2_S3_S2_EEvlllT_PT11_llS6_llS4_PT12_llPT13_lli.num_vgpr, 59
	.set _ZN12_GLOBAL__N_135rocblas_gemm_batched_general_kernelI19rocblas_complex_numIfELi16ELi16ELi32ELi32ELi8ELi32ELi8ELi8ELi32ELc67ELc78EKS2_S3_S2_EEvlllT_PT11_llS6_llS4_PT12_llPT13_lli.num_agpr, 0
	.set _ZN12_GLOBAL__N_135rocblas_gemm_batched_general_kernelI19rocblas_complex_numIfELi16ELi16ELi32ELi32ELi8ELi32ELi8ELi8ELi32ELc67ELc78EKS2_S3_S2_EEvlllT_PT11_llS6_llS4_PT12_llPT13_lli.numbered_sgpr, 36
	.set _ZN12_GLOBAL__N_135rocblas_gemm_batched_general_kernelI19rocblas_complex_numIfELi16ELi16ELi32ELi32ELi8ELi32ELi8ELi8ELi32ELc67ELc78EKS2_S3_S2_EEvlllT_PT11_llS6_llS4_PT12_llPT13_lli.num_named_barrier, 0
	.set _ZN12_GLOBAL__N_135rocblas_gemm_batched_general_kernelI19rocblas_complex_numIfELi16ELi16ELi32ELi32ELi8ELi32ELi8ELi8ELi32ELc67ELc78EKS2_S3_S2_EEvlllT_PT11_llS6_llS4_PT12_llPT13_lli.private_seg_size, 0
	.set _ZN12_GLOBAL__N_135rocblas_gemm_batched_general_kernelI19rocblas_complex_numIfELi16ELi16ELi32ELi32ELi8ELi32ELi8ELi8ELi32ELc67ELc78EKS2_S3_S2_EEvlllT_PT11_llS6_llS4_PT12_llPT13_lli.uses_vcc, 1
	.set _ZN12_GLOBAL__N_135rocblas_gemm_batched_general_kernelI19rocblas_complex_numIfELi16ELi16ELi32ELi32ELi8ELi32ELi8ELi8ELi32ELc67ELc78EKS2_S3_S2_EEvlllT_PT11_llS6_llS4_PT12_llPT13_lli.uses_flat_scratch, 0
	.set _ZN12_GLOBAL__N_135rocblas_gemm_batched_general_kernelI19rocblas_complex_numIfELi16ELi16ELi32ELi32ELi8ELi32ELi8ELi8ELi32ELc67ELc78EKS2_S3_S2_EEvlllT_PT11_llS6_llS4_PT12_llPT13_lli.has_dyn_sized_stack, 0
	.set _ZN12_GLOBAL__N_135rocblas_gemm_batched_general_kernelI19rocblas_complex_numIfELi16ELi16ELi32ELi32ELi8ELi32ELi8ELi8ELi32ELc67ELc78EKS2_S3_S2_EEvlllT_PT11_llS6_llS4_PT12_llPT13_lli.has_recursion, 0
	.set _ZN12_GLOBAL__N_135rocblas_gemm_batched_general_kernelI19rocblas_complex_numIfELi16ELi16ELi32ELi32ELi8ELi32ELi8ELi8ELi32ELc67ELc78EKS2_S3_S2_EEvlllT_PT11_llS6_llS4_PT12_llPT13_lli.has_indirect_call, 0
	.section	.AMDGPU.csdata,"",@progbits
; Kernel info:
; codeLenInByte = 3012
; TotalNumSgprs: 38
; NumVgprs: 59
; ScratchSize: 0
; MemoryBound: 1
; FloatMode: 240
; IeeeMode: 1
; LDSByteSize: 4096 bytes/workgroup (compile time only)
; SGPRBlocks: 0
; VGPRBlocks: 7
; NumSGPRsForWavesPerEU: 38
; NumVGPRsForWavesPerEU: 59
; Occupancy: 16
; WaveLimiterHint : 1
; COMPUTE_PGM_RSRC2:SCRATCH_EN: 0
; COMPUTE_PGM_RSRC2:USER_SGPR: 6
; COMPUTE_PGM_RSRC2:TRAP_HANDLER: 0
; COMPUTE_PGM_RSRC2:TGID_X_EN: 1
; COMPUTE_PGM_RSRC2:TGID_Y_EN: 1
; COMPUTE_PGM_RSRC2:TGID_Z_EN: 1
; COMPUTE_PGM_RSRC2:TIDIG_COMP_CNT: 1
	.section	.text._ZN12_GLOBAL__N_135rocblas_gemm_batched_general_kernelI19rocblas_complex_numIfELi16ELi16ELi32ELi32ELi8ELi32ELi8ELi8ELi32ELc67ELc84EKS2_S3_S2_EEvlllT_PT11_llS6_llS4_PT12_llPT13_lli,"axG",@progbits,_ZN12_GLOBAL__N_135rocblas_gemm_batched_general_kernelI19rocblas_complex_numIfELi16ELi16ELi32ELi32ELi8ELi32ELi8ELi8ELi32ELc67ELc84EKS2_S3_S2_EEvlllT_PT11_llS6_llS4_PT12_llPT13_lli,comdat
	.globl	_ZN12_GLOBAL__N_135rocblas_gemm_batched_general_kernelI19rocblas_complex_numIfELi16ELi16ELi32ELi32ELi8ELi32ELi8ELi8ELi32ELc67ELc84EKS2_S3_S2_EEvlllT_PT11_llS6_llS4_PT12_llPT13_lli ; -- Begin function _ZN12_GLOBAL__N_135rocblas_gemm_batched_general_kernelI19rocblas_complex_numIfELi16ELi16ELi32ELi32ELi8ELi32ELi8ELi8ELi32ELc67ELc84EKS2_S3_S2_EEvlllT_PT11_llS6_llS4_PT12_llPT13_lli
	.p2align	8
	.type	_ZN12_GLOBAL__N_135rocblas_gemm_batched_general_kernelI19rocblas_complex_numIfELi16ELi16ELi32ELi32ELi8ELi32ELi8ELi8ELi32ELc67ELc84EKS2_S3_S2_EEvlllT_PT11_llS6_llS4_PT12_llPT13_lli,@function
_ZN12_GLOBAL__N_135rocblas_gemm_batched_general_kernelI19rocblas_complex_numIfELi16ELi16ELi32ELi32ELi8ELi32ELi8ELi8ELi32ELc67ELc84EKS2_S3_S2_EEvlllT_PT11_llS6_llS4_PT12_llPT13_lli: ; @_ZN12_GLOBAL__N_135rocblas_gemm_batched_general_kernelI19rocblas_complex_numIfELi16ELi16ELi32ELi32ELi8ELi32ELi8ELi8ELi32ELc67ELc84EKS2_S3_S2_EEvlllT_PT11_llS6_llS4_PT12_llPT13_lli
; %bb.0:
	s_clause 0x1
	s_load_dwordx16 s[12:27], s[4:5], 0x0
	s_load_dwordx2 s[10:11], s[4:5], 0x50
	s_mov_b32 s0, s7
	v_mov_b32_e32 v20, 0
	v_mov_b32_e32 v21, 0
	;; [unrolled: 1-line block ×8, first 2 shown]
	s_ashr_i32 s7, s6, 31
	s_ashr_i32 s1, s0, 31
	s_lshl_b64 s[6:7], s[6:7], 5
	s_waitcnt lgkmcnt(0)
	v_cmp_lt_i64_e64 s2, s[16:17], 1
	s_and_b32 vcc_lo, exec_lo, s2
	s_lshl_b64 s[2:3], s[0:1], 5
	s_cbranch_vccnz .LBB525_11
; %bb.1:
	s_load_dwordx4 s[28:31], s[4:5], 0x40
	v_lshl_add_u32 v7, v1, 4, v0
	v_and_b32_e32 v8, 7, v0
	v_mov_b32_e32 v4, s7
	s_lshl_b64 s[34:35], s[0:1], 8
	s_mul_i32 s9, s25, s8
	v_and_b32_e32 v15, 31, v7
	v_lshrrev_b32_e32 v14, 3, v7
	v_lshlrev_b32_e32 v16, 3, v8
	s_mul_hi_u32 s25, s24, s8
	v_lshrrev_b32_e32 v13, 5, v7
	v_or_b32_e32 v3, s6, v15
	v_add_co_u32 v11, s0, v14, s2
	v_add_co_ci_u32_e64 v12, null, 0, s3, s0
	v_lshl_or_b32 v18, v14, 6, v16
	v_add_co_u32 v14, s0, s6, v15
	v_lshlrev_b32_e32 v17, 3, v15
	s_waitcnt lgkmcnt(0)
	v_mad_u64_u32 v[5:6], null, s28, v8, 0
	v_add_co_ci_u32_e64 v15, null, s7, 0, s0
	v_cmp_gt_i64_e32 vcc_lo, s[12:13], v[3:4]
	v_mul_lo_u32 v19, s23, v14
	s_mul_i32 s1, s31, s8
	s_mul_hi_u32 s23, s30, s8
	v_mad_u64_u32 v[3:4], null, s29, v8, v[6:7]
	v_mul_lo_u32 v4, s22, v15
	v_mad_u64_u32 v[14:15], null, s22, v14, 0
	s_mul_i32 s22, s30, s8
	s_add_i32 s23, s23, s1
	v_and_b32_e32 v7, 0x1ff8, v7
	v_mov_b32_e32 v6, v3
	s_lshl_b64 s[22:23], s[22:23], 3
	v_cmp_gt_i64_e64 s0, s[14:15], v[11:12]
	v_add3_u32 v15, v15, v4, v19
	s_add_u32 s1, s34, s22
	v_lshlrev_b64 v[3:4], 3, v[5:6]
	s_addc_u32 s22, s35, s23
	s_add_i32 s23, s25, s9
	v_lshlrev_b64 v[5:6], 3, v[14:15]
	v_lshlrev_b32_e32 v11, 3, v13
	v_mov_b32_e32 v2, 0
	v_add_co_u32 v3, s1, s1, v3
	v_add_co_ci_u32_e64 v4, null, s22, v4, s1
	s_mul_i32 s22, s24, s8
	v_lshlrev_b32_e32 v9, 3, v0
	s_lshl_b64 s[22:23], s[22:23], 3
	v_lshl_add_u32 v10, v1, 6, 0x800
	v_add_co_u32 v5, s1, v5, s22
	v_add_co_ci_u32_e64 v6, null, s23, v6, s1
	v_add_co_u32 v3, s1, v3, v7
	v_add_co_ci_u32_e64 v7, null, 0, v4, s1
	;; [unrolled: 2-line block ×5, first 2 shown]
	v_lshl_or_b32 v16, v13, 8, v17
	v_add_co_u32 v6, s1, v3, 4
	v_add_nc_u32_e32 v17, 0x800, v18
	v_add_co_ci_u32_e64 v7, null, 0, v7, s1
	v_mov_b32_e32 v12, 0
	v_mov_b32_e32 v11, 0
	;; [unrolled: 1-line block ×8, first 2 shown]
	s_lshl_b64 s[20:21], s[28:29], 6
	s_mov_b64 s[22:23], 0
	s_xor_b32 s1, vcc_lo, -1
	s_xor_b32 s0, s0, -1
	s_branch .LBB525_3
.LBB525_2:                              ;   in Loop: Header=BB525_3 Depth=1
	s_or_b32 exec_lo, exec_lo, s9
	s_waitcnt lgkmcnt(0)
	s_barrier
	buffer_gl0_inv
	ds_read_b128 v[22:25], v10
	ds_read2_b64 v[26:29], v9 offset1:16
	ds_read_b128 v[30:33], v10 offset:1024
	ds_read_b128 v[34:37], v10 offset:16
	;; [unrolled: 1-line block ×4, first 2 shown]
	ds_read2_b64 v[46:49], v9 offset0:32 offset1:48
	ds_read_b128 v[50:53], v10 offset:1040
	s_add_u32 s22, s22, 8
	s_addc_u32 s23, s23, 0
	v_add_co_u32 v4, vcc_lo, v4, s20
	v_cmp_lt_i64_e64 s9, s[22:23], s[16:17]
	v_add_co_ci_u32_e64 v5, null, s21, v5, vcc_lo
	v_add_co_u32 v6, vcc_lo, v6, 64
	v_add_co_ci_u32_e64 v7, null, 0, v7, vcc_lo
	s_and_b32 vcc_lo, exec_lo, s9
	s_waitcnt lgkmcnt(6)
	v_mul_f32_e32 v3, v23, v27
	v_mul_f32_e32 v54, v22, v27
	;; [unrolled: 1-line block ×4, first 2 shown]
	s_waitcnt lgkmcnt(5)
	v_mul_f32_e32 v57, v31, v27
	v_mul_f32_e32 v27, v30, v27
	;; [unrolled: 1-line block ×3, first 2 shown]
	v_fma_f32 v3, v22, v26, -v3
	v_fmac_f32_e32 v54, v23, v26
	v_fma_f32 v22, v22, v28, -v55
	v_fmac_f32_e32 v56, v23, v28
	v_fma_f32 v23, v30, v26, -v57
	v_mul_f32_e32 v29, v30, v29
	v_fmac_f32_e32 v27, v31, v26
	v_fma_f32 v26, v30, v28, -v58
	v_add_f32_e32 v3, v20, v3
	v_add_f32_e32 v30, v21, v54
	;; [unrolled: 1-line block ×5, first 2 shown]
	s_waitcnt lgkmcnt(1)
	v_mul_f32_e32 v23, v25, v47
	ds_read2_b64 v[18:21], v9 offset0:64 offset1:80
	v_add_f32_e32 v15, v15, v27
	v_mul_f32_e32 v27, v25, v49
	v_fmac_f32_e32 v29, v31, v28
	v_fma_f32 v23, v24, v46, -v23
	v_add_f32_e32 v11, v11, v26
	v_mul_f32_e32 v26, v24, v47
	v_mul_f32_e32 v28, v24, v49
	v_add_f32_e32 v12, v12, v29
	v_add_f32_e32 v3, v3, v23
	v_fma_f32 v23, v24, v48, -v27
	v_mul_f32_e32 v24, v33, v47
	v_fmac_f32_e32 v26, v25, v46
	v_fmac_f32_e32 v28, v25, v48
	v_mul_f32_e32 v25, v32, v47
	v_add_f32_e32 v27, v22, v23
	v_fma_f32 v22, v32, v46, -v24
	v_mul_f32_e32 v23, v33, v49
	v_add_f32_e32 v26, v30, v26
	v_fmac_f32_e32 v25, v33, v46
	v_mul_f32_e32 v29, v32, v49
	v_add_f32_e32 v14, v14, v22
	v_fma_f32 v22, v32, v48, -v23
	s_waitcnt lgkmcnt(0)
	v_mul_f32_e32 v23, v35, v19
	v_mul_f32_e32 v30, v34, v19
	;; [unrolled: 1-line block ×3, first 2 shown]
	v_add_f32_e32 v15, v15, v25
	v_add_f32_e32 v11, v11, v22
	v_fma_f32 v31, v34, v18, -v23
	ds_read2_b64 v[22:25], v9 offset0:96 offset1:112
	v_fmac_f32_e32 v30, v35, v18
	v_fmac_f32_e32 v29, v33, v48
	v_add_f32_e32 v28, v54, v28
	v_add_f32_e32 v3, v3, v31
	v_fma_f32 v31, v34, v20, -v32
	v_add_f32_e32 v26, v26, v30
	v_mul_f32_e32 v30, v51, v19
	v_mul_f32_e32 v19, v50, v19
	v_add_f32_e32 v12, v12, v29
	v_add_f32_e32 v27, v27, v31
	v_mul_f32_e32 v31, v51, v21
	v_mul_f32_e32 v29, v34, v21
	v_fma_f32 v30, v50, v18, -v30
	v_fmac_f32_e32 v19, v51, v18
	v_mul_f32_e32 v32, v50, v21
	v_fma_f32 v18, v50, v20, -v31
	v_fmac_f32_e32 v29, v35, v20
	v_add_f32_e32 v14, v14, v30
	v_add_f32_e32 v15, v15, v19
	v_fmac_f32_e32 v32, v51, v20
	v_add_f32_e32 v11, v11, v18
	ds_read2_b64 v[18:21], v9 offset0:128 offset1:144
	v_add_f32_e32 v33, v28, v29
	s_waitcnt lgkmcnt(1)
	v_mul_f32_e32 v28, v37, v23
	v_mul_f32_e32 v29, v36, v23
	;; [unrolled: 1-line block ×4, first 2 shown]
	v_add_f32_e32 v12, v12, v32
	v_fma_f32 v28, v36, v22, -v28
	v_fmac_f32_e32 v29, v37, v22
	v_fma_f32 v30, v36, v24, -v30
	v_fmac_f32_e32 v31, v37, v24
	v_mul_f32_e32 v32, v53, v25
	v_add_f32_e32 v3, v3, v28
	v_mul_f32_e32 v28, v53, v23
	v_mul_f32_e32 v23, v52, v23
	v_add_f32_e32 v34, v26, v29
	v_add_f32_e32 v35, v27, v30
	;; [unrolled: 1-line block ×3, first 2 shown]
	v_fma_f32 v30, v52, v22, -v28
	ds_read_b128 v[26:29], v10 offset:1056
	v_fmac_f32_e32 v23, v53, v22
	v_mul_f32_e32 v31, v52, v25
	v_fma_f32 v22, v52, v24, -v32
	s_waitcnt lgkmcnt(1)
	v_mul_f32_e32 v25, v39, v19
	v_add_f32_e32 v14, v14, v30
	v_add_f32_e32 v15, v15, v23
	v_fmac_f32_e32 v31, v53, v24
	v_add_f32_e32 v11, v11, v22
	v_fma_f32 v30, v38, v18, -v25
	ds_read2_b64 v[22:25], v9 offset0:160 offset1:176
	v_mul_f32_e32 v32, v39, v21
	v_mul_f32_e32 v37, v38, v19
	;; [unrolled: 1-line block ×3, first 2 shown]
	v_add_f32_e32 v12, v12, v31
	v_add_f32_e32 v3, v3, v30
	v_fma_f32 v38, v38, v20, -v32
	v_fmac_f32_e32 v37, v39, v18
	ds_read_b128 v[30:33], v10 offset:1072
	v_fmac_f32_e32 v46, v39, v20
	s_waitcnt lgkmcnt(2)
	v_mul_f32_e32 v47, v27, v19
	v_mul_f32_e32 v19, v26, v19
	v_add_f32_e32 v35, v35, v38
	v_mul_f32_e32 v38, v27, v21
	v_add_f32_e32 v34, v34, v37
	v_fma_f32 v37, v26, v18, -v47
	v_fmac_f32_e32 v19, v27, v18
	v_mul_f32_e32 v39, v26, v21
	v_fma_f32 v18, v26, v20, -v38
	v_add_f32_e32 v36, v36, v46
	s_waitcnt lgkmcnt(1)
	v_mul_f32_e32 v21, v41, v23
	v_add_f32_e32 v14, v14, v37
	v_add_f32_e32 v15, v15, v19
	v_fmac_f32_e32 v39, v27, v20
	v_mul_f32_e32 v26, v40, v23
	v_add_f32_e32 v11, v11, v18
	v_fma_f32 v27, v40, v22, -v21
	ds_read2_b64 v[18:21], v9 offset0:192 offset1:208
	v_mul_f32_e32 v37, v41, v25
	v_fmac_f32_e32 v26, v41, v22
	v_add_f32_e32 v12, v12, v39
	v_add_f32_e32 v3, v3, v27
	v_mul_f32_e32 v27, v40, v25
	v_fma_f32 v37, v40, v24, -v37
	v_add_f32_e32 v26, v34, v26
	v_mul_f32_e32 v34, v29, v23
	v_mul_f32_e32 v23, v28, v23
	v_fmac_f32_e32 v27, v41, v24
	v_add_f32_e32 v35, v35, v37
	v_mul_f32_e32 v37, v29, v25
	v_fma_f32 v34, v28, v22, -v34
	v_fmac_f32_e32 v23, v29, v22
	v_add_f32_e32 v27, v36, v27
	v_mul_f32_e32 v36, v28, v25
	v_fma_f32 v22, v28, v24, -v37
	v_add_f32_e32 v14, v14, v34
	v_add_f32_e32 v15, v15, v23
	s_waitcnt lgkmcnt(0)
	v_mul_f32_e32 v28, v43, v19
	v_fmac_f32_e32 v36, v29, v24
	v_add_f32_e32 v11, v11, v22
	ds_read2_b64 v[22:25], v9 offset0:224 offset1:240
	v_mul_f32_e32 v29, v42, v19
	v_fma_f32 v28, v42, v18, -v28
	v_mul_f32_e32 v34, v43, v21
	v_add_f32_e32 v12, v12, v36
	v_mul_f32_e32 v36, v42, v21
	v_fmac_f32_e32 v29, v43, v18
	v_add_f32_e32 v3, v3, v28
	v_mul_f32_e32 v28, v31, v19
	v_fma_f32 v34, v42, v20, -v34
	v_mul_f32_e32 v19, v30, v19
	v_add_f32_e32 v26, v26, v29
	v_fmac_f32_e32 v36, v43, v20
	v_fma_f32 v28, v30, v18, -v28
	v_add_f32_e32 v29, v35, v34
	v_mul_f32_e32 v34, v31, v21
	v_fmac_f32_e32 v19, v31, v18
	v_mul_f32_e32 v18, v30, v21
	v_add_f32_e32 v14, v14, v28
	v_add_f32_e32 v27, v27, v36
	v_fma_f32 v21, v30, v20, -v34
	s_waitcnt lgkmcnt(0)
	v_mul_f32_e32 v28, v45, v23
	v_mul_f32_e32 v30, v44, v23
	v_add_f32_e32 v15, v15, v19
	v_fmac_f32_e32 v18, v31, v20
	v_add_f32_e32 v11, v11, v21
	v_fma_f32 v19, v44, v22, -v28
	v_fmac_f32_e32 v30, v45, v22
	v_mul_f32_e32 v28, v45, v25
	v_mul_f32_e32 v31, v44, v25
	v_add_f32_e32 v12, v12, v18
	v_add_f32_e32 v20, v3, v19
	v_add_f32_e32 v21, v26, v30
	v_fma_f32 v3, v44, v24, -v28
	v_mul_f32_e32 v19, v33, v23
	v_mul_f32_e32 v23, v32, v23
	;; [unrolled: 1-line block ×4, first 2 shown]
	v_fmac_f32_e32 v31, v45, v24
	v_add_f32_e32 v18, v29, v3
	v_fma_f32 v3, v32, v22, -v19
	v_fmac_f32_e32 v23, v33, v22
	v_fma_f32 v22, v32, v24, -v26
	v_fmac_f32_e32 v25, v33, v24
	v_add_f32_e32 v19, v27, v31
	v_add_f32_e32 v14, v14, v3
	;; [unrolled: 1-line block ×5, first 2 shown]
	s_barrier
	buffer_gl0_inv
	s_cbranch_vccz .LBB525_11
.LBB525_3:                              ; =>This Inner Loop Header: Depth=1
	v_add_co_u32 v22, s9, v13, s22
	v_add_co_ci_u32_e64 v23, null, 0, s23, s9
	v_cmp_le_i64_e32 vcc_lo, s[16:17], v[22:23]
	s_or_b32 s9, s1, vcc_lo
	s_and_saveexec_b32 s24, s9
	s_xor_b32 s9, exec_lo, s24
; %bb.4:                                ;   in Loop: Header=BB525_3 Depth=1
	ds_write_b32 v16, v2
; %bb.5:                                ;   in Loop: Header=BB525_3 Depth=1
	s_or_saveexec_b32 s9, s9
	v_mov_b32_e32 v3, 0
	s_xor_b32 exec_lo, exec_lo, s9
	s_cbranch_execz .LBB525_7
; %bb.6:                                ;   in Loop: Header=BB525_3 Depth=1
	global_load_dwordx2 v[22:23], v[6:7], off offset:-4
	s_waitcnt vmcnt(0)
	v_xor_b32_e32 v3, 0x80000000, v23
	ds_write_b32 v16, v22
.LBB525_7:                              ;   in Loop: Header=BB525_3 Depth=1
	s_or_b32 exec_lo, exec_lo, s9
	v_add_co_u32 v22, s9, v8, s22
	v_add_co_ci_u32_e64 v23, null, 0, s23, s9
	ds_write_b32 v16, v3 offset:4
	v_cmp_le_i64_e32 vcc_lo, s[16:17], v[22:23]
	s_or_b32 s9, vcc_lo, s0
	s_and_saveexec_b32 s24, s9
	s_xor_b32 s9, exec_lo, s24
; %bb.8:                                ;   in Loop: Header=BB525_3 Depth=1
	v_mov_b32_e32 v3, v2
	ds_write_b64 v17, v[2:3]
; %bb.9:                                ;   in Loop: Header=BB525_3 Depth=1
	s_andn2_saveexec_b32 s9, s9
	s_cbranch_execz .LBB525_2
; %bb.10:                               ;   in Loop: Header=BB525_3 Depth=1
	global_load_dwordx2 v[22:23], v[4:5], off
	s_waitcnt vmcnt(0)
	ds_write_b64 v17, v[22:23]
	s_branch .LBB525_2
.LBB525_11:
	s_clause 0x1
	s_load_dwordx4 s[28:31], s[4:5], 0x78
	s_load_dwordx8 s[20:27], s[4:5], 0x58
	v_add_co_u32 v1, s2, s2, v1
	v_add_co_ci_u32_e64 v2, null, s3, 0, s2
	s_waitcnt lgkmcnt(0)
	s_mul_i32 s1, s31, s8
	s_mul_hi_u32 s4, s30, s8
	s_mul_i32 s0, s30, s8
	s_add_i32 s1, s4, s1
	s_lshl_b64 s[0:1], s[0:1], 3
	s_add_u32 s3, s26, s0
	s_addc_u32 s4, s27, s1
	s_or_b32 s1, s10, s11
	v_cmp_gt_i64_e64 s0, s[14:15], v[1:2]
	s_bitset0_b32 s1, 31
	s_cmp_lg_u32 s1, 0
	s_mov_b32 s1, -1
	s_cbranch_scc1 .LBB525_23
; %bb.12:
	s_and_saveexec_b32 s5, s0
	s_cbranch_execz .LBB525_22
; %bb.13:
	v_mul_lo_u32 v5, v2, s28
	v_mul_lo_u32 v6, v1, s29
	v_mad_u64_u32 v[3:4], null, v1, s28, 0
	v_add3_u32 v4, v4, v6, v5
	v_add_co_u32 v5, s1, s6, v0
	v_add_co_ci_u32_e64 v6, null, s7, 0, s1
	v_lshlrev_b64 v[7:8], 3, v[3:4]
	v_cmp_gt_i64_e32 vcc_lo, s[12:13], v[5:6]
	v_lshlrev_b64 v[3:4], 3, v[5:6]
	v_add_co_u32 v7, s1, s3, v7
	v_add_co_ci_u32_e64 v8, null, s4, v8, s1
	s_and_saveexec_b32 s2, vcc_lo
	s_cbranch_execz .LBB525_15
; %bb.14:
	v_mul_f32_e32 v9, s19, v21
	v_mul_f32_e32 v10, s18, v21
	v_add_co_u32 v16, s1, v7, v3
	v_add_co_ci_u32_e64 v17, null, v8, v4, s1
	v_fma_f32 v9, v20, s18, -v9
	v_fmac_f32_e32 v10, s19, v20
	global_store_dwordx2 v[16:17], v[9:10], off
.LBB525_15:
	s_or_b32 exec_lo, exec_lo, s2
	v_add_co_u32 v5, s1, v5, 16
	v_add_co_ci_u32_e64 v6, null, 0, v6, s1
	v_cmp_gt_i64_e64 s1, s[12:13], v[5:6]
	s_and_saveexec_b32 s9, s1
	s_cbranch_execz .LBB525_17
; %bb.16:
	v_mul_f32_e32 v5, s19, v19
	v_mul_f32_e32 v6, s18, v19
	v_add_co_u32 v9, s2, v7, v3
	v_add_co_ci_u32_e64 v10, null, v8, v4, s2
	v_fma_f32 v5, v18, s18, -v5
	v_fmac_f32_e32 v6, s19, v18
	global_store_dwordx2 v[9:10], v[5:6], off offset:128
.LBB525_17:
	s_or_b32 exec_lo, exec_lo, s9
	v_add_co_u32 v5, s2, v1, 16
	v_add_co_ci_u32_e64 v6, null, 0, v2, s2
	v_cmp_gt_i64_e64 s2, s[14:15], v[5:6]
	s_and_b32 exec_lo, exec_lo, s2
	s_cbranch_execz .LBB525_22
; %bb.18:
	s_lshl_b64 s[16:17], s[28:29], 7
	v_add_co_u32 v5, s2, v7, s16
	v_add_co_ci_u32_e64 v6, null, s17, v8, s2
	v_add_co_u32 v3, s2, v5, v3
	v_add_co_ci_u32_e64 v4, null, v6, v4, s2
	s_and_saveexec_b32 s2, vcc_lo
	s_cbranch_execz .LBB525_20
; %bb.19:
	v_mul_f32_e32 v5, s19, v15
	v_mul_f32_e32 v6, s18, v15
	v_fma_f32 v5, v14, s18, -v5
	v_fmac_f32_e32 v6, s19, v14
	global_store_dwordx2 v[3:4], v[5:6], off
.LBB525_20:
	s_or_b32 exec_lo, exec_lo, s2
	s_and_b32 exec_lo, exec_lo, s1
	s_cbranch_execz .LBB525_22
; %bb.21:
	v_mul_f32_e32 v5, s19, v12
	v_mul_f32_e32 v6, s18, v12
	v_fma_f32 v5, v11, s18, -v5
	v_fmac_f32_e32 v6, s19, v11
	global_store_dwordx2 v[3:4], v[5:6], off offset:128
.LBB525_22:
	s_or_b32 exec_lo, exec_lo, s5
	s_mov_b32 s1, 0
.LBB525_23:
	s_andn2_b32 vcc_lo, exec_lo, s1
	s_cbranch_vccnz .LBB525_34
; %bb.24:
	s_and_saveexec_b32 s1, s0
	s_cbranch_execz .LBB525_34
; %bb.25:
	v_mul_lo_u32 v5, v2, s22
	v_mul_lo_u32 v6, v1, s23
	v_mad_u64_u32 v[3:4], null, v1, s22, 0
	v_mul_lo_u32 v9, v2, s28
	v_mul_lo_u32 v10, v1, s29
	v_mad_u64_u32 v[7:8], null, v1, s28, 0
	s_mul_i32 s0, s25, s8
	s_mul_hi_u32 s1, s24, s8
	v_add3_u32 v4, v4, v6, v5
	s_add_i32 s1, s1, s0
	s_mul_i32 s0, s24, s8
	v_add_co_u32 v5, s2, s6, v0
	v_add3_u32 v8, v8, v10, v9
	v_lshlrev_b64 v[3:4], 3, v[3:4]
	s_lshl_b64 s[0:1], s[0:1], 3
	v_add_co_ci_u32_e64 v6, null, s7, 0, s2
	v_lshlrev_b64 v[8:9], 3, v[7:8]
	s_add_u32 s0, s20, s0
	s_addc_u32 s1, s21, s1
	v_add_co_u32 v0, s0, s0, v3
	v_add_co_ci_u32_e64 v7, null, s1, v4, s0
	v_add_co_u32 v8, s0, s3, v8
	v_cmp_gt_i64_e32 vcc_lo, s[12:13], v[5:6]
	v_lshlrev_b64 v[3:4], 3, v[5:6]
	v_add_co_ci_u32_e64 v9, null, s4, v9, s0
	s_and_saveexec_b32 s1, vcc_lo
	s_cbranch_execz .LBB525_27
; %bb.26:
	v_add_co_u32 v16, s0, v0, v3
	v_add_co_ci_u32_e64 v17, null, v7, v4, s0
	v_mul_f32_e32 v10, s19, v21
	v_mul_f32_e32 v13, s18, v21
	global_load_dwordx2 v[16:17], v[16:17], off
	v_fma_f32 v10, v20, s18, -v10
	v_fmac_f32_e32 v13, s19, v20
	s_waitcnt vmcnt(0)
	v_mul_f32_e32 v21, s11, v17
	v_mul_f32_e32 v17, s10, v17
	v_fma_f32 v20, v16, s10, -v21
	v_fmac_f32_e32 v17, s11, v16
	v_add_f32_e32 v16, v10, v20
	v_add_co_u32 v20, s0, v8, v3
	v_add_f32_e32 v17, v13, v17
	v_add_co_ci_u32_e64 v21, null, v9, v4, s0
	global_store_dwordx2 v[20:21], v[16:17], off
.LBB525_27:
	s_or_b32 exec_lo, exec_lo, s1
	v_add_co_u32 v5, s0, v5, 16
	v_add_co_ci_u32_e64 v6, null, 0, v6, s0
	v_cmp_gt_i64_e64 s0, s[12:13], v[5:6]
	s_and_saveexec_b32 s2, s0
	s_cbranch_execz .LBB525_29
; %bb.28:
	v_add_co_u32 v5, s1, v0, v3
	v_add_co_ci_u32_e64 v6, null, v7, v4, s1
	v_mul_f32_e32 v10, s19, v19
	v_mul_f32_e32 v13, s18, v19
	global_load_dwordx2 v[5:6], v[5:6], off offset:128
	v_fma_f32 v10, v18, s18, -v10
	v_fmac_f32_e32 v13, s19, v18
	s_waitcnt vmcnt(0)
	v_mul_f32_e32 v16, s11, v6
	v_mul_f32_e32 v6, s10, v6
	v_fma_f32 v16, v5, s10, -v16
	v_fmac_f32_e32 v6, s11, v5
	v_add_f32_e32 v5, v10, v16
	v_add_co_u32 v16, s1, v8, v3
	v_add_f32_e32 v6, v13, v6
	v_add_co_ci_u32_e64 v17, null, v9, v4, s1
	global_store_dwordx2 v[16:17], v[5:6], off offset:128
.LBB525_29:
	s_or_b32 exec_lo, exec_lo, s2
	v_add_co_u32 v1, s1, v1, 16
	v_add_co_ci_u32_e64 v2, null, 0, v2, s1
	v_cmp_gt_i64_e64 s1, s[14:15], v[1:2]
	s_and_b32 exec_lo, exec_lo, s1
	s_cbranch_execz .LBB525_34
; %bb.30:
	s_lshl_b64 s[2:3], s[22:23], 7
	v_add_co_u32 v0, s1, v0, s2
	v_add_co_ci_u32_e64 v1, null, s3, v7, s1
	s_lshl_b64 s[2:3], s[28:29], 7
	v_add_co_u32 v2, s1, v8, s2
	v_add_co_ci_u32_e64 v7, null, s3, v9, s1
	v_add_co_u32 v5, s1, v0, v3
	v_add_co_ci_u32_e64 v6, null, v1, v4, s1
	;; [unrolled: 2-line block ×3, first 2 shown]
	s_and_saveexec_b32 s1, vcc_lo
	s_cbranch_execz .LBB525_32
; %bb.31:
	global_load_dwordx2 v[2:3], v[5:6], off
	v_mul_f32_e32 v4, s19, v15
	v_mul_f32_e32 v7, s18, v15
	v_fma_f32 v4, v14, s18, -v4
	v_fmac_f32_e32 v7, s19, v14
	s_waitcnt vmcnt(0)
	v_mul_f32_e32 v8, s11, v3
	v_mul_f32_e32 v3, s10, v3
	v_fma_f32 v8, v2, s10, -v8
	v_fmac_f32_e32 v3, s11, v2
	v_add_f32_e32 v2, v4, v8
	v_add_f32_e32 v3, v7, v3
	global_store_dwordx2 v[0:1], v[2:3], off
.LBB525_32:
	s_or_b32 exec_lo, exec_lo, s1
	s_and_b32 exec_lo, exec_lo, s0
	s_cbranch_execz .LBB525_34
; %bb.33:
	global_load_dwordx2 v[2:3], v[5:6], off offset:128
	v_mul_f32_e32 v4, s19, v12
	v_mul_f32_e32 v5, s18, v12
	v_fma_f32 v4, v11, s18, -v4
	v_fmac_f32_e32 v5, s19, v11
	s_waitcnt vmcnt(0)
	v_mul_f32_e32 v6, s11, v3
	v_mul_f32_e32 v3, s10, v3
	v_fma_f32 v6, v2, s10, -v6
	v_fmac_f32_e32 v3, s11, v2
	v_add_f32_e32 v2, v4, v6
	v_add_f32_e32 v3, v5, v3
	global_store_dwordx2 v[0:1], v[2:3], off offset:128
.LBB525_34:
	s_endpgm
	.section	.rodata,"a",@progbits
	.p2align	6, 0x0
	.amdhsa_kernel _ZN12_GLOBAL__N_135rocblas_gemm_batched_general_kernelI19rocblas_complex_numIfELi16ELi16ELi32ELi32ELi8ELi32ELi8ELi8ELi32ELc67ELc84EKS2_S3_S2_EEvlllT_PT11_llS6_llS4_PT12_llPT13_lli
		.amdhsa_group_segment_fixed_size 4096
		.amdhsa_private_segment_fixed_size 0
		.amdhsa_kernarg_size 140
		.amdhsa_user_sgpr_count 6
		.amdhsa_user_sgpr_private_segment_buffer 1
		.amdhsa_user_sgpr_dispatch_ptr 0
		.amdhsa_user_sgpr_queue_ptr 0
		.amdhsa_user_sgpr_kernarg_segment_ptr 1
		.amdhsa_user_sgpr_dispatch_id 0
		.amdhsa_user_sgpr_flat_scratch_init 0
		.amdhsa_user_sgpr_private_segment_size 0
		.amdhsa_wavefront_size32 1
		.amdhsa_uses_dynamic_stack 0
		.amdhsa_system_sgpr_private_segment_wavefront_offset 0
		.amdhsa_system_sgpr_workgroup_id_x 1
		.amdhsa_system_sgpr_workgroup_id_y 1
		.amdhsa_system_sgpr_workgroup_id_z 1
		.amdhsa_system_sgpr_workgroup_info 0
		.amdhsa_system_vgpr_workitem_id 1
		.amdhsa_next_free_vgpr 59
		.amdhsa_next_free_sgpr 36
		.amdhsa_reserve_vcc 1
		.amdhsa_reserve_flat_scratch 0
		.amdhsa_float_round_mode_32 0
		.amdhsa_float_round_mode_16_64 0
		.amdhsa_float_denorm_mode_32 3
		.amdhsa_float_denorm_mode_16_64 3
		.amdhsa_dx10_clamp 1
		.amdhsa_ieee_mode 1
		.amdhsa_fp16_overflow 0
		.amdhsa_workgroup_processor_mode 1
		.amdhsa_memory_ordered 1
		.amdhsa_forward_progress 1
		.amdhsa_shared_vgpr_count 0
		.amdhsa_exception_fp_ieee_invalid_op 0
		.amdhsa_exception_fp_denorm_src 0
		.amdhsa_exception_fp_ieee_div_zero 0
		.amdhsa_exception_fp_ieee_overflow 0
		.amdhsa_exception_fp_ieee_underflow 0
		.amdhsa_exception_fp_ieee_inexact 0
		.amdhsa_exception_int_div_zero 0
	.end_amdhsa_kernel
	.section	.text._ZN12_GLOBAL__N_135rocblas_gemm_batched_general_kernelI19rocblas_complex_numIfELi16ELi16ELi32ELi32ELi8ELi32ELi8ELi8ELi32ELc67ELc84EKS2_S3_S2_EEvlllT_PT11_llS6_llS4_PT12_llPT13_lli,"axG",@progbits,_ZN12_GLOBAL__N_135rocblas_gemm_batched_general_kernelI19rocblas_complex_numIfELi16ELi16ELi32ELi32ELi8ELi32ELi8ELi8ELi32ELc67ELc84EKS2_S3_S2_EEvlllT_PT11_llS6_llS4_PT12_llPT13_lli,comdat
.Lfunc_end525:
	.size	_ZN12_GLOBAL__N_135rocblas_gemm_batched_general_kernelI19rocblas_complex_numIfELi16ELi16ELi32ELi32ELi8ELi32ELi8ELi8ELi32ELc67ELc84EKS2_S3_S2_EEvlllT_PT11_llS6_llS4_PT12_llPT13_lli, .Lfunc_end525-_ZN12_GLOBAL__N_135rocblas_gemm_batched_general_kernelI19rocblas_complex_numIfELi16ELi16ELi32ELi32ELi8ELi32ELi8ELi8ELi32ELc67ELc84EKS2_S3_S2_EEvlllT_PT11_llS6_llS4_PT12_llPT13_lli
                                        ; -- End function
	.set _ZN12_GLOBAL__N_135rocblas_gemm_batched_general_kernelI19rocblas_complex_numIfELi16ELi16ELi32ELi32ELi8ELi32ELi8ELi8ELi32ELc67ELc84EKS2_S3_S2_EEvlllT_PT11_llS6_llS4_PT12_llPT13_lli.num_vgpr, 59
	.set _ZN12_GLOBAL__N_135rocblas_gemm_batched_general_kernelI19rocblas_complex_numIfELi16ELi16ELi32ELi32ELi8ELi32ELi8ELi8ELi32ELc67ELc84EKS2_S3_S2_EEvlllT_PT11_llS6_llS4_PT12_llPT13_lli.num_agpr, 0
	.set _ZN12_GLOBAL__N_135rocblas_gemm_batched_general_kernelI19rocblas_complex_numIfELi16ELi16ELi32ELi32ELi8ELi32ELi8ELi8ELi32ELc67ELc84EKS2_S3_S2_EEvlllT_PT11_llS6_llS4_PT12_llPT13_lli.numbered_sgpr, 36
	.set _ZN12_GLOBAL__N_135rocblas_gemm_batched_general_kernelI19rocblas_complex_numIfELi16ELi16ELi32ELi32ELi8ELi32ELi8ELi8ELi32ELc67ELc84EKS2_S3_S2_EEvlllT_PT11_llS6_llS4_PT12_llPT13_lli.num_named_barrier, 0
	.set _ZN12_GLOBAL__N_135rocblas_gemm_batched_general_kernelI19rocblas_complex_numIfELi16ELi16ELi32ELi32ELi8ELi32ELi8ELi8ELi32ELc67ELc84EKS2_S3_S2_EEvlllT_PT11_llS6_llS4_PT12_llPT13_lli.private_seg_size, 0
	.set _ZN12_GLOBAL__N_135rocblas_gemm_batched_general_kernelI19rocblas_complex_numIfELi16ELi16ELi32ELi32ELi8ELi32ELi8ELi8ELi32ELc67ELc84EKS2_S3_S2_EEvlllT_PT11_llS6_llS4_PT12_llPT13_lli.uses_vcc, 1
	.set _ZN12_GLOBAL__N_135rocblas_gemm_batched_general_kernelI19rocblas_complex_numIfELi16ELi16ELi32ELi32ELi8ELi32ELi8ELi8ELi32ELc67ELc84EKS2_S3_S2_EEvlllT_PT11_llS6_llS4_PT12_llPT13_lli.uses_flat_scratch, 0
	.set _ZN12_GLOBAL__N_135rocblas_gemm_batched_general_kernelI19rocblas_complex_numIfELi16ELi16ELi32ELi32ELi8ELi32ELi8ELi8ELi32ELc67ELc84EKS2_S3_S2_EEvlllT_PT11_llS6_llS4_PT12_llPT13_lli.has_dyn_sized_stack, 0
	.set _ZN12_GLOBAL__N_135rocblas_gemm_batched_general_kernelI19rocblas_complex_numIfELi16ELi16ELi32ELi32ELi8ELi32ELi8ELi8ELi32ELc67ELc84EKS2_S3_S2_EEvlllT_PT11_llS6_llS4_PT12_llPT13_lli.has_recursion, 0
	.set _ZN12_GLOBAL__N_135rocblas_gemm_batched_general_kernelI19rocblas_complex_numIfELi16ELi16ELi32ELi32ELi8ELi32ELi8ELi8ELi32ELc67ELc84EKS2_S3_S2_EEvlllT_PT11_llS6_llS4_PT12_llPT13_lli.has_indirect_call, 0
	.section	.AMDGPU.csdata,"",@progbits
; Kernel info:
; codeLenInByte = 3024
; TotalNumSgprs: 38
; NumVgprs: 59
; ScratchSize: 0
; MemoryBound: 1
; FloatMode: 240
; IeeeMode: 1
; LDSByteSize: 4096 bytes/workgroup (compile time only)
; SGPRBlocks: 0
; VGPRBlocks: 7
; NumSGPRsForWavesPerEU: 38
; NumVGPRsForWavesPerEU: 59
; Occupancy: 16
; WaveLimiterHint : 1
; COMPUTE_PGM_RSRC2:SCRATCH_EN: 0
; COMPUTE_PGM_RSRC2:USER_SGPR: 6
; COMPUTE_PGM_RSRC2:TRAP_HANDLER: 0
; COMPUTE_PGM_RSRC2:TGID_X_EN: 1
; COMPUTE_PGM_RSRC2:TGID_Y_EN: 1
; COMPUTE_PGM_RSRC2:TGID_Z_EN: 1
; COMPUTE_PGM_RSRC2:TIDIG_COMP_CNT: 1
	.section	.text._ZN12_GLOBAL__N_135rocblas_gemm_batched_general_kernelI19rocblas_complex_numIfELi16ELi16ELi32ELi32ELi8ELi32ELi8ELi8ELi32ELc78ELc67EKS2_S3_S2_EEvlllT_PT11_llS6_llS4_PT12_llPT13_lli,"axG",@progbits,_ZN12_GLOBAL__N_135rocblas_gemm_batched_general_kernelI19rocblas_complex_numIfELi16ELi16ELi32ELi32ELi8ELi32ELi8ELi8ELi32ELc78ELc67EKS2_S3_S2_EEvlllT_PT11_llS6_llS4_PT12_llPT13_lli,comdat
	.globl	_ZN12_GLOBAL__N_135rocblas_gemm_batched_general_kernelI19rocblas_complex_numIfELi16ELi16ELi32ELi32ELi8ELi32ELi8ELi8ELi32ELc78ELc67EKS2_S3_S2_EEvlllT_PT11_llS6_llS4_PT12_llPT13_lli ; -- Begin function _ZN12_GLOBAL__N_135rocblas_gemm_batched_general_kernelI19rocblas_complex_numIfELi16ELi16ELi32ELi32ELi8ELi32ELi8ELi8ELi32ELc78ELc67EKS2_S3_S2_EEvlllT_PT11_llS6_llS4_PT12_llPT13_lli
	.p2align	8
	.type	_ZN12_GLOBAL__N_135rocblas_gemm_batched_general_kernelI19rocblas_complex_numIfELi16ELi16ELi32ELi32ELi8ELi32ELi8ELi8ELi32ELc78ELc67EKS2_S3_S2_EEvlllT_PT11_llS6_llS4_PT12_llPT13_lli,@function
_ZN12_GLOBAL__N_135rocblas_gemm_batched_general_kernelI19rocblas_complex_numIfELi16ELi16ELi32ELi32ELi8ELi32ELi8ELi8ELi32ELc78ELc67EKS2_S3_S2_EEvlllT_PT11_llS6_llS4_PT12_llPT13_lli: ; @_ZN12_GLOBAL__N_135rocblas_gemm_batched_general_kernelI19rocblas_complex_numIfELi16ELi16ELi32ELi32ELi8ELi32ELi8ELi8ELi32ELc78ELc67EKS2_S3_S2_EEvlllT_PT11_llS6_llS4_PT12_llPT13_lli
; %bb.0:
	s_clause 0x1
	s_load_dwordx16 s[12:27], s[4:5], 0x0
	s_load_dwordx2 s[10:11], s[4:5], 0x50
	s_mov_b32 s0, s7
	v_mov_b32_e32 v20, 0
	v_mov_b32_e32 v21, 0
	;; [unrolled: 1-line block ×8, first 2 shown]
	s_ashr_i32 s7, s6, 31
	s_ashr_i32 s1, s0, 31
	s_lshl_b64 s[34:35], s[6:7], 5
	s_waitcnt lgkmcnt(0)
	v_cmp_lt_i64_e64 s2, s[16:17], 1
	s_and_b32 vcc_lo, exec_lo, s2
	s_lshl_b64 s[2:3], s[0:1], 5
	s_cbranch_vccnz .LBB526_11
; %bb.1:
	s_load_dwordx4 s[28:31], s[4:5], 0x40
	v_lshl_add_u32 v3, v1, 4, v0
	v_and_b32_e32 v8, 7, v0
	v_mov_b32_e32 v4, s35
	s_lshl_b64 s[36:37], s[0:1], 8
	s_mul_i32 s9, s25, s8
	v_and_b32_e32 v7, 31, v3
	v_lshrrev_b32_e32 v13, 5, v3
	v_lshrrev_b32_e32 v14, 3, v3
	v_and_b32_e32 v20, 0x1ff8, v3
	s_mul_hi_u32 s25, s24, s8
	v_or_b32_e32 v3, s34, v7
	v_lshlrev_b32_e32 v7, 3, v7
	v_mad_u64_u32 v[11:12], null, s22, v13, 0
	v_add_co_u32 v16, s0, v14, s2
	v_cmp_gt_i64_e32 vcc_lo, s[12:13], v[3:4]
	v_add_co_ci_u32_e64 v17, null, 0, s3, s0
	s_waitcnt lgkmcnt(0)
	v_mad_u64_u32 v[5:6], null, s28, v8, 0
	s_mul_i32 s1, s31, s8
	s_mul_hi_u32 s31, s30, s8
	s_mul_i32 s0, s30, s8
	s_add_i32 s1, s31, s1
	s_mul_i32 s24, s24, s8
	s_lshl_b64 s[30:31], s[0:1], 3
	v_mad_u64_u32 v[3:4], null, s29, v8, v[6:7]
	v_mov_b32_e32 v4, v12
	s_add_u32 s1, s36, s30
	s_addc_u32 s30, s37, s31
	s_add_i32 s25, s25, s9
	v_lshlrev_b32_e32 v15, 3, v8
	v_mad_u64_u32 v[18:19], null, s23, v13, v[4:5]
	v_mov_b32_e32 v6, v3
	s_lshl_b64 s[24:25], s[24:25], 3
	v_lshl_or_b32 v14, v14, 6, v15
	v_lshl_or_b32 v15, v13, 8, v7
	v_cmp_gt_i64_e64 s0, s[14:15], v[16:17]
	v_lshlrev_b64 v[3:4], 3, v[5:6]
	v_mov_b32_e32 v12, v18
	v_mov_b32_e32 v2, 0
	v_lshlrev_b32_e32 v9, 3, v0
	v_lshl_add_u32 v10, v1, 6, 0x800
	v_add_nc_u32_e32 v17, 0x800, v14
	v_add_co_u32 v5, s1, s1, v3
	v_add_co_ci_u32_e64 v6, null, s30, v4, s1
	v_lshlrev_b64 v[3:4], 3, v[11:12]
	v_add_co_u32 v5, s1, v5, v20
	s_lshl_b64 s[30:31], s[6:7], 8
	s_lshl_b64 s[6:7], s[28:29], 6
	v_add_co_ci_u32_e64 v6, null, 0, v6, s1
	s_add_u32 s1, s30, s24
	s_addc_u32 s9, s31, s25
	v_add_co_u32 v3, s1, s1, v3
	v_add_co_ci_u32_e64 v4, null, s9, v4, s1
	v_add_co_u32 v5, s1, s26, v5
	v_add_co_ci_u32_e64 v6, null, s27, v6, s1
	;; [unrolled: 2-line block ×5, first 2 shown]
	v_mov_b32_e32 v12, 0
	v_mov_b32_e32 v11, 0
	;; [unrolled: 1-line block ×8, first 2 shown]
	s_lshl_b64 s[20:21], s[22:23], 6
	s_mov_b64 s[22:23], 0
	s_xor_b32 s1, vcc_lo, -1
	s_xor_b32 s0, s0, -1
	s_branch .LBB526_3
.LBB526_2:                              ;   in Loop: Header=BB526_3 Depth=1
	s_or_b32 exec_lo, exec_lo, s9
	ds_write_b32 v17, v3 offset:4
	s_waitcnt lgkmcnt(0)
	s_barrier
	buffer_gl0_inv
	ds_read_b128 v[22:25], v10
	ds_read2_b64 v[26:29], v9 offset1:16
	ds_read_b128 v[30:33], v10 offset:1024
	ds_read_b128 v[34:37], v10 offset:16
	;; [unrolled: 1-line block ×4, first 2 shown]
	ds_read2_b64 v[46:49], v9 offset0:32 offset1:48
	ds_read_b128 v[50:53], v10 offset:1040
	s_add_u32 s22, s22, 8
	s_addc_u32 s23, s23, 0
	v_add_co_u32 v4, vcc_lo, v4, s6
	v_cmp_lt_i64_e64 s9, s[22:23], s[16:17]
	v_add_co_ci_u32_e64 v5, null, s7, v5, vcc_lo
	v_add_co_u32 v6, vcc_lo, v6, s20
	v_add_co_ci_u32_e64 v7, null, s21, v7, vcc_lo
	s_and_b32 vcc_lo, exec_lo, s9
	s_waitcnt lgkmcnt(6)
	v_mul_f32_e32 v3, v23, v27
	v_mul_f32_e32 v54, v22, v27
	v_mul_f32_e32 v55, v23, v29
	v_mul_f32_e32 v56, v22, v29
	s_waitcnt lgkmcnt(5)
	v_mul_f32_e32 v57, v31, v27
	v_mul_f32_e32 v27, v30, v27
	;; [unrolled: 1-line block ×3, first 2 shown]
	v_fma_f32 v3, v22, v26, -v3
	v_fmac_f32_e32 v54, v23, v26
	v_fma_f32 v22, v22, v28, -v55
	v_fmac_f32_e32 v56, v23, v28
	v_fma_f32 v23, v30, v26, -v57
	v_mul_f32_e32 v29, v30, v29
	v_fmac_f32_e32 v27, v31, v26
	v_fma_f32 v26, v30, v28, -v58
	v_add_f32_e32 v3, v20, v3
	v_add_f32_e32 v30, v21, v54
	;; [unrolled: 1-line block ×5, first 2 shown]
	s_waitcnt lgkmcnt(1)
	v_mul_f32_e32 v23, v25, v47
	ds_read2_b64 v[18:21], v9 offset0:64 offset1:80
	v_add_f32_e32 v16, v16, v27
	v_mul_f32_e32 v27, v25, v49
	v_fmac_f32_e32 v29, v31, v28
	v_fma_f32 v23, v24, v46, -v23
	v_add_f32_e32 v11, v11, v26
	v_mul_f32_e32 v26, v24, v47
	v_mul_f32_e32 v28, v24, v49
	v_add_f32_e32 v12, v12, v29
	v_add_f32_e32 v3, v3, v23
	v_fma_f32 v23, v24, v48, -v27
	v_mul_f32_e32 v24, v33, v47
	v_fmac_f32_e32 v26, v25, v46
	v_fmac_f32_e32 v28, v25, v48
	v_mul_f32_e32 v25, v32, v47
	v_add_f32_e32 v27, v22, v23
	v_fma_f32 v22, v32, v46, -v24
	v_mul_f32_e32 v23, v33, v49
	v_add_f32_e32 v26, v30, v26
	v_fmac_f32_e32 v25, v33, v46
	v_mul_f32_e32 v29, v32, v49
	v_add_f32_e32 v14, v14, v22
	v_fma_f32 v22, v32, v48, -v23
	s_waitcnt lgkmcnt(0)
	v_mul_f32_e32 v23, v35, v19
	v_mul_f32_e32 v30, v34, v19
	;; [unrolled: 1-line block ×3, first 2 shown]
	v_add_f32_e32 v16, v16, v25
	v_add_f32_e32 v11, v11, v22
	v_fma_f32 v31, v34, v18, -v23
	ds_read2_b64 v[22:25], v9 offset0:96 offset1:112
	v_fmac_f32_e32 v30, v35, v18
	v_fmac_f32_e32 v29, v33, v48
	v_add_f32_e32 v28, v54, v28
	v_add_f32_e32 v3, v3, v31
	v_fma_f32 v31, v34, v20, -v32
	v_add_f32_e32 v26, v26, v30
	v_mul_f32_e32 v30, v51, v19
	v_mul_f32_e32 v19, v50, v19
	v_add_f32_e32 v12, v12, v29
	v_add_f32_e32 v27, v27, v31
	v_mul_f32_e32 v31, v51, v21
	v_mul_f32_e32 v29, v34, v21
	v_fma_f32 v30, v50, v18, -v30
	v_fmac_f32_e32 v19, v51, v18
	v_mul_f32_e32 v32, v50, v21
	v_fma_f32 v18, v50, v20, -v31
	v_fmac_f32_e32 v29, v35, v20
	v_add_f32_e32 v14, v14, v30
	v_add_f32_e32 v16, v16, v19
	v_fmac_f32_e32 v32, v51, v20
	v_add_f32_e32 v11, v11, v18
	ds_read2_b64 v[18:21], v9 offset0:128 offset1:144
	v_add_f32_e32 v33, v28, v29
	s_waitcnt lgkmcnt(1)
	v_mul_f32_e32 v28, v37, v23
	v_mul_f32_e32 v29, v36, v23
	v_mul_f32_e32 v30, v37, v25
	v_mul_f32_e32 v31, v36, v25
	v_add_f32_e32 v12, v12, v32
	v_fma_f32 v28, v36, v22, -v28
	v_fmac_f32_e32 v29, v37, v22
	v_fma_f32 v30, v36, v24, -v30
	v_fmac_f32_e32 v31, v37, v24
	v_mul_f32_e32 v32, v53, v25
	v_add_f32_e32 v3, v3, v28
	v_mul_f32_e32 v28, v53, v23
	v_mul_f32_e32 v23, v52, v23
	v_add_f32_e32 v34, v26, v29
	v_add_f32_e32 v35, v27, v30
	;; [unrolled: 1-line block ×3, first 2 shown]
	v_fma_f32 v30, v52, v22, -v28
	ds_read_b128 v[26:29], v10 offset:1056
	v_fmac_f32_e32 v23, v53, v22
	v_mul_f32_e32 v31, v52, v25
	v_fma_f32 v22, v52, v24, -v32
	s_waitcnt lgkmcnt(1)
	v_mul_f32_e32 v25, v39, v19
	v_add_f32_e32 v14, v14, v30
	v_add_f32_e32 v16, v16, v23
	v_fmac_f32_e32 v31, v53, v24
	v_add_f32_e32 v11, v11, v22
	v_fma_f32 v30, v38, v18, -v25
	ds_read2_b64 v[22:25], v9 offset0:160 offset1:176
	v_mul_f32_e32 v32, v39, v21
	v_mul_f32_e32 v37, v38, v19
	;; [unrolled: 1-line block ×3, first 2 shown]
	v_add_f32_e32 v12, v12, v31
	v_add_f32_e32 v3, v3, v30
	v_fma_f32 v38, v38, v20, -v32
	v_fmac_f32_e32 v37, v39, v18
	ds_read_b128 v[30:33], v10 offset:1072
	v_fmac_f32_e32 v46, v39, v20
	s_waitcnt lgkmcnt(2)
	v_mul_f32_e32 v47, v27, v19
	v_mul_f32_e32 v19, v26, v19
	v_add_f32_e32 v35, v35, v38
	v_mul_f32_e32 v38, v27, v21
	v_add_f32_e32 v34, v34, v37
	v_fma_f32 v37, v26, v18, -v47
	v_fmac_f32_e32 v19, v27, v18
	v_mul_f32_e32 v39, v26, v21
	v_fma_f32 v18, v26, v20, -v38
	v_add_f32_e32 v36, v36, v46
	s_waitcnt lgkmcnt(1)
	v_mul_f32_e32 v21, v41, v23
	v_add_f32_e32 v14, v14, v37
	v_add_f32_e32 v16, v16, v19
	v_fmac_f32_e32 v39, v27, v20
	v_mul_f32_e32 v26, v40, v23
	v_add_f32_e32 v11, v11, v18
	v_fma_f32 v27, v40, v22, -v21
	ds_read2_b64 v[18:21], v9 offset0:192 offset1:208
	v_mul_f32_e32 v37, v41, v25
	v_fmac_f32_e32 v26, v41, v22
	v_add_f32_e32 v12, v12, v39
	v_add_f32_e32 v3, v3, v27
	v_mul_f32_e32 v27, v40, v25
	v_fma_f32 v37, v40, v24, -v37
	v_add_f32_e32 v26, v34, v26
	v_mul_f32_e32 v34, v29, v23
	v_mul_f32_e32 v23, v28, v23
	v_fmac_f32_e32 v27, v41, v24
	v_add_f32_e32 v35, v35, v37
	v_mul_f32_e32 v37, v29, v25
	v_fma_f32 v34, v28, v22, -v34
	v_fmac_f32_e32 v23, v29, v22
	v_add_f32_e32 v27, v36, v27
	v_mul_f32_e32 v36, v28, v25
	v_fma_f32 v22, v28, v24, -v37
	v_add_f32_e32 v14, v14, v34
	v_add_f32_e32 v16, v16, v23
	s_waitcnt lgkmcnt(0)
	v_mul_f32_e32 v28, v43, v19
	v_fmac_f32_e32 v36, v29, v24
	v_add_f32_e32 v11, v11, v22
	ds_read2_b64 v[22:25], v9 offset0:224 offset1:240
	v_mul_f32_e32 v29, v42, v19
	v_fma_f32 v28, v42, v18, -v28
	v_mul_f32_e32 v34, v43, v21
	v_add_f32_e32 v12, v12, v36
	v_mul_f32_e32 v36, v42, v21
	v_fmac_f32_e32 v29, v43, v18
	v_add_f32_e32 v3, v3, v28
	v_mul_f32_e32 v28, v31, v19
	v_fma_f32 v34, v42, v20, -v34
	v_mul_f32_e32 v19, v30, v19
	v_add_f32_e32 v26, v26, v29
	v_fmac_f32_e32 v36, v43, v20
	v_fma_f32 v28, v30, v18, -v28
	v_add_f32_e32 v29, v35, v34
	v_mul_f32_e32 v34, v31, v21
	v_fmac_f32_e32 v19, v31, v18
	v_mul_f32_e32 v18, v30, v21
	v_add_f32_e32 v14, v14, v28
	v_add_f32_e32 v27, v27, v36
	v_fma_f32 v21, v30, v20, -v34
	s_waitcnt lgkmcnt(0)
	v_mul_f32_e32 v28, v45, v23
	v_mul_f32_e32 v30, v44, v23
	v_add_f32_e32 v16, v16, v19
	v_fmac_f32_e32 v18, v31, v20
	v_add_f32_e32 v11, v11, v21
	v_fma_f32 v19, v44, v22, -v28
	v_fmac_f32_e32 v30, v45, v22
	v_mul_f32_e32 v28, v45, v25
	v_mul_f32_e32 v31, v44, v25
	v_add_f32_e32 v12, v12, v18
	v_add_f32_e32 v20, v3, v19
	v_add_f32_e32 v21, v26, v30
	v_fma_f32 v3, v44, v24, -v28
	v_mul_f32_e32 v19, v33, v23
	v_mul_f32_e32 v23, v32, v23
	;; [unrolled: 1-line block ×4, first 2 shown]
	v_fmac_f32_e32 v31, v45, v24
	v_add_f32_e32 v18, v29, v3
	v_fma_f32 v3, v32, v22, -v19
	v_fmac_f32_e32 v23, v33, v22
	v_fma_f32 v22, v32, v24, -v26
	v_fmac_f32_e32 v25, v33, v24
	v_add_f32_e32 v19, v27, v31
	v_add_f32_e32 v14, v14, v3
	;; [unrolled: 1-line block ×5, first 2 shown]
	s_barrier
	buffer_gl0_inv
	s_cbranch_vccz .LBB526_11
.LBB526_3:                              ; =>This Inner Loop Header: Depth=1
	v_add_co_u32 v22, s9, v13, s22
	v_add_co_ci_u32_e64 v23, null, 0, s23, s9
	v_cmp_le_i64_e32 vcc_lo, s[16:17], v[22:23]
	s_or_b32 s9, s1, vcc_lo
	s_and_saveexec_b32 s24, s9
	s_xor_b32 s9, exec_lo, s24
; %bb.4:                                ;   in Loop: Header=BB526_3 Depth=1
	v_mov_b32_e32 v3, v2
	ds_write_b64 v15, v[2:3]
; %bb.5:                                ;   in Loop: Header=BB526_3 Depth=1
	s_andn2_saveexec_b32 s9, s9
	s_cbranch_execz .LBB526_7
; %bb.6:                                ;   in Loop: Header=BB526_3 Depth=1
	global_load_dwordx2 v[22:23], v[6:7], off
	s_waitcnt vmcnt(0)
	ds_write_b64 v15, v[22:23]
.LBB526_7:                              ;   in Loop: Header=BB526_3 Depth=1
	s_or_b32 exec_lo, exec_lo, s9
	v_add_co_u32 v22, s9, v8, s22
	v_add_co_ci_u32_e64 v23, null, 0, s23, s9
	v_cmp_le_i64_e32 vcc_lo, s[16:17], v[22:23]
	s_or_b32 s9, vcc_lo, s0
	s_and_saveexec_b32 s24, s9
	s_xor_b32 s9, exec_lo, s24
; %bb.8:                                ;   in Loop: Header=BB526_3 Depth=1
	ds_write_b32 v17, v2
; %bb.9:                                ;   in Loop: Header=BB526_3 Depth=1
	s_or_saveexec_b32 s9, s9
	v_mov_b32_e32 v3, 0
	s_xor_b32 exec_lo, exec_lo, s9
	s_cbranch_execz .LBB526_2
; %bb.10:                               ;   in Loop: Header=BB526_3 Depth=1
	global_load_dwordx2 v[22:23], v[4:5], off offset:-4
	s_waitcnt vmcnt(0)
	v_xor_b32_e32 v3, 0x80000000, v23
	ds_write_b32 v17, v22
	s_branch .LBB526_2
.LBB526_11:
	s_clause 0x1
	s_load_dwordx4 s[28:31], s[4:5], 0x78
	s_load_dwordx8 s[20:27], s[4:5], 0x58
	v_add_co_u32 v1, s2, s2, v1
	v_add_co_ci_u32_e64 v2, null, s3, 0, s2
	s_waitcnt lgkmcnt(0)
	s_mul_i32 s1, s31, s8
	s_mul_hi_u32 s4, s30, s8
	s_mul_i32 s0, s30, s8
	s_add_i32 s1, s4, s1
	s_lshl_b64 s[0:1], s[0:1], 3
	s_add_u32 s3, s26, s0
	s_addc_u32 s4, s27, s1
	s_or_b32 s1, s10, s11
	v_cmp_gt_i64_e64 s0, s[14:15], v[1:2]
	s_bitset0_b32 s1, 31
	s_cmp_lg_u32 s1, 0
	s_mov_b32 s1, -1
	s_cbranch_scc1 .LBB526_23
; %bb.12:
	s_and_saveexec_b32 s5, s0
	s_cbranch_execz .LBB526_22
; %bb.13:
	v_mul_lo_u32 v5, v2, s28
	v_mul_lo_u32 v6, v1, s29
	v_mad_u64_u32 v[3:4], null, v1, s28, 0
	v_add3_u32 v4, v4, v6, v5
	v_add_co_u32 v5, s1, s34, v0
	v_add_co_ci_u32_e64 v6, null, s35, 0, s1
	v_lshlrev_b64 v[7:8], 3, v[3:4]
	v_cmp_gt_i64_e32 vcc_lo, s[12:13], v[5:6]
	v_lshlrev_b64 v[3:4], 3, v[5:6]
	v_add_co_u32 v7, s1, s3, v7
	v_add_co_ci_u32_e64 v8, null, s4, v8, s1
	s_and_saveexec_b32 s2, vcc_lo
	s_cbranch_execz .LBB526_15
; %bb.14:
	v_mul_f32_e32 v9, s19, v21
	v_mul_f32_e32 v10, s18, v21
	v_add_co_u32 v22, s1, v7, v3
	v_add_co_ci_u32_e64 v23, null, v8, v4, s1
	v_fma_f32 v9, v20, s18, -v9
	v_fmac_f32_e32 v10, s19, v20
	global_store_dwordx2 v[22:23], v[9:10], off
.LBB526_15:
	s_or_b32 exec_lo, exec_lo, s2
	v_add_co_u32 v5, s1, v5, 16
	v_add_co_ci_u32_e64 v6, null, 0, v6, s1
	v_cmp_gt_i64_e64 s1, s[12:13], v[5:6]
	s_and_saveexec_b32 s6, s1
	s_cbranch_execz .LBB526_17
; %bb.16:
	v_mul_f32_e32 v5, s19, v19
	v_mul_f32_e32 v6, s18, v19
	v_add_co_u32 v9, s2, v7, v3
	v_add_co_ci_u32_e64 v10, null, v8, v4, s2
	v_fma_f32 v5, v18, s18, -v5
	v_fmac_f32_e32 v6, s19, v18
	global_store_dwordx2 v[9:10], v[5:6], off offset:128
.LBB526_17:
	s_or_b32 exec_lo, exec_lo, s6
	v_add_co_u32 v5, s2, v1, 16
	v_add_co_ci_u32_e64 v6, null, 0, v2, s2
	v_cmp_gt_i64_e64 s2, s[14:15], v[5:6]
	s_and_b32 exec_lo, exec_lo, s2
	s_cbranch_execz .LBB526_22
; %bb.18:
	s_lshl_b64 s[6:7], s[28:29], 7
	v_add_co_u32 v5, s2, v7, s6
	v_add_co_ci_u32_e64 v6, null, s7, v8, s2
	v_add_co_u32 v3, s2, v5, v3
	v_add_co_ci_u32_e64 v4, null, v6, v4, s2
	s_and_saveexec_b32 s2, vcc_lo
	s_cbranch_execz .LBB526_20
; %bb.19:
	v_mul_f32_e32 v5, s19, v16
	v_mul_f32_e32 v6, s18, v16
	v_fma_f32 v5, v14, s18, -v5
	v_fmac_f32_e32 v6, s19, v14
	global_store_dwordx2 v[3:4], v[5:6], off
.LBB526_20:
	s_or_b32 exec_lo, exec_lo, s2
	s_and_b32 exec_lo, exec_lo, s1
	s_cbranch_execz .LBB526_22
; %bb.21:
	v_mul_f32_e32 v5, s19, v12
	v_mul_f32_e32 v6, s18, v12
	v_fma_f32 v5, v11, s18, -v5
	v_fmac_f32_e32 v6, s19, v11
	global_store_dwordx2 v[3:4], v[5:6], off offset:128
.LBB526_22:
	s_or_b32 exec_lo, exec_lo, s5
	s_mov_b32 s1, 0
.LBB526_23:
	s_andn2_b32 vcc_lo, exec_lo, s1
	s_cbranch_vccnz .LBB526_34
; %bb.24:
	s_and_saveexec_b32 s1, s0
	s_cbranch_execz .LBB526_34
; %bb.25:
	v_mul_lo_u32 v5, v2, s22
	v_mul_lo_u32 v6, v1, s23
	v_mad_u64_u32 v[3:4], null, v1, s22, 0
	v_mul_lo_u32 v9, v2, s28
	v_mul_lo_u32 v10, v1, s29
	v_mad_u64_u32 v[7:8], null, v1, s28, 0
	s_mul_i32 s0, s25, s8
	s_mul_hi_u32 s1, s24, s8
	v_add3_u32 v4, v4, v6, v5
	s_add_i32 s1, s1, s0
	s_mul_i32 s0, s24, s8
	v_add_co_u32 v5, s2, s34, v0
	v_add3_u32 v8, v8, v10, v9
	v_lshlrev_b64 v[3:4], 3, v[3:4]
	s_lshl_b64 s[0:1], s[0:1], 3
	v_add_co_ci_u32_e64 v6, null, s35, 0, s2
	v_lshlrev_b64 v[8:9], 3, v[7:8]
	s_add_u32 s0, s20, s0
	s_addc_u32 s1, s21, s1
	v_add_co_u32 v0, s0, s0, v3
	v_add_co_ci_u32_e64 v7, null, s1, v4, s0
	v_add_co_u32 v8, s0, s3, v8
	v_cmp_gt_i64_e32 vcc_lo, s[12:13], v[5:6]
	v_lshlrev_b64 v[3:4], 3, v[5:6]
	v_add_co_ci_u32_e64 v9, null, s4, v9, s0
	s_and_saveexec_b32 s1, vcc_lo
	s_cbranch_execz .LBB526_27
; %bb.26:
	v_add_co_u32 v22, s0, v0, v3
	v_add_co_ci_u32_e64 v23, null, v7, v4, s0
	v_mul_f32_e32 v10, s19, v21
	v_mul_f32_e32 v13, s18, v21
	global_load_dwordx2 v[22:23], v[22:23], off
	v_fma_f32 v10, v20, s18, -v10
	v_fmac_f32_e32 v13, s19, v20
	s_waitcnt vmcnt(0)
	v_mul_f32_e32 v15, s11, v23
	v_mul_f32_e32 v17, s10, v23
	v_fma_f32 v15, v22, s10, -v15
	v_fmac_f32_e32 v17, s11, v22
	v_add_co_u32 v22, s0, v8, v3
	v_add_co_ci_u32_e64 v23, null, v9, v4, s0
	v_add_f32_e32 v20, v10, v15
	v_add_f32_e32 v21, v13, v17
	global_store_dwordx2 v[22:23], v[20:21], off
.LBB526_27:
	s_or_b32 exec_lo, exec_lo, s1
	v_add_co_u32 v5, s0, v5, 16
	v_add_co_ci_u32_e64 v6, null, 0, v6, s0
	v_cmp_gt_i64_e64 s0, s[12:13], v[5:6]
	s_and_saveexec_b32 s2, s0
	s_cbranch_execz .LBB526_29
; %bb.28:
	v_add_co_u32 v5, s1, v0, v3
	v_add_co_ci_u32_e64 v6, null, v7, v4, s1
	v_mul_f32_e32 v10, s19, v19
	v_mul_f32_e32 v13, s18, v19
	v_add_co_u32 v17, s1, v8, v3
	global_load_dwordx2 v[5:6], v[5:6], off offset:128
	v_fma_f32 v10, v18, s18, -v10
	v_fmac_f32_e32 v13, s19, v18
	v_add_co_ci_u32_e64 v18, null, v9, v4, s1
	s_waitcnt vmcnt(0)
	v_mul_f32_e32 v15, s11, v6
	v_mul_f32_e32 v6, s10, v6
	v_fma_f32 v15, v5, s10, -v15
	v_fmac_f32_e32 v6, s11, v5
	v_add_f32_e32 v5, v10, v15
	v_add_f32_e32 v6, v13, v6
	global_store_dwordx2 v[17:18], v[5:6], off offset:128
.LBB526_29:
	s_or_b32 exec_lo, exec_lo, s2
	v_add_co_u32 v1, s1, v1, 16
	v_add_co_ci_u32_e64 v2, null, 0, v2, s1
	v_cmp_gt_i64_e64 s1, s[14:15], v[1:2]
	s_and_b32 exec_lo, exec_lo, s1
	s_cbranch_execz .LBB526_34
; %bb.30:
	s_lshl_b64 s[2:3], s[22:23], 7
	v_add_co_u32 v0, s1, v0, s2
	v_add_co_ci_u32_e64 v1, null, s3, v7, s1
	s_lshl_b64 s[2:3], s[28:29], 7
	v_add_co_u32 v2, s1, v8, s2
	v_add_co_ci_u32_e64 v7, null, s3, v9, s1
	v_add_co_u32 v5, s1, v0, v3
	v_add_co_ci_u32_e64 v6, null, v1, v4, s1
	;; [unrolled: 2-line block ×3, first 2 shown]
	s_and_saveexec_b32 s1, vcc_lo
	s_cbranch_execz .LBB526_32
; %bb.31:
	global_load_dwordx2 v[2:3], v[5:6], off
	v_mul_f32_e32 v4, s19, v16
	v_mul_f32_e32 v7, s18, v16
	v_fma_f32 v4, v14, s18, -v4
	v_fmac_f32_e32 v7, s19, v14
	s_waitcnt vmcnt(0)
	v_mul_f32_e32 v8, s11, v3
	v_mul_f32_e32 v3, s10, v3
	v_fma_f32 v8, v2, s10, -v8
	v_fmac_f32_e32 v3, s11, v2
	v_add_f32_e32 v2, v4, v8
	v_add_f32_e32 v3, v7, v3
	global_store_dwordx2 v[0:1], v[2:3], off
.LBB526_32:
	s_or_b32 exec_lo, exec_lo, s1
	s_and_b32 exec_lo, exec_lo, s0
	s_cbranch_execz .LBB526_34
; %bb.33:
	global_load_dwordx2 v[2:3], v[5:6], off offset:128
	v_mul_f32_e32 v4, s19, v12
	v_mul_f32_e32 v5, s18, v12
	v_fma_f32 v4, v11, s18, -v4
	v_fmac_f32_e32 v5, s19, v11
	s_waitcnt vmcnt(0)
	v_mul_f32_e32 v6, s11, v3
	v_mul_f32_e32 v3, s10, v3
	v_fma_f32 v6, v2, s10, -v6
	v_fmac_f32_e32 v3, s11, v2
	v_add_f32_e32 v2, v4, v6
	v_add_f32_e32 v3, v5, v3
	global_store_dwordx2 v[0:1], v[2:3], off offset:128
.LBB526_34:
	s_endpgm
	.section	.rodata,"a",@progbits
	.p2align	6, 0x0
	.amdhsa_kernel _ZN12_GLOBAL__N_135rocblas_gemm_batched_general_kernelI19rocblas_complex_numIfELi16ELi16ELi32ELi32ELi8ELi32ELi8ELi8ELi32ELc78ELc67EKS2_S3_S2_EEvlllT_PT11_llS6_llS4_PT12_llPT13_lli
		.amdhsa_group_segment_fixed_size 4096
		.amdhsa_private_segment_fixed_size 0
		.amdhsa_kernarg_size 140
		.amdhsa_user_sgpr_count 6
		.amdhsa_user_sgpr_private_segment_buffer 1
		.amdhsa_user_sgpr_dispatch_ptr 0
		.amdhsa_user_sgpr_queue_ptr 0
		.amdhsa_user_sgpr_kernarg_segment_ptr 1
		.amdhsa_user_sgpr_dispatch_id 0
		.amdhsa_user_sgpr_flat_scratch_init 0
		.amdhsa_user_sgpr_private_segment_size 0
		.amdhsa_wavefront_size32 1
		.amdhsa_uses_dynamic_stack 0
		.amdhsa_system_sgpr_private_segment_wavefront_offset 0
		.amdhsa_system_sgpr_workgroup_id_x 1
		.amdhsa_system_sgpr_workgroup_id_y 1
		.amdhsa_system_sgpr_workgroup_id_z 1
		.amdhsa_system_sgpr_workgroup_info 0
		.amdhsa_system_vgpr_workitem_id 1
		.amdhsa_next_free_vgpr 59
		.amdhsa_next_free_sgpr 38
		.amdhsa_reserve_vcc 1
		.amdhsa_reserve_flat_scratch 0
		.amdhsa_float_round_mode_32 0
		.amdhsa_float_round_mode_16_64 0
		.amdhsa_float_denorm_mode_32 3
		.amdhsa_float_denorm_mode_16_64 3
		.amdhsa_dx10_clamp 1
		.amdhsa_ieee_mode 1
		.amdhsa_fp16_overflow 0
		.amdhsa_workgroup_processor_mode 1
		.amdhsa_memory_ordered 1
		.amdhsa_forward_progress 1
		.amdhsa_shared_vgpr_count 0
		.amdhsa_exception_fp_ieee_invalid_op 0
		.amdhsa_exception_fp_denorm_src 0
		.amdhsa_exception_fp_ieee_div_zero 0
		.amdhsa_exception_fp_ieee_overflow 0
		.amdhsa_exception_fp_ieee_underflow 0
		.amdhsa_exception_fp_ieee_inexact 0
		.amdhsa_exception_int_div_zero 0
	.end_amdhsa_kernel
	.section	.text._ZN12_GLOBAL__N_135rocblas_gemm_batched_general_kernelI19rocblas_complex_numIfELi16ELi16ELi32ELi32ELi8ELi32ELi8ELi8ELi32ELc78ELc67EKS2_S3_S2_EEvlllT_PT11_llS6_llS4_PT12_llPT13_lli,"axG",@progbits,_ZN12_GLOBAL__N_135rocblas_gemm_batched_general_kernelI19rocblas_complex_numIfELi16ELi16ELi32ELi32ELi8ELi32ELi8ELi8ELi32ELc78ELc67EKS2_S3_S2_EEvlllT_PT11_llS6_llS4_PT12_llPT13_lli,comdat
.Lfunc_end526:
	.size	_ZN12_GLOBAL__N_135rocblas_gemm_batched_general_kernelI19rocblas_complex_numIfELi16ELi16ELi32ELi32ELi8ELi32ELi8ELi8ELi32ELc78ELc67EKS2_S3_S2_EEvlllT_PT11_llS6_llS4_PT12_llPT13_lli, .Lfunc_end526-_ZN12_GLOBAL__N_135rocblas_gemm_batched_general_kernelI19rocblas_complex_numIfELi16ELi16ELi32ELi32ELi8ELi32ELi8ELi8ELi32ELc78ELc67EKS2_S3_S2_EEvlllT_PT11_llS6_llS4_PT12_llPT13_lli
                                        ; -- End function
	.set _ZN12_GLOBAL__N_135rocblas_gemm_batched_general_kernelI19rocblas_complex_numIfELi16ELi16ELi32ELi32ELi8ELi32ELi8ELi8ELi32ELc78ELc67EKS2_S3_S2_EEvlllT_PT11_llS6_llS4_PT12_llPT13_lli.num_vgpr, 59
	.set _ZN12_GLOBAL__N_135rocblas_gemm_batched_general_kernelI19rocblas_complex_numIfELi16ELi16ELi32ELi32ELi8ELi32ELi8ELi8ELi32ELc78ELc67EKS2_S3_S2_EEvlllT_PT11_llS6_llS4_PT12_llPT13_lli.num_agpr, 0
	.set _ZN12_GLOBAL__N_135rocblas_gemm_batched_general_kernelI19rocblas_complex_numIfELi16ELi16ELi32ELi32ELi8ELi32ELi8ELi8ELi32ELc78ELc67EKS2_S3_S2_EEvlllT_PT11_llS6_llS4_PT12_llPT13_lli.numbered_sgpr, 38
	.set _ZN12_GLOBAL__N_135rocblas_gemm_batched_general_kernelI19rocblas_complex_numIfELi16ELi16ELi32ELi32ELi8ELi32ELi8ELi8ELi32ELc78ELc67EKS2_S3_S2_EEvlllT_PT11_llS6_llS4_PT12_llPT13_lli.num_named_barrier, 0
	.set _ZN12_GLOBAL__N_135rocblas_gemm_batched_general_kernelI19rocblas_complex_numIfELi16ELi16ELi32ELi32ELi8ELi32ELi8ELi8ELi32ELc78ELc67EKS2_S3_S2_EEvlllT_PT11_llS6_llS4_PT12_llPT13_lli.private_seg_size, 0
	.set _ZN12_GLOBAL__N_135rocblas_gemm_batched_general_kernelI19rocblas_complex_numIfELi16ELi16ELi32ELi32ELi8ELi32ELi8ELi8ELi32ELc78ELc67EKS2_S3_S2_EEvlllT_PT11_llS6_llS4_PT12_llPT13_lli.uses_vcc, 1
	.set _ZN12_GLOBAL__N_135rocblas_gemm_batched_general_kernelI19rocblas_complex_numIfELi16ELi16ELi32ELi32ELi8ELi32ELi8ELi8ELi32ELc78ELc67EKS2_S3_S2_EEvlllT_PT11_llS6_llS4_PT12_llPT13_lli.uses_flat_scratch, 0
	.set _ZN12_GLOBAL__N_135rocblas_gemm_batched_general_kernelI19rocblas_complex_numIfELi16ELi16ELi32ELi32ELi8ELi32ELi8ELi8ELi32ELc78ELc67EKS2_S3_S2_EEvlllT_PT11_llS6_llS4_PT12_llPT13_lli.has_dyn_sized_stack, 0
	.set _ZN12_GLOBAL__N_135rocblas_gemm_batched_general_kernelI19rocblas_complex_numIfELi16ELi16ELi32ELi32ELi8ELi32ELi8ELi8ELi32ELc78ELc67EKS2_S3_S2_EEvlllT_PT11_llS6_llS4_PT12_llPT13_lli.has_recursion, 0
	.set _ZN12_GLOBAL__N_135rocblas_gemm_batched_general_kernelI19rocblas_complex_numIfELi16ELi16ELi32ELi32ELi8ELi32ELi8ELi8ELi32ELc78ELc67EKS2_S3_S2_EEvlllT_PT11_llS6_llS4_PT12_llPT13_lli.has_indirect_call, 0
	.section	.AMDGPU.csdata,"",@progbits
; Kernel info:
; codeLenInByte = 3012
; TotalNumSgprs: 40
; NumVgprs: 59
; ScratchSize: 0
; MemoryBound: 1
; FloatMode: 240
; IeeeMode: 1
; LDSByteSize: 4096 bytes/workgroup (compile time only)
; SGPRBlocks: 0
; VGPRBlocks: 7
; NumSGPRsForWavesPerEU: 40
; NumVGPRsForWavesPerEU: 59
; Occupancy: 16
; WaveLimiterHint : 1
; COMPUTE_PGM_RSRC2:SCRATCH_EN: 0
; COMPUTE_PGM_RSRC2:USER_SGPR: 6
; COMPUTE_PGM_RSRC2:TRAP_HANDLER: 0
; COMPUTE_PGM_RSRC2:TGID_X_EN: 1
; COMPUTE_PGM_RSRC2:TGID_Y_EN: 1
; COMPUTE_PGM_RSRC2:TGID_Z_EN: 1
; COMPUTE_PGM_RSRC2:TIDIG_COMP_CNT: 1
	.section	.text._ZN12_GLOBAL__N_135rocblas_gemm_batched_general_kernelI19rocblas_complex_numIfELi16ELi16ELi32ELi32ELi8ELi32ELi8ELi8ELi32ELc84ELc67EKS2_S3_S2_EEvlllT_PT11_llS6_llS4_PT12_llPT13_lli,"axG",@progbits,_ZN12_GLOBAL__N_135rocblas_gemm_batched_general_kernelI19rocblas_complex_numIfELi16ELi16ELi32ELi32ELi8ELi32ELi8ELi8ELi32ELc84ELc67EKS2_S3_S2_EEvlllT_PT11_llS6_llS4_PT12_llPT13_lli,comdat
	.globl	_ZN12_GLOBAL__N_135rocblas_gemm_batched_general_kernelI19rocblas_complex_numIfELi16ELi16ELi32ELi32ELi8ELi32ELi8ELi8ELi32ELc84ELc67EKS2_S3_S2_EEvlllT_PT11_llS6_llS4_PT12_llPT13_lli ; -- Begin function _ZN12_GLOBAL__N_135rocblas_gemm_batched_general_kernelI19rocblas_complex_numIfELi16ELi16ELi32ELi32ELi8ELi32ELi8ELi8ELi32ELc84ELc67EKS2_S3_S2_EEvlllT_PT11_llS6_llS4_PT12_llPT13_lli
	.p2align	8
	.type	_ZN12_GLOBAL__N_135rocblas_gemm_batched_general_kernelI19rocblas_complex_numIfELi16ELi16ELi32ELi32ELi8ELi32ELi8ELi8ELi32ELc84ELc67EKS2_S3_S2_EEvlllT_PT11_llS6_llS4_PT12_llPT13_lli,@function
_ZN12_GLOBAL__N_135rocblas_gemm_batched_general_kernelI19rocblas_complex_numIfELi16ELi16ELi32ELi32ELi8ELi32ELi8ELi8ELi32ELc84ELc67EKS2_S3_S2_EEvlllT_PT11_llS6_llS4_PT12_llPT13_lli: ; @_ZN12_GLOBAL__N_135rocblas_gemm_batched_general_kernelI19rocblas_complex_numIfELi16ELi16ELi32ELi32ELi8ELi32ELi8ELi8ELi32ELc84ELc67EKS2_S3_S2_EEvlllT_PT11_llS6_llS4_PT12_llPT13_lli
; %bb.0:
	s_clause 0x1
	s_load_dwordx16 s[12:27], s[4:5], 0x0
	s_load_dwordx2 s[10:11], s[4:5], 0x50
	s_mov_b32 s0, s7
	v_mov_b32_e32 v20, 0
	v_mov_b32_e32 v21, 0
	;; [unrolled: 1-line block ×8, first 2 shown]
	s_ashr_i32 s7, s6, 31
	s_ashr_i32 s1, s0, 31
	s_lshl_b64 s[6:7], s[6:7], 5
	s_waitcnt lgkmcnt(0)
	v_cmp_lt_i64_e64 s2, s[16:17], 1
	s_and_b32 vcc_lo, exec_lo, s2
	s_lshl_b64 s[2:3], s[0:1], 5
	s_cbranch_vccnz .LBB527_11
; %bb.1:
	s_load_dwordx4 s[28:31], s[4:5], 0x40
	v_lshl_add_u32 v3, v1, 4, v0
	v_and_b32_e32 v8, 7, v0
	v_mov_b32_e32 v4, s7
	s_lshl_b64 s[34:35], s[0:1], 8
	s_mul_i32 s9, s25, s8
	v_lshrrev_b32_e32 v7, 3, v3
	v_and_b32_e32 v14, 31, v3
	v_lshlrev_b32_e32 v15, 3, v8
	v_lshrrev_b32_e32 v13, 5, v3
	v_and_b32_e32 v18, 0x1ff8, v3
	v_add_co_u32 v11, s0, v7, s2
	v_or_b32_e32 v3, s6, v14
	v_lshl_or_b32 v7, v7, 6, v15
	v_add_co_ci_u32_e64 v12, null, 0, s3, s0
	v_lshlrev_b32_e32 v16, 3, v14
	v_cmp_gt_i64_e32 vcc_lo, s[12:13], v[3:4]
	v_add_co_u32 v14, s0, s6, v14
	s_waitcnt lgkmcnt(0)
	v_mad_u64_u32 v[5:6], null, s28, v8, 0
	v_add_co_ci_u32_e64 v15, null, s7, 0, s0
	v_add_nc_u32_e32 v17, 0x800, v7
	s_mul_i32 s1, s31, s8
	v_cmp_gt_i64_e64 s0, s[14:15], v[11:12]
	v_mul_lo_u32 v15, s22, v15
	v_mad_u64_u32 v[3:4], null, s29, v8, v[6:7]
	v_mul_lo_u32 v7, s23, v14
	s_mul_hi_u32 s23, s30, s8
	v_mad_u64_u32 v[11:12], null, s22, v14, 0
	s_mul_i32 s22, s30, s8
	s_add_i32 s23, s23, s1
	v_mov_b32_e32 v6, v3
	s_lshl_b64 s[22:23], s[22:23], 3
	s_mul_hi_u32 s25, s24, s8
	s_add_u32 s1, s34, s22
	s_addc_u32 s22, s35, s23
	v_lshlrev_b64 v[3:4], 3, v[5:6]
	v_add3_u32 v12, v12, v15, v7
	s_mul_i32 s24, s24, s8
	s_add_i32 s25, s25, s9
	v_mov_b32_e32 v2, 0
	v_lshlrev_b32_e32 v9, 3, v0
	v_add_co_u32 v3, s1, s1, v3
	v_add_co_ci_u32_e64 v4, null, s22, v4, s1
	s_lshl_b64 s[22:23], s[24:25], 3
	v_add_co_u32 v5, s1, v3, v18
	v_add_co_ci_u32_e64 v6, null, 0, v4, s1
	v_lshlrev_b64 v[3:4], 3, v[11:12]
	v_add_co_u32 v5, s1, s26, v5
	v_add_co_ci_u32_e64 v6, null, s27, v6, s1
	v_lshlrev_b32_e32 v11, 3, v13
	v_add_co_u32 v3, s1, v3, s22
	v_add_co_ci_u32_e64 v7, null, s23, v4, s1
	v_add_co_u32 v4, s1, v5, 4
	v_add_co_ci_u32_e64 v5, null, 0, v6, s1
	;; [unrolled: 2-line block ×3, first 2 shown]
	v_lshl_add_u32 v10, v1, 6, 0x800
	v_add_co_u32 v6, s1, s20, v3
	v_lshl_or_b32 v16, v13, 8, v16
	v_add_co_ci_u32_e64 v7, null, s21, v7, s1
	v_mov_b32_e32 v12, 0
	v_mov_b32_e32 v11, 0
	;; [unrolled: 1-line block ×8, first 2 shown]
	s_lshl_b64 s[22:23], s[28:29], 6
	s_mov_b64 s[20:21], 0
	s_xor_b32 s1, vcc_lo, -1
	s_xor_b32 s0, s0, -1
	s_branch .LBB527_3
.LBB527_2:                              ;   in Loop: Header=BB527_3 Depth=1
	s_or_b32 exec_lo, exec_lo, s9
	ds_write_b32 v17, v3 offset:4
	s_waitcnt lgkmcnt(0)
	s_barrier
	buffer_gl0_inv
	ds_read_b128 v[22:25], v10
	ds_read2_b64 v[26:29], v9 offset1:16
	ds_read_b128 v[30:33], v10 offset:1024
	ds_read_b128 v[34:37], v10 offset:16
	;; [unrolled: 1-line block ×4, first 2 shown]
	ds_read2_b64 v[46:49], v9 offset0:32 offset1:48
	ds_read_b128 v[50:53], v10 offset:1040
	s_add_u32 s20, s20, 8
	s_addc_u32 s21, s21, 0
	v_add_co_u32 v4, vcc_lo, v4, s22
	v_cmp_lt_i64_e64 s9, s[20:21], s[16:17]
	v_add_co_ci_u32_e64 v5, null, s23, v5, vcc_lo
	v_add_co_u32 v6, vcc_lo, v6, 64
	v_add_co_ci_u32_e64 v7, null, 0, v7, vcc_lo
	s_and_b32 vcc_lo, exec_lo, s9
	s_waitcnt lgkmcnt(6)
	v_mul_f32_e32 v3, v23, v27
	v_mul_f32_e32 v54, v22, v27
	v_mul_f32_e32 v55, v23, v29
	v_mul_f32_e32 v56, v22, v29
	s_waitcnt lgkmcnt(5)
	v_mul_f32_e32 v57, v31, v27
	v_mul_f32_e32 v27, v30, v27
	;; [unrolled: 1-line block ×3, first 2 shown]
	v_fma_f32 v3, v22, v26, -v3
	v_fmac_f32_e32 v54, v23, v26
	v_fma_f32 v22, v22, v28, -v55
	v_fmac_f32_e32 v56, v23, v28
	v_fma_f32 v23, v30, v26, -v57
	v_mul_f32_e32 v29, v30, v29
	v_fmac_f32_e32 v27, v31, v26
	v_fma_f32 v26, v30, v28, -v58
	v_add_f32_e32 v3, v20, v3
	v_add_f32_e32 v30, v21, v54
	;; [unrolled: 1-line block ×5, first 2 shown]
	s_waitcnt lgkmcnt(1)
	v_mul_f32_e32 v23, v25, v47
	ds_read2_b64 v[18:21], v9 offset0:64 offset1:80
	v_add_f32_e32 v15, v15, v27
	v_mul_f32_e32 v27, v25, v49
	v_fmac_f32_e32 v29, v31, v28
	v_fma_f32 v23, v24, v46, -v23
	v_add_f32_e32 v11, v11, v26
	v_mul_f32_e32 v26, v24, v47
	v_mul_f32_e32 v28, v24, v49
	v_add_f32_e32 v12, v12, v29
	v_add_f32_e32 v3, v3, v23
	v_fma_f32 v23, v24, v48, -v27
	v_mul_f32_e32 v24, v33, v47
	v_fmac_f32_e32 v26, v25, v46
	v_fmac_f32_e32 v28, v25, v48
	v_mul_f32_e32 v25, v32, v47
	v_add_f32_e32 v27, v22, v23
	v_fma_f32 v22, v32, v46, -v24
	v_mul_f32_e32 v23, v33, v49
	v_add_f32_e32 v26, v30, v26
	v_fmac_f32_e32 v25, v33, v46
	v_mul_f32_e32 v29, v32, v49
	v_add_f32_e32 v14, v14, v22
	v_fma_f32 v22, v32, v48, -v23
	s_waitcnt lgkmcnt(0)
	v_mul_f32_e32 v23, v35, v19
	v_mul_f32_e32 v30, v34, v19
	;; [unrolled: 1-line block ×3, first 2 shown]
	v_add_f32_e32 v15, v15, v25
	v_add_f32_e32 v11, v11, v22
	v_fma_f32 v31, v34, v18, -v23
	ds_read2_b64 v[22:25], v9 offset0:96 offset1:112
	v_fmac_f32_e32 v30, v35, v18
	v_fmac_f32_e32 v29, v33, v48
	v_add_f32_e32 v28, v54, v28
	v_add_f32_e32 v3, v3, v31
	v_fma_f32 v31, v34, v20, -v32
	v_add_f32_e32 v26, v26, v30
	v_mul_f32_e32 v30, v51, v19
	v_mul_f32_e32 v19, v50, v19
	v_add_f32_e32 v12, v12, v29
	v_add_f32_e32 v27, v27, v31
	v_mul_f32_e32 v31, v51, v21
	v_mul_f32_e32 v29, v34, v21
	v_fma_f32 v30, v50, v18, -v30
	v_fmac_f32_e32 v19, v51, v18
	v_mul_f32_e32 v32, v50, v21
	v_fma_f32 v18, v50, v20, -v31
	v_fmac_f32_e32 v29, v35, v20
	v_add_f32_e32 v14, v14, v30
	v_add_f32_e32 v15, v15, v19
	v_fmac_f32_e32 v32, v51, v20
	v_add_f32_e32 v11, v11, v18
	ds_read2_b64 v[18:21], v9 offset0:128 offset1:144
	v_add_f32_e32 v33, v28, v29
	s_waitcnt lgkmcnt(1)
	v_mul_f32_e32 v28, v37, v23
	v_mul_f32_e32 v29, v36, v23
	;; [unrolled: 1-line block ×4, first 2 shown]
	v_add_f32_e32 v12, v12, v32
	v_fma_f32 v28, v36, v22, -v28
	v_fmac_f32_e32 v29, v37, v22
	v_fma_f32 v30, v36, v24, -v30
	v_fmac_f32_e32 v31, v37, v24
	v_mul_f32_e32 v32, v53, v25
	v_add_f32_e32 v3, v3, v28
	v_mul_f32_e32 v28, v53, v23
	v_mul_f32_e32 v23, v52, v23
	v_add_f32_e32 v34, v26, v29
	v_add_f32_e32 v35, v27, v30
	;; [unrolled: 1-line block ×3, first 2 shown]
	v_fma_f32 v30, v52, v22, -v28
	ds_read_b128 v[26:29], v10 offset:1056
	v_fmac_f32_e32 v23, v53, v22
	v_mul_f32_e32 v31, v52, v25
	v_fma_f32 v22, v52, v24, -v32
	s_waitcnt lgkmcnt(1)
	v_mul_f32_e32 v25, v39, v19
	v_add_f32_e32 v14, v14, v30
	v_add_f32_e32 v15, v15, v23
	v_fmac_f32_e32 v31, v53, v24
	v_add_f32_e32 v11, v11, v22
	v_fma_f32 v30, v38, v18, -v25
	ds_read2_b64 v[22:25], v9 offset0:160 offset1:176
	v_mul_f32_e32 v32, v39, v21
	v_mul_f32_e32 v37, v38, v19
	;; [unrolled: 1-line block ×3, first 2 shown]
	v_add_f32_e32 v12, v12, v31
	v_add_f32_e32 v3, v3, v30
	v_fma_f32 v38, v38, v20, -v32
	v_fmac_f32_e32 v37, v39, v18
	ds_read_b128 v[30:33], v10 offset:1072
	v_fmac_f32_e32 v46, v39, v20
	s_waitcnt lgkmcnt(2)
	v_mul_f32_e32 v47, v27, v19
	v_mul_f32_e32 v19, v26, v19
	v_add_f32_e32 v35, v35, v38
	v_mul_f32_e32 v38, v27, v21
	v_add_f32_e32 v34, v34, v37
	v_fma_f32 v37, v26, v18, -v47
	v_fmac_f32_e32 v19, v27, v18
	v_mul_f32_e32 v39, v26, v21
	v_fma_f32 v18, v26, v20, -v38
	v_add_f32_e32 v36, v36, v46
	s_waitcnt lgkmcnt(1)
	v_mul_f32_e32 v21, v41, v23
	v_add_f32_e32 v14, v14, v37
	v_add_f32_e32 v15, v15, v19
	v_fmac_f32_e32 v39, v27, v20
	v_mul_f32_e32 v26, v40, v23
	v_add_f32_e32 v11, v11, v18
	v_fma_f32 v27, v40, v22, -v21
	ds_read2_b64 v[18:21], v9 offset0:192 offset1:208
	v_mul_f32_e32 v37, v41, v25
	v_fmac_f32_e32 v26, v41, v22
	v_add_f32_e32 v12, v12, v39
	v_add_f32_e32 v3, v3, v27
	v_mul_f32_e32 v27, v40, v25
	v_fma_f32 v37, v40, v24, -v37
	v_add_f32_e32 v26, v34, v26
	v_mul_f32_e32 v34, v29, v23
	v_mul_f32_e32 v23, v28, v23
	v_fmac_f32_e32 v27, v41, v24
	v_add_f32_e32 v35, v35, v37
	v_mul_f32_e32 v37, v29, v25
	v_fma_f32 v34, v28, v22, -v34
	v_fmac_f32_e32 v23, v29, v22
	v_add_f32_e32 v27, v36, v27
	v_mul_f32_e32 v36, v28, v25
	v_fma_f32 v22, v28, v24, -v37
	v_add_f32_e32 v14, v14, v34
	v_add_f32_e32 v15, v15, v23
	s_waitcnt lgkmcnt(0)
	v_mul_f32_e32 v28, v43, v19
	v_fmac_f32_e32 v36, v29, v24
	v_add_f32_e32 v11, v11, v22
	ds_read2_b64 v[22:25], v9 offset0:224 offset1:240
	v_mul_f32_e32 v29, v42, v19
	v_fma_f32 v28, v42, v18, -v28
	v_mul_f32_e32 v34, v43, v21
	v_add_f32_e32 v12, v12, v36
	v_mul_f32_e32 v36, v42, v21
	v_fmac_f32_e32 v29, v43, v18
	v_add_f32_e32 v3, v3, v28
	v_mul_f32_e32 v28, v31, v19
	v_fma_f32 v34, v42, v20, -v34
	v_mul_f32_e32 v19, v30, v19
	v_add_f32_e32 v26, v26, v29
	v_fmac_f32_e32 v36, v43, v20
	v_fma_f32 v28, v30, v18, -v28
	v_add_f32_e32 v29, v35, v34
	v_mul_f32_e32 v34, v31, v21
	v_fmac_f32_e32 v19, v31, v18
	v_mul_f32_e32 v18, v30, v21
	v_add_f32_e32 v14, v14, v28
	v_add_f32_e32 v27, v27, v36
	v_fma_f32 v21, v30, v20, -v34
	s_waitcnt lgkmcnt(0)
	v_mul_f32_e32 v28, v45, v23
	v_mul_f32_e32 v30, v44, v23
	v_add_f32_e32 v15, v15, v19
	v_fmac_f32_e32 v18, v31, v20
	v_add_f32_e32 v11, v11, v21
	v_fma_f32 v19, v44, v22, -v28
	v_fmac_f32_e32 v30, v45, v22
	v_mul_f32_e32 v28, v45, v25
	v_mul_f32_e32 v31, v44, v25
	v_add_f32_e32 v12, v12, v18
	v_add_f32_e32 v20, v3, v19
	;; [unrolled: 1-line block ×3, first 2 shown]
	v_fma_f32 v3, v44, v24, -v28
	v_mul_f32_e32 v19, v33, v23
	v_mul_f32_e32 v23, v32, v23
	;; [unrolled: 1-line block ×4, first 2 shown]
	v_fmac_f32_e32 v31, v45, v24
	v_add_f32_e32 v18, v29, v3
	v_fma_f32 v3, v32, v22, -v19
	v_fmac_f32_e32 v23, v33, v22
	v_fma_f32 v22, v32, v24, -v26
	v_fmac_f32_e32 v25, v33, v24
	v_add_f32_e32 v19, v27, v31
	v_add_f32_e32 v14, v14, v3
	;; [unrolled: 1-line block ×5, first 2 shown]
	s_barrier
	buffer_gl0_inv
	s_cbranch_vccz .LBB527_11
.LBB527_3:                              ; =>This Inner Loop Header: Depth=1
	v_add_co_u32 v22, s9, v13, s20
	v_add_co_ci_u32_e64 v23, null, 0, s21, s9
	v_cmp_le_i64_e32 vcc_lo, s[16:17], v[22:23]
	s_or_b32 s9, s1, vcc_lo
	s_and_saveexec_b32 s24, s9
	s_xor_b32 s9, exec_lo, s24
; %bb.4:                                ;   in Loop: Header=BB527_3 Depth=1
	v_mov_b32_e32 v3, v2
	ds_write_b64 v16, v[2:3]
; %bb.5:                                ;   in Loop: Header=BB527_3 Depth=1
	s_andn2_saveexec_b32 s9, s9
	s_cbranch_execz .LBB527_7
; %bb.6:                                ;   in Loop: Header=BB527_3 Depth=1
	global_load_dwordx2 v[22:23], v[6:7], off
	s_waitcnt vmcnt(0)
	ds_write_b64 v16, v[22:23]
.LBB527_7:                              ;   in Loop: Header=BB527_3 Depth=1
	s_or_b32 exec_lo, exec_lo, s9
	v_add_co_u32 v22, s9, v8, s20
	v_add_co_ci_u32_e64 v23, null, 0, s21, s9
	v_cmp_le_i64_e32 vcc_lo, s[16:17], v[22:23]
	s_or_b32 s9, vcc_lo, s0
	s_and_saveexec_b32 s24, s9
	s_xor_b32 s9, exec_lo, s24
; %bb.8:                                ;   in Loop: Header=BB527_3 Depth=1
	ds_write_b32 v17, v2
; %bb.9:                                ;   in Loop: Header=BB527_3 Depth=1
	s_or_saveexec_b32 s9, s9
	v_mov_b32_e32 v3, 0
	s_xor_b32 exec_lo, exec_lo, s9
	s_cbranch_execz .LBB527_2
; %bb.10:                               ;   in Loop: Header=BB527_3 Depth=1
	global_load_dwordx2 v[22:23], v[4:5], off offset:-4
	s_waitcnt vmcnt(0)
	v_xor_b32_e32 v3, 0x80000000, v23
	ds_write_b32 v17, v22
	s_branch .LBB527_2
.LBB527_11:
	s_clause 0x1
	s_load_dwordx4 s[28:31], s[4:5], 0x78
	s_load_dwordx8 s[20:27], s[4:5], 0x58
	v_add_co_u32 v1, s2, s2, v1
	v_add_co_ci_u32_e64 v2, null, s3, 0, s2
	s_waitcnt lgkmcnt(0)
	s_mul_i32 s1, s31, s8
	s_mul_hi_u32 s4, s30, s8
	s_mul_i32 s0, s30, s8
	s_add_i32 s1, s4, s1
	s_lshl_b64 s[0:1], s[0:1], 3
	s_add_u32 s3, s26, s0
	s_addc_u32 s4, s27, s1
	s_or_b32 s1, s10, s11
	v_cmp_gt_i64_e64 s0, s[14:15], v[1:2]
	s_bitset0_b32 s1, 31
	s_cmp_lg_u32 s1, 0
	s_mov_b32 s1, -1
	s_cbranch_scc1 .LBB527_23
; %bb.12:
	s_and_saveexec_b32 s5, s0
	s_cbranch_execz .LBB527_22
; %bb.13:
	v_mul_lo_u32 v5, v2, s28
	v_mul_lo_u32 v6, v1, s29
	v_mad_u64_u32 v[3:4], null, v1, s28, 0
	v_add3_u32 v4, v4, v6, v5
	v_add_co_u32 v5, s1, s6, v0
	v_add_co_ci_u32_e64 v6, null, s7, 0, s1
	v_lshlrev_b64 v[7:8], 3, v[3:4]
	v_cmp_gt_i64_e32 vcc_lo, s[12:13], v[5:6]
	v_lshlrev_b64 v[3:4], 3, v[5:6]
	v_add_co_u32 v7, s1, s3, v7
	v_add_co_ci_u32_e64 v8, null, s4, v8, s1
	s_and_saveexec_b32 s2, vcc_lo
	s_cbranch_execz .LBB527_15
; %bb.14:
	v_mul_f32_e32 v9, s19, v21
	v_mul_f32_e32 v10, s18, v21
	v_add_co_u32 v16, s1, v7, v3
	v_add_co_ci_u32_e64 v17, null, v8, v4, s1
	v_fma_f32 v9, v20, s18, -v9
	v_fmac_f32_e32 v10, s19, v20
	global_store_dwordx2 v[16:17], v[9:10], off
.LBB527_15:
	s_or_b32 exec_lo, exec_lo, s2
	v_add_co_u32 v5, s1, v5, 16
	v_add_co_ci_u32_e64 v6, null, 0, v6, s1
	v_cmp_gt_i64_e64 s1, s[12:13], v[5:6]
	s_and_saveexec_b32 s9, s1
	s_cbranch_execz .LBB527_17
; %bb.16:
	v_mul_f32_e32 v5, s19, v19
	v_mul_f32_e32 v6, s18, v19
	v_add_co_u32 v9, s2, v7, v3
	v_add_co_ci_u32_e64 v10, null, v8, v4, s2
	v_fma_f32 v5, v18, s18, -v5
	v_fmac_f32_e32 v6, s19, v18
	global_store_dwordx2 v[9:10], v[5:6], off offset:128
.LBB527_17:
	s_or_b32 exec_lo, exec_lo, s9
	v_add_co_u32 v5, s2, v1, 16
	v_add_co_ci_u32_e64 v6, null, 0, v2, s2
	v_cmp_gt_i64_e64 s2, s[14:15], v[5:6]
	s_and_b32 exec_lo, exec_lo, s2
	s_cbranch_execz .LBB527_22
; %bb.18:
	s_lshl_b64 s[16:17], s[28:29], 7
	v_add_co_u32 v5, s2, v7, s16
	v_add_co_ci_u32_e64 v6, null, s17, v8, s2
	v_add_co_u32 v3, s2, v5, v3
	v_add_co_ci_u32_e64 v4, null, v6, v4, s2
	s_and_saveexec_b32 s2, vcc_lo
	s_cbranch_execz .LBB527_20
; %bb.19:
	v_mul_f32_e32 v5, s19, v15
	v_mul_f32_e32 v6, s18, v15
	v_fma_f32 v5, v14, s18, -v5
	v_fmac_f32_e32 v6, s19, v14
	global_store_dwordx2 v[3:4], v[5:6], off
.LBB527_20:
	s_or_b32 exec_lo, exec_lo, s2
	s_and_b32 exec_lo, exec_lo, s1
	s_cbranch_execz .LBB527_22
; %bb.21:
	v_mul_f32_e32 v5, s19, v12
	v_mul_f32_e32 v6, s18, v12
	v_fma_f32 v5, v11, s18, -v5
	v_fmac_f32_e32 v6, s19, v11
	global_store_dwordx2 v[3:4], v[5:6], off offset:128
.LBB527_22:
	s_or_b32 exec_lo, exec_lo, s5
	s_mov_b32 s1, 0
.LBB527_23:
	s_andn2_b32 vcc_lo, exec_lo, s1
	s_cbranch_vccnz .LBB527_34
; %bb.24:
	s_and_saveexec_b32 s1, s0
	s_cbranch_execz .LBB527_34
; %bb.25:
	v_mul_lo_u32 v5, v2, s22
	v_mul_lo_u32 v6, v1, s23
	v_mad_u64_u32 v[3:4], null, v1, s22, 0
	v_mul_lo_u32 v9, v2, s28
	v_mul_lo_u32 v10, v1, s29
	v_mad_u64_u32 v[7:8], null, v1, s28, 0
	s_mul_i32 s0, s25, s8
	s_mul_hi_u32 s1, s24, s8
	v_add3_u32 v4, v4, v6, v5
	s_add_i32 s1, s1, s0
	s_mul_i32 s0, s24, s8
	v_add_co_u32 v5, s2, s6, v0
	v_add3_u32 v8, v8, v10, v9
	v_lshlrev_b64 v[3:4], 3, v[3:4]
	s_lshl_b64 s[0:1], s[0:1], 3
	v_add_co_ci_u32_e64 v6, null, s7, 0, s2
	v_lshlrev_b64 v[8:9], 3, v[7:8]
	s_add_u32 s0, s20, s0
	s_addc_u32 s1, s21, s1
	v_add_co_u32 v0, s0, s0, v3
	v_add_co_ci_u32_e64 v7, null, s1, v4, s0
	v_add_co_u32 v8, s0, s3, v8
	v_cmp_gt_i64_e32 vcc_lo, s[12:13], v[5:6]
	v_lshlrev_b64 v[3:4], 3, v[5:6]
	v_add_co_ci_u32_e64 v9, null, s4, v9, s0
	s_and_saveexec_b32 s1, vcc_lo
	s_cbranch_execz .LBB527_27
; %bb.26:
	v_add_co_u32 v16, s0, v0, v3
	v_add_co_ci_u32_e64 v17, null, v7, v4, s0
	v_mul_f32_e32 v10, s19, v21
	v_mul_f32_e32 v13, s18, v21
	global_load_dwordx2 v[16:17], v[16:17], off
	v_fma_f32 v10, v20, s18, -v10
	v_fmac_f32_e32 v13, s19, v20
	s_waitcnt vmcnt(0)
	v_mul_f32_e32 v21, s11, v17
	v_mul_f32_e32 v17, s10, v17
	v_fma_f32 v20, v16, s10, -v21
	v_fmac_f32_e32 v17, s11, v16
	v_add_f32_e32 v16, v10, v20
	v_add_co_u32 v20, s0, v8, v3
	v_add_f32_e32 v17, v13, v17
	v_add_co_ci_u32_e64 v21, null, v9, v4, s0
	global_store_dwordx2 v[20:21], v[16:17], off
.LBB527_27:
	s_or_b32 exec_lo, exec_lo, s1
	v_add_co_u32 v5, s0, v5, 16
	v_add_co_ci_u32_e64 v6, null, 0, v6, s0
	v_cmp_gt_i64_e64 s0, s[12:13], v[5:6]
	s_and_saveexec_b32 s2, s0
	s_cbranch_execz .LBB527_29
; %bb.28:
	v_add_co_u32 v5, s1, v0, v3
	v_add_co_ci_u32_e64 v6, null, v7, v4, s1
	v_mul_f32_e32 v10, s19, v19
	v_mul_f32_e32 v13, s18, v19
	global_load_dwordx2 v[5:6], v[5:6], off offset:128
	v_fma_f32 v10, v18, s18, -v10
	v_fmac_f32_e32 v13, s19, v18
	s_waitcnt vmcnt(0)
	v_mul_f32_e32 v16, s11, v6
	v_mul_f32_e32 v6, s10, v6
	v_fma_f32 v16, v5, s10, -v16
	v_fmac_f32_e32 v6, s11, v5
	v_add_f32_e32 v5, v10, v16
	v_add_co_u32 v16, s1, v8, v3
	v_add_f32_e32 v6, v13, v6
	v_add_co_ci_u32_e64 v17, null, v9, v4, s1
	global_store_dwordx2 v[16:17], v[5:6], off offset:128
.LBB527_29:
	s_or_b32 exec_lo, exec_lo, s2
	v_add_co_u32 v1, s1, v1, 16
	v_add_co_ci_u32_e64 v2, null, 0, v2, s1
	v_cmp_gt_i64_e64 s1, s[14:15], v[1:2]
	s_and_b32 exec_lo, exec_lo, s1
	s_cbranch_execz .LBB527_34
; %bb.30:
	s_lshl_b64 s[2:3], s[22:23], 7
	v_add_co_u32 v0, s1, v0, s2
	v_add_co_ci_u32_e64 v1, null, s3, v7, s1
	s_lshl_b64 s[2:3], s[28:29], 7
	v_add_co_u32 v2, s1, v8, s2
	v_add_co_ci_u32_e64 v7, null, s3, v9, s1
	v_add_co_u32 v5, s1, v0, v3
	v_add_co_ci_u32_e64 v6, null, v1, v4, s1
	v_add_co_u32 v0, s1, v2, v3
	v_add_co_ci_u32_e64 v1, null, v7, v4, s1
	s_and_saveexec_b32 s1, vcc_lo
	s_cbranch_execz .LBB527_32
; %bb.31:
	global_load_dwordx2 v[2:3], v[5:6], off
	v_mul_f32_e32 v4, s19, v15
	v_mul_f32_e32 v7, s18, v15
	v_fma_f32 v4, v14, s18, -v4
	v_fmac_f32_e32 v7, s19, v14
	s_waitcnt vmcnt(0)
	v_mul_f32_e32 v8, s11, v3
	v_mul_f32_e32 v3, s10, v3
	v_fma_f32 v8, v2, s10, -v8
	v_fmac_f32_e32 v3, s11, v2
	v_add_f32_e32 v2, v4, v8
	v_add_f32_e32 v3, v7, v3
	global_store_dwordx2 v[0:1], v[2:3], off
.LBB527_32:
	s_or_b32 exec_lo, exec_lo, s1
	s_and_b32 exec_lo, exec_lo, s0
	s_cbranch_execz .LBB527_34
; %bb.33:
	global_load_dwordx2 v[2:3], v[5:6], off offset:128
	v_mul_f32_e32 v4, s19, v12
	v_mul_f32_e32 v5, s18, v12
	v_fma_f32 v4, v11, s18, -v4
	v_fmac_f32_e32 v5, s19, v11
	s_waitcnt vmcnt(0)
	v_mul_f32_e32 v6, s11, v3
	v_mul_f32_e32 v3, s10, v3
	v_fma_f32 v6, v2, s10, -v6
	v_fmac_f32_e32 v3, s11, v2
	v_add_f32_e32 v2, v4, v6
	v_add_f32_e32 v3, v5, v3
	global_store_dwordx2 v[0:1], v[2:3], off offset:128
.LBB527_34:
	s_endpgm
	.section	.rodata,"a",@progbits
	.p2align	6, 0x0
	.amdhsa_kernel _ZN12_GLOBAL__N_135rocblas_gemm_batched_general_kernelI19rocblas_complex_numIfELi16ELi16ELi32ELi32ELi8ELi32ELi8ELi8ELi32ELc84ELc67EKS2_S3_S2_EEvlllT_PT11_llS6_llS4_PT12_llPT13_lli
		.amdhsa_group_segment_fixed_size 4096
		.amdhsa_private_segment_fixed_size 0
		.amdhsa_kernarg_size 140
		.amdhsa_user_sgpr_count 6
		.amdhsa_user_sgpr_private_segment_buffer 1
		.amdhsa_user_sgpr_dispatch_ptr 0
		.amdhsa_user_sgpr_queue_ptr 0
		.amdhsa_user_sgpr_kernarg_segment_ptr 1
		.amdhsa_user_sgpr_dispatch_id 0
		.amdhsa_user_sgpr_flat_scratch_init 0
		.amdhsa_user_sgpr_private_segment_size 0
		.amdhsa_wavefront_size32 1
		.amdhsa_uses_dynamic_stack 0
		.amdhsa_system_sgpr_private_segment_wavefront_offset 0
		.amdhsa_system_sgpr_workgroup_id_x 1
		.amdhsa_system_sgpr_workgroup_id_y 1
		.amdhsa_system_sgpr_workgroup_id_z 1
		.amdhsa_system_sgpr_workgroup_info 0
		.amdhsa_system_vgpr_workitem_id 1
		.amdhsa_next_free_vgpr 59
		.amdhsa_next_free_sgpr 36
		.amdhsa_reserve_vcc 1
		.amdhsa_reserve_flat_scratch 0
		.amdhsa_float_round_mode_32 0
		.amdhsa_float_round_mode_16_64 0
		.amdhsa_float_denorm_mode_32 3
		.amdhsa_float_denorm_mode_16_64 3
		.amdhsa_dx10_clamp 1
		.amdhsa_ieee_mode 1
		.amdhsa_fp16_overflow 0
		.amdhsa_workgroup_processor_mode 1
		.amdhsa_memory_ordered 1
		.amdhsa_forward_progress 1
		.amdhsa_shared_vgpr_count 0
		.amdhsa_exception_fp_ieee_invalid_op 0
		.amdhsa_exception_fp_denorm_src 0
		.amdhsa_exception_fp_ieee_div_zero 0
		.amdhsa_exception_fp_ieee_overflow 0
		.amdhsa_exception_fp_ieee_underflow 0
		.amdhsa_exception_fp_ieee_inexact 0
		.amdhsa_exception_int_div_zero 0
	.end_amdhsa_kernel
	.section	.text._ZN12_GLOBAL__N_135rocblas_gemm_batched_general_kernelI19rocblas_complex_numIfELi16ELi16ELi32ELi32ELi8ELi32ELi8ELi8ELi32ELc84ELc67EKS2_S3_S2_EEvlllT_PT11_llS6_llS4_PT12_llPT13_lli,"axG",@progbits,_ZN12_GLOBAL__N_135rocblas_gemm_batched_general_kernelI19rocblas_complex_numIfELi16ELi16ELi32ELi32ELi8ELi32ELi8ELi8ELi32ELc84ELc67EKS2_S3_S2_EEvlllT_PT11_llS6_llS4_PT12_llPT13_lli,comdat
.Lfunc_end527:
	.size	_ZN12_GLOBAL__N_135rocblas_gemm_batched_general_kernelI19rocblas_complex_numIfELi16ELi16ELi32ELi32ELi8ELi32ELi8ELi8ELi32ELc84ELc67EKS2_S3_S2_EEvlllT_PT11_llS6_llS4_PT12_llPT13_lli, .Lfunc_end527-_ZN12_GLOBAL__N_135rocblas_gemm_batched_general_kernelI19rocblas_complex_numIfELi16ELi16ELi32ELi32ELi8ELi32ELi8ELi8ELi32ELc84ELc67EKS2_S3_S2_EEvlllT_PT11_llS6_llS4_PT12_llPT13_lli
                                        ; -- End function
	.set _ZN12_GLOBAL__N_135rocblas_gemm_batched_general_kernelI19rocblas_complex_numIfELi16ELi16ELi32ELi32ELi8ELi32ELi8ELi8ELi32ELc84ELc67EKS2_S3_S2_EEvlllT_PT11_llS6_llS4_PT12_llPT13_lli.num_vgpr, 59
	.set _ZN12_GLOBAL__N_135rocblas_gemm_batched_general_kernelI19rocblas_complex_numIfELi16ELi16ELi32ELi32ELi8ELi32ELi8ELi8ELi32ELc84ELc67EKS2_S3_S2_EEvlllT_PT11_llS6_llS4_PT12_llPT13_lli.num_agpr, 0
	.set _ZN12_GLOBAL__N_135rocblas_gemm_batched_general_kernelI19rocblas_complex_numIfELi16ELi16ELi32ELi32ELi8ELi32ELi8ELi8ELi32ELc84ELc67EKS2_S3_S2_EEvlllT_PT11_llS6_llS4_PT12_llPT13_lli.numbered_sgpr, 36
	.set _ZN12_GLOBAL__N_135rocblas_gemm_batched_general_kernelI19rocblas_complex_numIfELi16ELi16ELi32ELi32ELi8ELi32ELi8ELi8ELi32ELc84ELc67EKS2_S3_S2_EEvlllT_PT11_llS6_llS4_PT12_llPT13_lli.num_named_barrier, 0
	.set _ZN12_GLOBAL__N_135rocblas_gemm_batched_general_kernelI19rocblas_complex_numIfELi16ELi16ELi32ELi32ELi8ELi32ELi8ELi8ELi32ELc84ELc67EKS2_S3_S2_EEvlllT_PT11_llS6_llS4_PT12_llPT13_lli.private_seg_size, 0
	.set _ZN12_GLOBAL__N_135rocblas_gemm_batched_general_kernelI19rocblas_complex_numIfELi16ELi16ELi32ELi32ELi8ELi32ELi8ELi8ELi32ELc84ELc67EKS2_S3_S2_EEvlllT_PT11_llS6_llS4_PT12_llPT13_lli.uses_vcc, 1
	.set _ZN12_GLOBAL__N_135rocblas_gemm_batched_general_kernelI19rocblas_complex_numIfELi16ELi16ELi32ELi32ELi8ELi32ELi8ELi8ELi32ELc84ELc67EKS2_S3_S2_EEvlllT_PT11_llS6_llS4_PT12_llPT13_lli.uses_flat_scratch, 0
	.set _ZN12_GLOBAL__N_135rocblas_gemm_batched_general_kernelI19rocblas_complex_numIfELi16ELi16ELi32ELi32ELi8ELi32ELi8ELi8ELi32ELc84ELc67EKS2_S3_S2_EEvlllT_PT11_llS6_llS4_PT12_llPT13_lli.has_dyn_sized_stack, 0
	.set _ZN12_GLOBAL__N_135rocblas_gemm_batched_general_kernelI19rocblas_complex_numIfELi16ELi16ELi32ELi32ELi8ELi32ELi8ELi8ELi32ELc84ELc67EKS2_S3_S2_EEvlllT_PT11_llS6_llS4_PT12_llPT13_lli.has_recursion, 0
	.set _ZN12_GLOBAL__N_135rocblas_gemm_batched_general_kernelI19rocblas_complex_numIfELi16ELi16ELi32ELi32ELi8ELi32ELi8ELi8ELi32ELc84ELc67EKS2_S3_S2_EEvlllT_PT11_llS6_llS4_PT12_llPT13_lli.has_indirect_call, 0
	.section	.AMDGPU.csdata,"",@progbits
; Kernel info:
; codeLenInByte = 3024
; TotalNumSgprs: 38
; NumVgprs: 59
; ScratchSize: 0
; MemoryBound: 1
; FloatMode: 240
; IeeeMode: 1
; LDSByteSize: 4096 bytes/workgroup (compile time only)
; SGPRBlocks: 0
; VGPRBlocks: 7
; NumSGPRsForWavesPerEU: 38
; NumVGPRsForWavesPerEU: 59
; Occupancy: 16
; WaveLimiterHint : 1
; COMPUTE_PGM_RSRC2:SCRATCH_EN: 0
; COMPUTE_PGM_RSRC2:USER_SGPR: 6
; COMPUTE_PGM_RSRC2:TRAP_HANDLER: 0
; COMPUTE_PGM_RSRC2:TGID_X_EN: 1
; COMPUTE_PGM_RSRC2:TGID_Y_EN: 1
; COMPUTE_PGM_RSRC2:TGID_Z_EN: 1
; COMPUTE_PGM_RSRC2:TIDIG_COMP_CNT: 1
	.section	.text._ZN12_GLOBAL__N_120gemm_ex_scale_kernelILi32ELi32E19rocblas_complex_numIdEPKS2_PS2_EEviiT1_T2_lllT3_llli,"axG",@progbits,_ZN12_GLOBAL__N_120gemm_ex_scale_kernelILi32ELi32E19rocblas_complex_numIdEPKS2_PS2_EEviiT1_T2_lllT3_llli,comdat
	.globl	_ZN12_GLOBAL__N_120gemm_ex_scale_kernelILi32ELi32E19rocblas_complex_numIdEPKS2_PS2_EEviiT1_T2_lllT3_llli ; -- Begin function _ZN12_GLOBAL__N_120gemm_ex_scale_kernelILi32ELi32E19rocblas_complex_numIdEPKS2_PS2_EEviiT1_T2_lllT3_llli
	.p2align	8
	.type	_ZN12_GLOBAL__N_120gemm_ex_scale_kernelILi32ELi32E19rocblas_complex_numIdEPKS2_PS2_EEviiT1_T2_lllT3_llli,@function
_ZN12_GLOBAL__N_120gemm_ex_scale_kernelILi32ELi32E19rocblas_complex_numIdEPKS2_PS2_EEviiT1_T2_lllT3_llli: ; @_ZN12_GLOBAL__N_120gemm_ex_scale_kernelILi32ELi32E19rocblas_complex_numIdEPKS2_PS2_EEviiT1_T2_lllT3_llli
; %bb.0:
	s_load_dwordx2 s[0:1], s[4:5], 0x0
	v_lshl_add_u32 v4, s6, 5, v0
	v_lshl_add_u32 v6, s7, 5, v1
	s_waitcnt lgkmcnt(0)
	v_cmp_gt_u32_e32 vcc_lo, s0, v4
	v_cmp_gt_u32_e64 s0, s1, v6
	s_and_b32 s0, vcc_lo, s0
	s_and_saveexec_b32 s1, s0
	s_cbranch_execz .LBB528_6
; %bb.1:
	s_load_dwordx16 s[12:27], s[4:5], 0x8
	v_mov_b32_e32 v5, 0
	s_waitcnt lgkmcnt(0)
	v_cmp_neq_f64_e64 s0, s[14:15], 0
	v_cmp_neq_f64_e64 s1, s[12:13], 0
	s_or_b32 s0, s1, s0
	s_and_b32 vcc_lo, exec_lo, s0
	s_mov_b32 s0, 0
	s_cbranch_vccz .LBB528_3
; %bb.2:
	s_mov_b32 s0, -1
.LBB528_3:
	v_mov_b32_e32 v2, 0
	v_mov_b32_e32 v0, 0
	;; [unrolled: 1-line block ×4, first 2 shown]
	s_andn2_b32 vcc_lo, exec_lo, s0
	s_cbranch_vccnz .LBB528_5
; %bb.4:
	v_mad_u64_u32 v[0:1], null, s20, v6, 0
	s_mul_i32 s1, s23, s8
	s_mul_hi_u32 s2, s22, s8
	s_mul_i32 s0, s22, s8
	s_add_i32 s1, s2, s1
	s_lshl_b64 s[0:1], s[0:1], 4
	v_mad_u64_u32 v[1:2], null, s21, v6, v[1:2]
	s_add_u32 s2, s16, s0
	s_addc_u32 s3, s17, s1
	s_lshl_b64 s[0:1], s[18:19], 4
	v_lshlrev_b64 v[2:3], 4, v[4:5]
	s_add_u32 s0, s2, s0
	s_addc_u32 s1, s3, s1
	v_lshlrev_b64 v[0:1], 4, v[0:1]
	v_add_co_u32 v0, vcc_lo, s0, v0
	v_add_co_ci_u32_e64 v1, null, s1, v1, vcc_lo
	v_add_co_u32 v0, vcc_lo, v0, v2
	v_add_co_ci_u32_e64 v1, null, v1, v3, vcc_lo
	global_load_dwordx4 v[7:10], v[0:1], off
	s_waitcnt vmcnt(0)
	v_mul_f64 v[0:1], s[14:15], v[9:10]
	v_mul_f64 v[2:3], s[12:13], v[9:10]
	v_fma_f64 v[0:1], s[12:13], v[7:8], -v[0:1]
	v_fma_f64 v[2:3], s[14:15], v[7:8], v[2:3]
.LBB528_5:
	s_load_dwordx4 s[0:3], s[4:5], 0x48
	v_lshlrev_b64 v[4:5], 4, v[4:5]
	s_waitcnt lgkmcnt(0)
	v_mad_u64_u32 v[7:8], null, s0, v6, 0
	s_mul_i32 s0, s2, s8
	v_mad_u64_u32 v[8:9], null, s1, v6, v[8:9]
	s_mul_i32 s1, s3, s8
	s_mul_hi_u32 s3, s2, s8
	s_add_i32 s1, s3, s1
	s_lshl_b64 s[0:1], s[0:1], 4
	v_lshlrev_b64 v[6:7], 4, v[7:8]
	s_add_u32 s2, s24, s0
	s_addc_u32 s3, s25, s1
	s_lshl_b64 s[0:1], s[26:27], 4
	s_add_u32 s0, s2, s0
	s_addc_u32 s1, s3, s1
	v_add_co_u32 v6, vcc_lo, s0, v6
	v_add_co_ci_u32_e64 v7, null, s1, v7, vcc_lo
	v_add_co_u32 v4, vcc_lo, v6, v4
	v_add_co_ci_u32_e64 v5, null, v7, v5, vcc_lo
	global_store_dwordx4 v[4:5], v[0:3], off
.LBB528_6:
	s_endpgm
	.section	.rodata,"a",@progbits
	.p2align	6, 0x0
	.amdhsa_kernel _ZN12_GLOBAL__N_120gemm_ex_scale_kernelILi32ELi32E19rocblas_complex_numIdEPKS2_PS2_EEviiT1_T2_lllT3_llli
		.amdhsa_group_segment_fixed_size 0
		.amdhsa_private_segment_fixed_size 0
		.amdhsa_kernarg_size 92
		.amdhsa_user_sgpr_count 6
		.amdhsa_user_sgpr_private_segment_buffer 1
		.amdhsa_user_sgpr_dispatch_ptr 0
		.amdhsa_user_sgpr_queue_ptr 0
		.amdhsa_user_sgpr_kernarg_segment_ptr 1
		.amdhsa_user_sgpr_dispatch_id 0
		.amdhsa_user_sgpr_flat_scratch_init 0
		.amdhsa_user_sgpr_private_segment_size 0
		.amdhsa_wavefront_size32 1
		.amdhsa_uses_dynamic_stack 0
		.amdhsa_system_sgpr_private_segment_wavefront_offset 0
		.amdhsa_system_sgpr_workgroup_id_x 1
		.amdhsa_system_sgpr_workgroup_id_y 1
		.amdhsa_system_sgpr_workgroup_id_z 1
		.amdhsa_system_sgpr_workgroup_info 0
		.amdhsa_system_vgpr_workitem_id 1
		.amdhsa_next_free_vgpr 11
		.amdhsa_next_free_sgpr 28
		.amdhsa_reserve_vcc 1
		.amdhsa_reserve_flat_scratch 0
		.amdhsa_float_round_mode_32 0
		.amdhsa_float_round_mode_16_64 0
		.amdhsa_float_denorm_mode_32 3
		.amdhsa_float_denorm_mode_16_64 3
		.amdhsa_dx10_clamp 1
		.amdhsa_ieee_mode 1
		.amdhsa_fp16_overflow 0
		.amdhsa_workgroup_processor_mode 1
		.amdhsa_memory_ordered 1
		.amdhsa_forward_progress 1
		.amdhsa_shared_vgpr_count 0
		.amdhsa_exception_fp_ieee_invalid_op 0
		.amdhsa_exception_fp_denorm_src 0
		.amdhsa_exception_fp_ieee_div_zero 0
		.amdhsa_exception_fp_ieee_overflow 0
		.amdhsa_exception_fp_ieee_underflow 0
		.amdhsa_exception_fp_ieee_inexact 0
		.amdhsa_exception_int_div_zero 0
	.end_amdhsa_kernel
	.section	.text._ZN12_GLOBAL__N_120gemm_ex_scale_kernelILi32ELi32E19rocblas_complex_numIdEPKS2_PS2_EEviiT1_T2_lllT3_llli,"axG",@progbits,_ZN12_GLOBAL__N_120gemm_ex_scale_kernelILi32ELi32E19rocblas_complex_numIdEPKS2_PS2_EEviiT1_T2_lllT3_llli,comdat
.Lfunc_end528:
	.size	_ZN12_GLOBAL__N_120gemm_ex_scale_kernelILi32ELi32E19rocblas_complex_numIdEPKS2_PS2_EEviiT1_T2_lllT3_llli, .Lfunc_end528-_ZN12_GLOBAL__N_120gemm_ex_scale_kernelILi32ELi32E19rocblas_complex_numIdEPKS2_PS2_EEviiT1_T2_lllT3_llli
                                        ; -- End function
	.set _ZN12_GLOBAL__N_120gemm_ex_scale_kernelILi32ELi32E19rocblas_complex_numIdEPKS2_PS2_EEviiT1_T2_lllT3_llli.num_vgpr, 11
	.set _ZN12_GLOBAL__N_120gemm_ex_scale_kernelILi32ELi32E19rocblas_complex_numIdEPKS2_PS2_EEviiT1_T2_lllT3_llli.num_agpr, 0
	.set _ZN12_GLOBAL__N_120gemm_ex_scale_kernelILi32ELi32E19rocblas_complex_numIdEPKS2_PS2_EEviiT1_T2_lllT3_llli.numbered_sgpr, 28
	.set _ZN12_GLOBAL__N_120gemm_ex_scale_kernelILi32ELi32E19rocblas_complex_numIdEPKS2_PS2_EEviiT1_T2_lllT3_llli.num_named_barrier, 0
	.set _ZN12_GLOBAL__N_120gemm_ex_scale_kernelILi32ELi32E19rocblas_complex_numIdEPKS2_PS2_EEviiT1_T2_lllT3_llli.private_seg_size, 0
	.set _ZN12_GLOBAL__N_120gemm_ex_scale_kernelILi32ELi32E19rocblas_complex_numIdEPKS2_PS2_EEviiT1_T2_lllT3_llli.uses_vcc, 1
	.set _ZN12_GLOBAL__N_120gemm_ex_scale_kernelILi32ELi32E19rocblas_complex_numIdEPKS2_PS2_EEviiT1_T2_lllT3_llli.uses_flat_scratch, 0
	.set _ZN12_GLOBAL__N_120gemm_ex_scale_kernelILi32ELi32E19rocblas_complex_numIdEPKS2_PS2_EEviiT1_T2_lllT3_llli.has_dyn_sized_stack, 0
	.set _ZN12_GLOBAL__N_120gemm_ex_scale_kernelILi32ELi32E19rocblas_complex_numIdEPKS2_PS2_EEviiT1_T2_lllT3_llli.has_recursion, 0
	.set _ZN12_GLOBAL__N_120gemm_ex_scale_kernelILi32ELi32E19rocblas_complex_numIdEPKS2_PS2_EEviiT1_T2_lllT3_llli.has_indirect_call, 0
	.section	.AMDGPU.csdata,"",@progbits
; Kernel info:
; codeLenInByte = 404
; TotalNumSgprs: 30
; NumVgprs: 11
; ScratchSize: 0
; MemoryBound: 0
; FloatMode: 240
; IeeeMode: 1
; LDSByteSize: 0 bytes/workgroup (compile time only)
; SGPRBlocks: 0
; VGPRBlocks: 1
; NumSGPRsForWavesPerEU: 30
; NumVGPRsForWavesPerEU: 11
; Occupancy: 16
; WaveLimiterHint : 0
; COMPUTE_PGM_RSRC2:SCRATCH_EN: 0
; COMPUTE_PGM_RSRC2:USER_SGPR: 6
; COMPUTE_PGM_RSRC2:TRAP_HANDLER: 0
; COMPUTE_PGM_RSRC2:TGID_X_EN: 1
; COMPUTE_PGM_RSRC2:TGID_Y_EN: 1
; COMPUTE_PGM_RSRC2:TGID_Z_EN: 1
; COMPUTE_PGM_RSRC2:TIDIG_COMP_CNT: 1
	.section	.text._ZN12_GLOBAL__N_127rocblas_gemm_batched_kernelI19rocblas_complex_numIdELi16ELi16ELi64ELi64ELi4ELi64ELi4ELi4ELi64ELc78ELc78EKS2_S3_S2_EEvlllT_PT11_llS6_llS4_PT12_llPT13_lli,"axG",@progbits,_ZN12_GLOBAL__N_127rocblas_gemm_batched_kernelI19rocblas_complex_numIdELi16ELi16ELi64ELi64ELi4ELi64ELi4ELi4ELi64ELc78ELc78EKS2_S3_S2_EEvlllT_PT11_llS6_llS4_PT12_llPT13_lli,comdat
	.globl	_ZN12_GLOBAL__N_127rocblas_gemm_batched_kernelI19rocblas_complex_numIdELi16ELi16ELi64ELi64ELi4ELi64ELi4ELi4ELi64ELc78ELc78EKS2_S3_S2_EEvlllT_PT11_llS6_llS4_PT12_llPT13_lli ; -- Begin function _ZN12_GLOBAL__N_127rocblas_gemm_batched_kernelI19rocblas_complex_numIdELi16ELi16ELi64ELi64ELi4ELi64ELi4ELi4ELi64ELc78ELc78EKS2_S3_S2_EEvlllT_PT11_llS6_llS4_PT12_llPT13_lli
	.p2align	8
	.type	_ZN12_GLOBAL__N_127rocblas_gemm_batched_kernelI19rocblas_complex_numIdELi16ELi16ELi64ELi64ELi4ELi64ELi4ELi4ELi64ELc78ELc78EKS2_S3_S2_EEvlllT_PT11_llS6_llS4_PT12_llPT13_lli,@function
_ZN12_GLOBAL__N_127rocblas_gemm_batched_kernelI19rocblas_complex_numIdELi16ELi16ELi64ELi64ELi4ELi64ELi4ELi4ELi64ELc78ELc78EKS2_S3_S2_EEvlllT_PT11_llS6_llS4_PT12_llPT13_lli: ; @_ZN12_GLOBAL__N_127rocblas_gemm_batched_kernelI19rocblas_complex_numIdELi16ELi16ELi64ELi64ELi4ELi64ELi4ELi4ELi64ELc78ELc78EKS2_S3_S2_EEvlllT_PT11_llS6_llS4_PT12_llPT13_lli
; %bb.0:
	s_clause 0x1
	s_load_dwordx16 s[12:27], s[4:5], 0x10
	s_load_dwordx16 s[36:51], s[4:5], 0x50
	s_mov_b32 s2, s7
	s_ashr_i32 s7, s6, 31
	s_ashr_i32 s3, s2, 31
	s_lshl_b64 s[0:1], s[6:7], 6
	s_lshl_b64 s[2:3], s[2:3], 6
	s_waitcnt lgkmcnt(0)
	v_cmp_lt_i64_e64 s9, s[12:13], 1
	s_and_b32 vcc_lo, exec_lo, s9
	s_cbranch_vccnz .LBB529_3
; %bb.1:
	v_lshl_add_u32 v2, v1, 4, v0
	v_and_b32_e32 v3, 3, v0
	s_mul_i32 s6, s23, s8
	s_mul_hi_u32 s7, s22, s8
	v_mov_b32_e32 v76, 0
	v_lshrrev_b32_e32 v4, 6, v2
	v_lshrrev_b32_e32 v5, 2, v2
	v_lshlrev_b32_e32 v7, 4, v3
	v_and_b32_e32 v6, 63, v2
	s_add_i32 s7, s7, s6
	v_mad_u64_u32 v[2:3], null, s20, v4, s[0:1]
	v_lshl_or_b32 v9, v5, 6, v7
	v_add_co_u32 v5, s6, v5, s2
	v_lshlrev_b32_e32 v8, 4, v6
	v_add_co_ci_u32_e64 v10, null, 0, s3, s6
	v_add_nc_u32_e32 v92, 0x1000, v9
	s_mul_i32 s6, s22, s8
	v_lshl_or_b32 v91, v4, 10, v8
	v_mad_u64_u32 v[3:4], null, s21, v4, v[3:4]
	v_mul_lo_u32 v8, s27, v5
	v_mul_lo_u32 v9, s26, v10
	v_mad_u64_u32 v[4:5], null, s26, v5, 0
	v_add_co_u32 v2, vcc_lo, v2, v6
	s_lshl_b64 s[6:7], s[6:7], 4
	v_add_co_ci_u32_e64 v3, null, 0, v3, vcc_lo
	s_add_u32 s9, s18, s6
	v_add3_u32 v5, v5, v9, v8
	s_addc_u32 s10, s19, s7
	s_mul_i32 s6, s37, s8
	s_mul_hi_u32 s7, s36, s8
	v_lshlrev_b64 v[2:3], 4, v[2:3]
	v_lshlrev_b64 v[4:5], 4, v[4:5]
	s_add_i32 s7, s7, s6
	s_mul_i32 s6, s36, s8
	v_mov_b32_e32 v74, 0
	s_lshl_b64 s[6:7], s[6:7], 4
	v_mov_b32_e32 v12, 0
	v_add_co_u32 v4, vcc_lo, v4, s6
	v_add_co_ci_u32_e64 v5, null, s7, v5, vcc_lo
	v_add_co_u32 v26, vcc_lo, s9, v2
	v_add_co_ci_u32_e64 v27, null, s10, v3, vcc_lo
	;; [unrolled: 2-line block ×3, first 2 shown]
	v_mov_b32_e32 v10, 0
	v_add_co_u32 v28, vcc_lo, s24, v2
	v_mov_b32_e32 v16, 0
	v_mov_b32_e32 v14, 0
	;; [unrolled: 1-line block ×28, first 2 shown]
	v_lshlrev_b32_e32 v90, 4, v0
	v_lshl_add_u32 v93, v1, 6, 0x1000
	v_mov_b32_e32 v77, 0
	v_mov_b32_e32 v75, 0
	;; [unrolled: 1-line block ×32, first 2 shown]
	v_add_co_ci_u32_e64 v29, null, s25, v3, vcc_lo
	s_lshl_b64 s[6:7], s[20:21], 6
	s_mov_b64 s[10:11], 0
.LBB529_2:                              ; =>This Inner Loop Header: Depth=1
	global_load_dwordx4 v[2:5], v[26:27], off
	s_add_u32 s10, s10, 4
	s_addc_u32 s11, s11, 0
	v_add_co_u32 v26, vcc_lo, v26, s6
	v_cmp_lt_i64_e64 s9, s[10:11], s[12:13]
	v_add_co_ci_u32_e64 v27, null, s7, v27, vcc_lo
	s_waitcnt vmcnt(0)
	ds_write2_b64 v91, v[2:3], v[4:5] offset1:1
	global_load_dwordx4 v[2:5], v[28:29], off
	v_add_co_u32 v28, vcc_lo, v28, 64
	v_add_co_ci_u32_e64 v29, null, 0, v29, vcc_lo
	s_and_b32 vcc_lo, exec_lo, s9
	s_waitcnt vmcnt(0)
	ds_write2_b64 v92, v[2:3], v[4:5] offset1:1
	s_waitcnt lgkmcnt(0)
	s_barrier
	buffer_gl0_inv
	ds_read_b128 v[78:81], v93
	ds_read_b128 v[82:85], v93 offset:16
	ds_read_b128 v[6:9], v93 offset:32
	ds_read_b128 v[2:5], v93 offset:48
	ds_read_b128 v[86:89], v90
	s_waitcnt lgkmcnt(0)
	v_mul_f64 v[94:95], v[80:81], v[88:89]
	v_mul_f64 v[96:97], v[78:79], v[88:89]
	v_fma_f64 v[94:95], v[78:79], v[86:87], -v[94:95]
	v_fma_f64 v[96:97], v[80:81], v[86:87], v[96:97]
	v_add_f64 v[98:99], v[48:49], v[94:95]
	v_add_f64 v[100:101], v[96:97], v[52:53]
	ds_read_b128 v[94:97], v90 offset:256
	s_waitcnt lgkmcnt(0)
	v_mul_f64 v[48:49], v[80:81], v[96:97]
	v_mul_f64 v[52:53], v[78:79], v[96:97]
	v_fma_f64 v[48:49], v[78:79], v[94:95], -v[48:49]
	v_fma_f64 v[52:53], v[80:81], v[94:95], v[52:53]
	v_add_f64 v[102:103], v[34:35], v[48:49]
	v_add_f64 v[104:105], v[52:53], v[36:37]
	ds_read_b128 v[34:37], v90 offset:512
	;; [unrolled: 8-line block ×4, first 2 shown]
	s_waitcnt lgkmcnt(0)
	v_mul_f64 v[48:49], v[24:25], v[88:89]
	v_mul_f64 v[52:53], v[22:23], v[88:89]
	v_fma_f64 v[48:49], v[22:23], v[86:87], -v[48:49]
	v_fma_f64 v[52:53], v[24:25], v[86:87], v[52:53]
	v_add_f64 v[70:71], v[70:71], v[48:49]
	v_mul_f64 v[48:49], v[24:25], v[96:97]
	v_add_f64 v[72:73], v[52:53], v[72:73]
	v_mul_f64 v[52:53], v[22:23], v[96:97]
	v_fma_f64 v[48:49], v[22:23], v[94:95], -v[48:49]
	v_fma_f64 v[52:53], v[24:25], v[94:95], v[52:53]
	v_add_f64 v[110:111], v[62:63], v[48:49]
	v_mul_f64 v[48:49], v[24:25], v[36:37]
	v_add_f64 v[112:113], v[52:53], v[64:65]
	;; [unrolled: 6-line block ×3, first 2 shown]
	v_fma_f64 v[48:49], v[22:23], v[30:31], -v[48:49]
	v_mul_f64 v[22:23], v[22:23], v[32:33]
	v_add_f64 v[118:119], v[42:43], v[48:49]
	v_fma_f64 v[22:23], v[24:25], v[30:31], v[22:23]
	v_add_f64 v[120:121], v[22:23], v[46:47]
	ds_read_b128 v[22:25], v93 offset:2048
	s_waitcnt lgkmcnt(0)
	v_mul_f64 v[42:43], v[24:25], v[88:89]
	v_mul_f64 v[46:47], v[22:23], v[88:89]
	v_fma_f64 v[42:43], v[22:23], v[86:87], -v[42:43]
	v_fma_f64 v[46:47], v[24:25], v[86:87], v[46:47]
	v_add_f64 v[122:123], v[66:67], v[42:43]
	v_mul_f64 v[42:43], v[24:25], v[96:97]
	v_add_f64 v[124:125], v[46:47], v[68:69]
	v_mul_f64 v[46:47], v[22:23], v[96:97]
	v_fma_f64 v[42:43], v[22:23], v[94:95], -v[42:43]
	v_fma_f64 v[46:47], v[24:25], v[94:95], v[46:47]
	v_add_f64 v[126:127], v[56:57], v[42:43]
	v_mul_f64 v[42:43], v[24:25], v[36:37]
	v_add_f64 v[128:129], v[46:47], v[60:61]
	v_mul_f64 v[46:47], v[22:23], v[36:37]
	v_fma_f64 v[42:43], v[22:23], v[34:35], -v[42:43]
	v_fma_f64 v[46:47], v[24:25], v[34:35], v[46:47]
	v_add_f64 v[130:131], v[44:45], v[42:43]
	v_mul_f64 v[42:43], v[24:25], v[32:33]
	v_add_f64 v[132:133], v[46:47], v[50:51]
	v_fma_f64 v[42:43], v[22:23], v[30:31], -v[42:43]
	v_mul_f64 v[22:23], v[22:23], v[32:33]
	v_add_f64 v[134:135], v[38:39], v[42:43]
	v_fma_f64 v[22:23], v[24:25], v[30:31], v[22:23]
	v_add_f64 v[136:137], v[22:23], v[40:41]
	ds_read_b128 v[22:25], v93 offset:3072
	s_waitcnt lgkmcnt(0)
	v_mul_f64 v[38:39], v[24:25], v[88:89]
	v_mul_f64 v[40:41], v[22:23], v[88:89]
	v_fma_f64 v[38:39], v[22:23], v[86:87], -v[38:39]
	v_fma_f64 v[40:41], v[24:25], v[86:87], v[40:41]
	v_add_f64 v[58:59], v[18:19], v[38:39]
	v_add_f64 v[60:61], v[40:41], v[20:21]
	v_mul_f64 v[18:19], v[24:25], v[96:97]
	v_mul_f64 v[20:21], v[22:23], v[96:97]
	v_fma_f64 v[18:19], v[22:23], v[94:95], -v[18:19]
	v_fma_f64 v[20:21], v[24:25], v[94:95], v[20:21]
	v_add_f64 v[54:55], v[14:15], v[18:19]
	v_add_f64 v[56:57], v[20:21], v[16:17]
	v_mul_f64 v[14:15], v[24:25], v[36:37]
	v_mul_f64 v[16:17], v[22:23], v[36:37]
	ds_read_b128 v[18:21], v90 offset:1280
	v_fma_f64 v[14:15], v[22:23], v[34:35], -v[14:15]
	v_fma_f64 v[16:17], v[24:25], v[34:35], v[16:17]
	v_add_f64 v[50:51], v[10:11], v[14:15]
	v_add_f64 v[52:53], v[16:17], v[12:13]
	v_mul_f64 v[10:11], v[24:25], v[32:33]
	v_mul_f64 v[12:13], v[22:23], v[32:33]
	ds_read_b128 v[14:17], v90 offset:1536
	v_fma_f64 v[10:11], v[22:23], v[30:31], -v[10:11]
	v_fma_f64 v[12:13], v[24:25], v[30:31], v[12:13]
	ds_read_b128 v[22:25], v90 offset:1024
	v_add_f64 v[46:47], v[74:75], v[10:11]
	v_add_f64 v[48:49], v[12:13], v[76:77]
	s_waitcnt lgkmcnt(0)
	v_mul_f64 v[10:11], v[84:85], v[24:25]
	v_mul_f64 v[12:13], v[82:83], v[24:25]
	ds_read_b128 v[74:77], v93 offset:1040
	v_fma_f64 v[10:11], v[82:83], v[22:23], -v[10:11]
	v_fma_f64 v[12:13], v[84:85], v[22:23], v[12:13]
	s_waitcnt lgkmcnt(0)
	v_mul_f64 v[62:63], v[76:77], v[24:25]
	v_mul_f64 v[64:65], v[74:75], v[24:25]
	;; [unrolled: 1-line block ×4, first 2 shown]
	v_add_f64 v[42:43], v[98:99], v[10:11]
	v_add_f64 v[44:45], v[12:13], v[100:101]
	v_mul_f64 v[10:11], v[84:85], v[20:21]
	v_mul_f64 v[12:13], v[82:83], v[20:21]
	v_fma_f64 v[62:63], v[74:75], v[22:23], -v[62:63]
	v_fma_f64 v[64:65], v[76:77], v[22:23], v[64:65]
	v_fma_f64 v[66:67], v[74:75], v[18:19], -v[66:67]
	v_fma_f64 v[68:69], v[76:77], v[18:19], v[68:69]
	v_fma_f64 v[10:11], v[82:83], v[18:19], -v[10:11]
	v_fma_f64 v[12:13], v[84:85], v[18:19], v[12:13]
	v_add_f64 v[62:63], v[70:71], v[62:63]
	v_mul_f64 v[70:71], v[76:77], v[16:17]
	v_add_f64 v[64:65], v[64:65], v[72:73]
	v_mul_f64 v[72:73], v[74:75], v[16:17]
	v_add_f64 v[66:67], v[110:111], v[66:67]
	v_add_f64 v[68:69], v[68:69], v[112:113]
	;; [unrolled: 1-line block ×4, first 2 shown]
	v_mul_f64 v[10:11], v[84:85], v[16:17]
	v_mul_f64 v[12:13], v[82:83], v[16:17]
	v_fma_f64 v[70:71], v[74:75], v[14:15], -v[70:71]
	v_fma_f64 v[72:73], v[76:77], v[14:15], v[72:73]
	v_fma_f64 v[10:11], v[82:83], v[14:15], -v[10:11]
	v_fma_f64 v[12:13], v[84:85], v[14:15], v[12:13]
	v_add_f64 v[70:71], v[114:115], v[70:71]
	v_add_f64 v[72:73], v[72:73], v[116:117]
	;; [unrolled: 1-line block ×4, first 2 shown]
	ds_read_b128 v[10:13], v90 offset:1792
	s_waitcnt lgkmcnt(0)
	v_mul_f64 v[30:31], v[84:85], v[12:13]
	v_mul_f64 v[32:33], v[82:83], v[12:13]
	v_fma_f64 v[30:31], v[82:83], v[10:11], -v[30:31]
	v_fma_f64 v[32:33], v[84:85], v[10:11], v[32:33]
	v_add_f64 v[30:31], v[78:79], v[30:31]
	v_mul_f64 v[78:79], v[76:77], v[12:13]
	v_add_f64 v[32:33], v[32:33], v[80:81]
	v_fma_f64 v[78:79], v[74:75], v[10:11], -v[78:79]
	v_mul_f64 v[74:75], v[74:75], v[12:13]
	v_fma_f64 v[76:77], v[76:77], v[10:11], v[74:75]
	v_add_f64 v[74:75], v[118:119], v[78:79]
	ds_read_b128 v[78:81], v93 offset:2064
	s_waitcnt lgkmcnt(0)
	v_mul_f64 v[82:83], v[80:81], v[24:25]
	v_mul_f64 v[86:87], v[80:81], v[20:21]
	;; [unrolled: 1-line block ×7, first 2 shown]
	v_add_f64 v[76:77], v[76:77], v[120:121]
	v_fma_f64 v[82:83], v[78:79], v[22:23], -v[82:83]
	v_fma_f64 v[86:87], v[78:79], v[18:19], -v[86:87]
	;; [unrolled: 1-line block ×4, first 2 shown]
	v_mul_f64 v[78:79], v[78:79], v[12:13]
	v_fma_f64 v[84:85], v[80:81], v[22:23], v[84:85]
	v_fma_f64 v[88:89], v[80:81], v[18:19], v[88:89]
	;; [unrolled: 1-line block ×3, first 2 shown]
	v_add_f64 v[82:83], v[122:123], v[82:83]
	v_add_f64 v[86:87], v[126:127], v[86:87]
	;; [unrolled: 1-line block ×4, first 2 shown]
	v_fma_f64 v[78:79], v[80:81], v[10:11], v[78:79]
	v_add_f64 v[84:85], v[84:85], v[124:125]
	v_add_f64 v[88:89], v[88:89], v[128:129]
	;; [unrolled: 1-line block ×4, first 2 shown]
	ds_read_b128 v[78:81], v93 offset:3088
	s_waitcnt lgkmcnt(0)
	v_mul_f64 v[102:103], v[80:81], v[24:25]
	v_mul_f64 v[24:25], v[78:79], v[24:25]
	v_fma_f64 v[102:103], v[78:79], v[22:23], -v[102:103]
	v_fma_f64 v[22:23], v[80:81], v[22:23], v[24:25]
	v_add_f64 v[58:59], v[58:59], v[102:103]
	v_add_f64 v[60:61], v[22:23], v[60:61]
	v_mul_f64 v[22:23], v[80:81], v[20:21]
	v_mul_f64 v[20:21], v[78:79], v[20:21]
	v_fma_f64 v[22:23], v[78:79], v[18:19], -v[22:23]
	v_fma_f64 v[18:19], v[80:81], v[18:19], v[20:21]
	v_add_f64 v[54:55], v[54:55], v[22:23]
	v_add_f64 v[56:57], v[18:19], v[56:57]
	;; [unrolled: 6-line block ×4, first 2 shown]
	ds_read_b128 v[10:13], v90 offset:2048
	s_waitcnt lgkmcnt(0)
	v_mul_f64 v[14:15], v[8:9], v[12:13]
	v_mul_f64 v[16:17], v[6:7], v[12:13]
	v_fma_f64 v[14:15], v[6:7], v[10:11], -v[14:15]
	v_fma_f64 v[16:17], v[8:9], v[10:11], v[16:17]
	v_add_f64 v[42:43], v[42:43], v[14:15]
	v_add_f64 v[44:45], v[16:17], v[44:45]
	ds_read_b128 v[14:17], v90 offset:2304
	s_waitcnt lgkmcnt(0)
	v_mul_f64 v[18:19], v[8:9], v[16:17]
	v_mul_f64 v[20:21], v[6:7], v[16:17]
	v_fma_f64 v[18:19], v[6:7], v[14:15], -v[18:19]
	v_fma_f64 v[20:21], v[8:9], v[14:15], v[20:21]
	v_add_f64 v[38:39], v[38:39], v[18:19]
	v_add_f64 v[40:41], v[20:21], v[40:41]
	;; [unrolled: 8-line block ×3, first 2 shown]
	ds_read_b128 v[22:25], v90 offset:2816
	s_waitcnt lgkmcnt(0)
	v_mul_f64 v[34:35], v[8:9], v[24:25]
	v_fma_f64 v[34:35], v[6:7], v[22:23], -v[34:35]
	v_mul_f64 v[6:7], v[6:7], v[24:25]
	v_add_f64 v[106:107], v[30:31], v[34:35]
	v_fma_f64 v[6:7], v[8:9], v[22:23], v[6:7]
	v_add_f64 v[108:109], v[6:7], v[32:33]
	ds_read_b128 v[6:9], v93 offset:1056
	s_waitcnt lgkmcnt(0)
	v_mul_f64 v[30:31], v[8:9], v[12:13]
	v_mul_f64 v[32:33], v[6:7], v[12:13]
	v_fma_f64 v[30:31], v[6:7], v[10:11], -v[30:31]
	v_fma_f64 v[32:33], v[8:9], v[10:11], v[32:33]
	v_add_f64 v[62:63], v[62:63], v[30:31]
	v_mul_f64 v[30:31], v[8:9], v[16:17]
	v_add_f64 v[64:65], v[32:33], v[64:65]
	v_mul_f64 v[32:33], v[6:7], v[16:17]
	v_fma_f64 v[30:31], v[6:7], v[14:15], -v[30:31]
	v_fma_f64 v[32:33], v[8:9], v[14:15], v[32:33]
	v_add_f64 v[66:67], v[66:67], v[30:31]
	v_mul_f64 v[30:31], v[8:9], v[20:21]
	v_add_f64 v[68:69], v[32:33], v[68:69]
	;; [unrolled: 6-line block ×3, first 2 shown]
	v_fma_f64 v[30:31], v[6:7], v[22:23], -v[30:31]
	v_mul_f64 v[6:7], v[6:7], v[24:25]
	v_add_f64 v[114:115], v[74:75], v[30:31]
	v_fma_f64 v[6:7], v[8:9], v[22:23], v[6:7]
	v_add_f64 v[116:117], v[6:7], v[76:77]
	ds_read_b128 v[6:9], v93 offset:2080
	s_waitcnt lgkmcnt(0)
	v_mul_f64 v[30:31], v[8:9], v[12:13]
	v_mul_f64 v[32:33], v[6:7], v[12:13]
	v_fma_f64 v[30:31], v[6:7], v[10:11], -v[30:31]
	v_fma_f64 v[32:33], v[8:9], v[10:11], v[32:33]
	v_add_f64 v[118:119], v[82:83], v[30:31]
	v_mul_f64 v[30:31], v[8:9], v[16:17]
	v_add_f64 v[120:121], v[32:33], v[84:85]
	v_mul_f64 v[32:33], v[6:7], v[16:17]
	v_fma_f64 v[30:31], v[6:7], v[14:15], -v[30:31]
	v_fma_f64 v[32:33], v[8:9], v[14:15], v[32:33]
	v_add_f64 v[122:123], v[86:87], v[30:31]
	v_mul_f64 v[30:31], v[8:9], v[20:21]
	v_add_f64 v[124:125], v[32:33], v[88:89]
	v_mul_f64 v[32:33], v[6:7], v[20:21]
	v_fma_f64 v[30:31], v[6:7], v[18:19], -v[30:31]
	v_fma_f64 v[32:33], v[8:9], v[18:19], v[32:33]
	v_add_f64 v[94:95], v[94:95], v[30:31]
	v_mul_f64 v[30:31], v[8:9], v[24:25]
	v_add_f64 v[96:97], v[32:33], v[96:97]
	v_fma_f64 v[30:31], v[6:7], v[22:23], -v[30:31]
	v_mul_f64 v[6:7], v[6:7], v[24:25]
	v_add_f64 v[98:99], v[98:99], v[30:31]
	v_fma_f64 v[6:7], v[8:9], v[22:23], v[6:7]
	v_add_f64 v[100:101], v[6:7], v[100:101]
	ds_read_b128 v[6:9], v93 offset:3104
	s_waitcnt lgkmcnt(0)
	v_mul_f64 v[30:31], v[8:9], v[12:13]
	v_mul_f64 v[12:13], v[6:7], v[12:13]
	v_fma_f64 v[30:31], v[6:7], v[10:11], -v[30:31]
	v_fma_f64 v[10:11], v[8:9], v[10:11], v[12:13]
	v_mul_f64 v[12:13], v[6:7], v[16:17]
	v_add_f64 v[86:87], v[58:59], v[30:31]
	v_add_f64 v[88:89], v[10:11], v[60:61]
	v_mul_f64 v[10:11], v[8:9], v[16:17]
	v_fma_f64 v[12:13], v[8:9], v[14:15], v[12:13]
	v_fma_f64 v[10:11], v[6:7], v[14:15], -v[10:11]
	v_add_f64 v[84:85], v[12:13], v[56:57]
	v_mul_f64 v[12:13], v[6:7], v[20:21]
	ds_read_b128 v[14:17], v90 offset:3328
	v_add_f64 v[82:83], v[54:55], v[10:11]
	v_mul_f64 v[10:11], v[8:9], v[20:21]
	v_fma_f64 v[12:13], v[8:9], v[18:19], v[12:13]
	v_fma_f64 v[10:11], v[6:7], v[18:19], -v[10:11]
	ds_read_b128 v[18:21], v90 offset:3072
	v_add_f64 v[80:81], v[12:13], v[52:53]
	v_add_f64 v[78:79], v[50:51], v[10:11]
	v_mul_f64 v[10:11], v[8:9], v[24:25]
	v_fma_f64 v[10:11], v[6:7], v[22:23], -v[10:11]
	v_mul_f64 v[6:7], v[6:7], v[24:25]
	v_add_f64 v[74:75], v[46:47], v[10:11]
	v_fma_f64 v[6:7], v[8:9], v[22:23], v[6:7]
	s_waitcnt lgkmcnt(0)
	v_mul_f64 v[8:9], v[2:3], v[20:21]
	ds_read_b128 v[10:13], v90 offset:3584
	v_add_f64 v[76:77], v[6:7], v[48:49]
	v_mul_f64 v[6:7], v[4:5], v[20:21]
	v_fma_f64 v[8:9], v[4:5], v[18:19], v[8:9]
	v_fma_f64 v[6:7], v[2:3], v[18:19], -v[6:7]
	v_add_f64 v[52:53], v[8:9], v[44:45]
	v_mul_f64 v[8:9], v[2:3], v[16:17]
	v_add_f64 v[48:49], v[42:43], v[6:7]
	v_mul_f64 v[6:7], v[4:5], v[16:17]
	v_fma_f64 v[8:9], v[4:5], v[14:15], v[8:9]
	v_fma_f64 v[6:7], v[2:3], v[14:15], -v[6:7]
	v_add_f64 v[36:37], v[8:9], v[40:41]
	s_waitcnt lgkmcnt(0)
	v_mul_f64 v[8:9], v[2:3], v[12:13]
	v_add_f64 v[34:35], v[38:39], v[6:7]
	v_mul_f64 v[6:7], v[4:5], v[12:13]
	v_fma_f64 v[8:9], v[4:5], v[10:11], v[8:9]
	v_fma_f64 v[6:7], v[2:3], v[10:11], -v[6:7]
	v_add_f64 v[32:33], v[8:9], v[104:105]
	v_add_f64 v[30:31], v[102:103], v[6:7]
	ds_read_b128 v[6:9], v90 offset:3840
	s_waitcnt lgkmcnt(0)
	v_mul_f64 v[22:23], v[4:5], v[8:9]
	v_fma_f64 v[22:23], v[2:3], v[6:7], -v[22:23]
	v_mul_f64 v[2:3], v[2:3], v[8:9]
	v_add_f64 v[22:23], v[106:107], v[22:23]
	v_fma_f64 v[2:3], v[4:5], v[6:7], v[2:3]
	v_add_f64 v[24:25], v[2:3], v[108:109]
	ds_read_b128 v[2:5], v93 offset:1072
	s_waitcnt lgkmcnt(0)
	v_mul_f64 v[38:39], v[4:5], v[20:21]
	v_mul_f64 v[40:41], v[2:3], v[20:21]
	v_fma_f64 v[38:39], v[2:3], v[18:19], -v[38:39]
	v_fma_f64 v[40:41], v[4:5], v[18:19], v[40:41]
	v_add_f64 v[70:71], v[62:63], v[38:39]
	v_mul_f64 v[38:39], v[4:5], v[16:17]
	v_add_f64 v[72:73], v[40:41], v[64:65]
	v_mul_f64 v[40:41], v[2:3], v[16:17]
	v_fma_f64 v[38:39], v[2:3], v[14:15], -v[38:39]
	v_fma_f64 v[40:41], v[4:5], v[14:15], v[40:41]
	v_add_f64 v[62:63], v[66:67], v[38:39]
	v_mul_f64 v[38:39], v[4:5], v[12:13]
	v_add_f64 v[64:65], v[40:41], v[68:69]
	;; [unrolled: 6-line block ×3, first 2 shown]
	v_fma_f64 v[38:39], v[2:3], v[6:7], -v[38:39]
	v_mul_f64 v[2:3], v[2:3], v[8:9]
	v_add_f64 v[42:43], v[114:115], v[38:39]
	v_fma_f64 v[2:3], v[4:5], v[6:7], v[2:3]
	v_add_f64 v[46:47], v[2:3], v[116:117]
	ds_read_b128 v[2:5], v93 offset:2096
	s_waitcnt lgkmcnt(0)
	v_mul_f64 v[38:39], v[4:5], v[20:21]
	v_mul_f64 v[40:41], v[2:3], v[20:21]
	v_fma_f64 v[38:39], v[2:3], v[18:19], -v[38:39]
	v_fma_f64 v[40:41], v[4:5], v[18:19], v[40:41]
	v_add_f64 v[66:67], v[118:119], v[38:39]
	v_mul_f64 v[38:39], v[4:5], v[16:17]
	v_add_f64 v[68:69], v[40:41], v[120:121]
	v_mul_f64 v[40:41], v[2:3], v[16:17]
	v_fma_f64 v[38:39], v[2:3], v[14:15], -v[38:39]
	v_fma_f64 v[40:41], v[4:5], v[14:15], v[40:41]
	v_add_f64 v[56:57], v[122:123], v[38:39]
	v_mul_f64 v[38:39], v[4:5], v[12:13]
	v_add_f64 v[60:61], v[40:41], v[124:125]
	;; [unrolled: 6-line block ×3, first 2 shown]
	v_fma_f64 v[38:39], v[2:3], v[6:7], -v[38:39]
	v_mul_f64 v[2:3], v[2:3], v[8:9]
	v_add_f64 v[38:39], v[98:99], v[38:39]
	v_fma_f64 v[2:3], v[4:5], v[6:7], v[2:3]
	v_add_f64 v[40:41], v[2:3], v[100:101]
	ds_read_b128 v[2:5], v93 offset:3120
	s_waitcnt lgkmcnt(0)
	s_barrier
	buffer_gl0_inv
	v_mul_f64 v[94:95], v[4:5], v[20:21]
	v_mul_f64 v[20:21], v[2:3], v[20:21]
	v_fma_f64 v[94:95], v[2:3], v[18:19], -v[94:95]
	v_fma_f64 v[20:21], v[4:5], v[18:19], v[20:21]
	v_add_f64 v[18:19], v[86:87], v[94:95]
	v_mul_f64 v[86:87], v[4:5], v[16:17]
	v_mul_f64 v[16:17], v[2:3], v[16:17]
	v_add_f64 v[20:21], v[20:21], v[88:89]
	v_fma_f64 v[86:87], v[2:3], v[14:15], -v[86:87]
	v_fma_f64 v[16:17], v[4:5], v[14:15], v[16:17]
	v_add_f64 v[14:15], v[82:83], v[86:87]
	v_mul_f64 v[82:83], v[4:5], v[12:13]
	v_mul_f64 v[12:13], v[2:3], v[12:13]
	v_add_f64 v[16:17], v[16:17], v[84:85]
	v_fma_f64 v[82:83], v[2:3], v[10:11], -v[82:83]
	v_fma_f64 v[12:13], v[4:5], v[10:11], v[12:13]
	v_add_f64 v[10:11], v[78:79], v[82:83]
	v_mul_f64 v[78:79], v[4:5], v[8:9]
	v_add_f64 v[12:13], v[12:13], v[80:81]
	v_fma_f64 v[78:79], v[2:3], v[6:7], -v[78:79]
	v_mul_f64 v[2:3], v[2:3], v[8:9]
	v_add_f64 v[74:75], v[74:75], v[78:79]
	v_fma_f64 v[2:3], v[4:5], v[6:7], v[2:3]
	v_add_f64 v[76:77], v[2:3], v[76:77]
	s_cbranch_vccnz .LBB529_2
	s_branch .LBB529_4
.LBB529_3:
	v_mov_b32_e32 v48, 0
	v_mov_b32_e32 v52, 0
	;; [unrolled: 1-line block ×64, first 2 shown]
.LBB529_4:
	s_load_dwordx2 s[4:5], s[4:5], 0x90
	v_cmp_neq_f64_e64 s6, s[38:39], 0
	v_cmp_neq_f64_e64 s7, s[40:41], 0
	v_add_co_u32 v6, s2, s2, v1
	v_add_co_u32 v0, s0, s0, v0
	v_add_co_ci_u32_e64 v7, null, s3, 0, s2
	v_add_co_ci_u32_e64 v1, null, s1, 0, s0
	s_waitcnt lgkmcnt(0)
	s_mul_i32 s5, s5, s8
	s_mul_hi_u32 s9, s4, s8
	s_mul_i32 s4, s4, s8
	s_add_i32 s5, s9, s5
	s_lshl_b64 s[4:5], s[4:5], 4
	s_add_u32 s2, s48, s4
	s_addc_u32 s3, s49, s5
	s_or_b32 s4, s6, s7
	s_and_b32 vcc_lo, exec_lo, s4
	s_cbranch_vccnz .LBB529_6
; %bb.5:
	v_mul_f64 v[4:5], s[16:17], v[52:53]
	v_mul_f64 v[8:9], s[14:15], v[52:53]
	v_mul_lo_u32 v78, v7, s50
	v_mul_lo_u32 v79, v6, s51
	v_mad_u64_u32 v[2:3], null, v6, s50, 0
	v_mul_f64 v[26:27], s[16:17], v[36:37]
	v_mul_f64 v[28:29], s[14:15], v[36:37]
	v_mul_f64 v[80:81], s[14:15], v[32:33]
	v_mul_f64 v[82:83], s[16:17], v[24:25]
	v_mul_f64 v[84:85], s[14:15], v[24:25]
	v_mul_f64 v[86:87], s[16:17], v[72:73]
	v_add3_u32 v3, v3, v79, v78
	v_mul_f64 v[78:79], s[16:17], v[32:33]
	v_mul_f64 v[88:89], s[14:15], v[72:73]
	;; [unrolled: 1-line block ×4, first 2 shown]
	v_lshlrev_b64 v[2:3], 4, v[2:3]
	v_mul_f64 v[94:95], s[16:17], v[58:59]
	v_mul_f64 v[96:97], s[14:15], v[58:59]
	;; [unrolled: 1-line block ×4, first 2 shown]
	s_lshl_b64 s[0:1], s[50:51], 8
	v_add_co_u32 v104, vcc_lo, s2, v2
	v_add_co_ci_u32_e64 v105, null, s3, v3, vcc_lo
	v_fma_f64 v[2:3], s[14:15], v[48:49], -v[4:5]
	v_fma_f64 v[4:5], s[16:17], v[48:49], v[8:9]
	v_lshlrev_b64 v[8:9], 4, v[0:1]
	v_fma_f64 v[26:27], s[14:15], v[34:35], -v[26:27]
	v_fma_f64 v[28:29], s[16:17], v[34:35], v[28:29]
	v_fma_f64 v[80:81], s[16:17], v[30:31], v[80:81]
	v_fma_f64 v[82:83], s[14:15], v[22:23], -v[82:83]
	v_fma_f64 v[84:85], s[16:17], v[22:23], v[84:85]
	v_add_co_u32 v102, vcc_lo, v104, v8
	v_fma_f64 v[78:79], s[14:15], v[30:31], -v[78:79]
	v_add_co_ci_u32_e64 v103, null, v105, v9, vcc_lo
	v_fma_f64 v[86:87], s[14:15], v[70:71], -v[86:87]
	v_fma_f64 v[88:89], s[16:17], v[70:71], v[88:89]
	v_fma_f64 v[90:91], s[14:15], v[62:63], -v[90:91]
	v_fma_f64 v[92:93], s[16:17], v[62:63], v[92:93]
	;; [unrolled: 2-line block ×3, first 2 shown]
	v_add_co_u32 v106, vcc_lo, v104, s0
	v_add_co_ci_u32_e64 v107, null, s1, v105, vcc_lo
	global_store_dwordx4 v[102:103], v[2:5], off
	v_fma_f64 v[2:3], s[14:15], v[42:43], -v[98:99]
	v_fma_f64 v[4:5], s[16:17], v[42:43], v[100:101]
	v_add_co_u32 v104, vcc_lo, v106, v8
	v_add_co_ci_u32_e64 v105, null, v107, v9, vcc_lo
	global_store_dwordx4 v[102:103], v[26:29], off offset:256
	global_store_dwordx4 v[102:103], v[78:81], off offset:512
	;; [unrolled: 1-line block ×3, first 2 shown]
	global_store_dwordx4 v[104:105], v[86:89], off
	global_store_dwordx4 v[104:105], v[90:93], off offset:256
	global_store_dwordx4 v[104:105], v[94:97], off offset:512
	v_mul_f64 v[26:27], s[16:17], v[68:69]
	v_mul_f64 v[28:29], s[14:15], v[68:69]
	;; [unrolled: 1-line block ×12, first 2 shown]
	global_store_dwordx4 v[104:105], v[2:5], off offset:768
	v_mul_f64 v[2:3], s[16:17], v[76:77]
	v_mul_f64 v[4:5], s[14:15], v[76:77]
	;; [unrolled: 1-line block ×4, first 2 shown]
	v_add_co_u32 v104, vcc_lo, v106, s0
	v_add_co_ci_u32_e64 v105, null, s1, v107, vcc_lo
	v_fma_f64 v[26:27], s[14:15], v[66:67], -v[26:27]
	v_fma_f64 v[28:29], s[16:17], v[66:67], v[28:29]
	v_fma_f64 v[78:79], s[14:15], v[56:57], -v[78:79]
	v_fma_f64 v[80:81], s[16:17], v[56:57], v[80:81]
	;; [unrolled: 2-line block ×6, first 2 shown]
	v_add_co_u32 v106, vcc_lo, v104, s0
	v_fma_f64 v[102:103], s[14:15], v[74:75], -v[2:3]
	v_fma_f64 v[2:3], s[16:17], v[74:75], v[4:5]
	v_fma_f64 v[98:99], s[14:15], v[10:11], -v[98:99]
	v_fma_f64 v[100:101], s[16:17], v[10:11], v[100:101]
	v_add_co_ci_u32_e64 v107, null, s1, v105, vcc_lo
	v_add_co_u32 v4, vcc_lo, v104, v8
	v_add_co_ci_u32_e64 v5, null, v105, v9, vcc_lo
	v_add_co_u32 v8, vcc_lo, v106, v8
	v_add_co_ci_u32_e64 v9, null, v107, v9, vcc_lo
	global_store_dwordx4 v[4:5], v[26:29], off
	global_store_dwordx4 v[4:5], v[78:81], off offset:256
	global_store_dwordx4 v[4:5], v[82:85], off offset:512
	;; [unrolled: 1-line block ×3, first 2 shown]
	global_store_dwordx4 v[8:9], v[90:93], off
	v_add_co_u32 v4, vcc_lo, 0x300, v8
	v_add_co_ci_u32_e64 v5, null, 0, v9, vcc_lo
	global_store_dwordx4 v[8:9], v[94:97], off offset:256
	global_store_dwordx4 v[8:9], v[98:101], off offset:512
	global_store_dwordx2 v[8:9], v[102:103], off offset:768
	s_cbranch_execz .LBB529_7
	s_branch .LBB529_8
.LBB529_6:
                                        ; implicit-def: $vgpr2_vgpr3
                                        ; implicit-def: $vgpr4_vgpr5
.LBB529_7:
	v_mul_lo_u32 v4, v7, s44
	v_mul_lo_u32 v5, v6, s45
	v_mad_u64_u32 v[2:3], null, v6, s44, 0
	s_mul_i32 s1, s47, s8
	s_mul_hi_u32 s4, s46, s8
	s_mul_i32 s0, s46, s8
	s_add_i32 s1, s4, s1
	v_mul_f64 v[26:27], s[16:17], v[52:53]
	s_lshl_b64 s[0:1], s[0:1], 4
	v_add3_u32 v3, v3, v5, v4
	s_add_u32 s0, s42, s0
	v_lshlrev_b64 v[4:5], 4, v[0:1]
	s_addc_u32 s1, s43, s1
	v_mul_f64 v[28:29], s[14:15], v[52:53]
	v_lshlrev_b64 v[2:3], 4, v[2:3]
	v_add_co_u32 v78, vcc_lo, s0, v2
	v_add_co_ci_u32_e64 v79, null, s1, v3, vcc_lo
	s_lshl_b64 s[0:1], s[44:45], 8
	v_add_co_u32 v8, vcc_lo, v78, v4
	v_add_co_ci_u32_e64 v9, null, v79, v5, vcc_lo
	v_fma_f64 v[26:27], s[14:15], v[48:49], -v[26:27]
	global_load_dwordx4 v[0:3], v[8:9], off
	v_fma_f64 v[28:29], s[16:17], v[48:49], v[28:29]
	s_waitcnt vmcnt(0)
	v_mul_f64 v[52:53], s[40:41], v[2:3]
	v_mul_f64 v[2:3], s[38:39], v[2:3]
	v_fma_f64 v[48:49], s[38:39], v[0:1], -v[52:53]
	v_fma_f64 v[2:3], s[40:41], v[0:1], v[2:3]
	v_mul_lo_u32 v0, v7, s50
	v_mul_lo_u32 v1, v6, s51
	v_mad_u64_u32 v[6:7], null, v6, s50, 0
	v_add3_u32 v7, v7, v1, v0
	v_lshlrev_b64 v[6:7], 4, v[6:7]
	v_add_f64 v[0:1], v[26:27], v[48:49]
	v_add_f64 v[2:3], v[28:29], v[2:3]
	v_add_co_u32 v48, vcc_lo, s2, v6
	v_add_co_ci_u32_e64 v49, null, s3, v7, vcc_lo
	v_mul_f64 v[26:27], s[16:17], v[36:37]
	v_add_co_u32 v6, vcc_lo, v48, v4
	v_add_co_ci_u32_e64 v7, null, v49, v5, vcc_lo
	v_mul_f64 v[28:29], s[14:15], v[36:37]
	s_lshl_b64 s[2:3], s[50:51], 8
	global_store_dwordx4 v[6:7], v[0:3], off
	global_load_dwordx4 v[0:3], v[8:9], off offset:256
	v_fma_f64 v[26:27], s[14:15], v[34:35], -v[26:27]
	v_fma_f64 v[28:29], s[16:17], v[34:35], v[28:29]
	s_waitcnt vmcnt(0)
	v_mul_f64 v[36:37], s[40:41], v[2:3]
	v_mul_f64 v[2:3], s[38:39], v[2:3]
	v_fma_f64 v[34:35], s[38:39], v[0:1], -v[36:37]
	v_fma_f64 v[2:3], s[40:41], v[0:1], v[2:3]
	v_add_f64 v[0:1], v[26:27], v[34:35]
	v_add_f64 v[2:3], v[28:29], v[2:3]
	v_mul_f64 v[26:27], s[16:17], v[32:33]
	v_mul_f64 v[28:29], s[14:15], v[32:33]
	global_store_dwordx4 v[6:7], v[0:3], off offset:256
	global_load_dwordx4 v[0:3], v[8:9], off offset:512
	v_fma_f64 v[26:27], s[14:15], v[30:31], -v[26:27]
	v_fma_f64 v[28:29], s[16:17], v[30:31], v[28:29]
	s_waitcnt vmcnt(0)
	v_mul_f64 v[32:33], s[40:41], v[2:3]
	v_mul_f64 v[2:3], s[38:39], v[2:3]
	v_fma_f64 v[30:31], s[38:39], v[0:1], -v[32:33]
	v_fma_f64 v[2:3], s[40:41], v[0:1], v[2:3]
	v_add_f64 v[0:1], v[26:27], v[30:31]
	v_add_f64 v[2:3], v[28:29], v[2:3]
	v_add_co_u32 v28, vcc_lo, v78, s0
	v_add_co_ci_u32_e64 v29, null, s1, v79, vcc_lo
	global_store_dwordx4 v[6:7], v[0:3], off offset:512
	global_load_dwordx4 v[0:3], v[8:9], off offset:768
	v_mul_f64 v[8:9], s[16:17], v[24:25]
	v_mul_f64 v[24:25], s[14:15], v[24:25]
	v_fma_f64 v[8:9], s[14:15], v[22:23], -v[8:9]
	v_fma_f64 v[22:23], s[16:17], v[22:23], v[24:25]
	s_waitcnt vmcnt(0)
	v_mul_f64 v[26:27], s[40:41], v[2:3]
	v_mul_f64 v[2:3], s[38:39], v[2:3]
	v_fma_f64 v[24:25], s[38:39], v[0:1], -v[26:27]
	v_fma_f64 v[2:3], s[40:41], v[0:1], v[2:3]
	v_add_f64 v[0:1], v[8:9], v[24:25]
	v_add_f64 v[2:3], v[22:23], v[2:3]
	v_add_co_u32 v8, vcc_lo, v28, v4
	v_add_co_ci_u32_e64 v9, null, v29, v5, vcc_lo
	v_mul_f64 v[22:23], s[14:15], v[72:73]
	v_add_co_u32 v30, vcc_lo, v48, s2
	v_add_co_ci_u32_e64 v31, null, s3, v49, vcc_lo
	global_store_dwordx4 v[6:7], v[0:3], off offset:768
	global_load_dwordx4 v[0:3], v[8:9], off
	v_mul_f64 v[6:7], s[16:17], v[72:73]
	v_fma_f64 v[22:23], s[16:17], v[70:71], v[22:23]
	v_fma_f64 v[6:7], s[14:15], v[70:71], -v[6:7]
	s_waitcnt vmcnt(0)
	v_mul_f64 v[24:25], s[40:41], v[2:3]
	v_mul_f64 v[2:3], s[38:39], v[2:3]
	v_fma_f64 v[24:25], s[38:39], v[0:1], -v[24:25]
	v_fma_f64 v[2:3], s[40:41], v[0:1], v[2:3]
	v_add_f64 v[0:1], v[6:7], v[24:25]
	v_add_f64 v[2:3], v[22:23], v[2:3]
	v_add_co_u32 v6, vcc_lo, v30, v4
	v_add_co_ci_u32_e64 v7, null, v31, v5, vcc_lo
	v_mul_f64 v[22:23], s[16:17], v[64:65]
	v_mul_f64 v[24:25], s[14:15], v[64:65]
	v_add_co_u32 v28, vcc_lo, v28, s0
	v_add_co_ci_u32_e64 v29, null, s1, v29, vcc_lo
	global_store_dwordx4 v[6:7], v[0:3], off
	global_load_dwordx4 v[0:3], v[8:9], off offset:256
	v_fma_f64 v[22:23], s[14:15], v[62:63], -v[22:23]
	v_fma_f64 v[24:25], s[16:17], v[62:63], v[24:25]
	s_waitcnt vmcnt(0)
	v_mul_f64 v[26:27], s[40:41], v[2:3]
	v_mul_f64 v[2:3], s[38:39], v[2:3]
	v_fma_f64 v[26:27], s[38:39], v[0:1], -v[26:27]
	v_fma_f64 v[2:3], s[40:41], v[0:1], v[2:3]
	v_add_f64 v[0:1], v[22:23], v[26:27]
	v_add_f64 v[2:3], v[24:25], v[2:3]
	v_mul_f64 v[22:23], s[16:17], v[58:59]
	v_mul_f64 v[24:25], s[14:15], v[58:59]
	global_store_dwordx4 v[6:7], v[0:3], off offset:256
	global_load_dwordx4 v[0:3], v[8:9], off offset:512
	v_fma_f64 v[22:23], s[14:15], v[54:55], -v[22:23]
	v_fma_f64 v[24:25], s[16:17], v[54:55], v[24:25]
	s_waitcnt vmcnt(0)
	v_mul_f64 v[26:27], s[40:41], v[2:3]
	v_mul_f64 v[2:3], s[38:39], v[2:3]
	v_fma_f64 v[26:27], s[38:39], v[0:1], -v[26:27]
	v_fma_f64 v[2:3], s[40:41], v[0:1], v[2:3]
	v_add_f64 v[0:1], v[22:23], v[26:27]
	v_add_f64 v[2:3], v[24:25], v[2:3]
	v_mul_f64 v[22:23], s[14:15], v[46:47]
	global_store_dwordx4 v[6:7], v[0:3], off offset:512
	global_load_dwordx4 v[0:3], v[8:9], off offset:768
	v_mul_f64 v[8:9], s[16:17], v[46:47]
	v_fma_f64 v[22:23], s[16:17], v[42:43], v[22:23]
	v_fma_f64 v[8:9], s[14:15], v[42:43], -v[8:9]
	s_waitcnt vmcnt(0)
	v_mul_f64 v[24:25], s[40:41], v[2:3]
	v_mul_f64 v[2:3], s[38:39], v[2:3]
	v_fma_f64 v[24:25], s[38:39], v[0:1], -v[24:25]
	v_fma_f64 v[2:3], s[40:41], v[0:1], v[2:3]
	v_add_f64 v[0:1], v[8:9], v[24:25]
	v_add_f64 v[2:3], v[22:23], v[2:3]
	v_add_co_u32 v8, vcc_lo, v28, v4
	v_add_co_ci_u32_e64 v9, null, v29, v5, vcc_lo
	v_mul_f64 v[22:23], s[14:15], v[68:69]
	v_add_co_u32 v30, vcc_lo, v30, s2
	v_add_co_ci_u32_e64 v31, null, s3, v31, vcc_lo
	global_store_dwordx4 v[6:7], v[0:3], off offset:768
	global_load_dwordx4 v[0:3], v[8:9], off
	v_mul_f64 v[6:7], s[16:17], v[68:69]
	v_fma_f64 v[22:23], s[16:17], v[66:67], v[22:23]
	v_fma_f64 v[6:7], s[14:15], v[66:67], -v[6:7]
	s_waitcnt vmcnt(0)
	v_mul_f64 v[24:25], s[40:41], v[2:3]
	v_mul_f64 v[2:3], s[38:39], v[2:3]
	v_fma_f64 v[24:25], s[38:39], v[0:1], -v[24:25]
	v_fma_f64 v[2:3], s[40:41], v[0:1], v[2:3]
	v_add_f64 v[0:1], v[6:7], v[24:25]
	v_add_f64 v[2:3], v[22:23], v[2:3]
	v_add_co_u32 v6, vcc_lo, v30, v4
	v_add_co_ci_u32_e64 v7, null, v31, v5, vcc_lo
	v_mul_f64 v[22:23], s[16:17], v[60:61]
	v_mul_f64 v[24:25], s[14:15], v[60:61]
	global_store_dwordx4 v[6:7], v[0:3], off
	global_load_dwordx4 v[0:3], v[8:9], off offset:256
	v_fma_f64 v[22:23], s[14:15], v[56:57], -v[22:23]
	v_fma_f64 v[24:25], s[16:17], v[56:57], v[24:25]
	s_waitcnt vmcnt(0)
	v_mul_f64 v[26:27], s[40:41], v[2:3]
	v_mul_f64 v[2:3], s[38:39], v[2:3]
	v_fma_f64 v[26:27], s[38:39], v[0:1], -v[26:27]
	v_fma_f64 v[2:3], s[40:41], v[0:1], v[2:3]
	v_add_f64 v[0:1], v[22:23], v[26:27]
	v_add_f64 v[2:3], v[24:25], v[2:3]
	v_mul_f64 v[22:23], s[16:17], v[50:51]
	v_mul_f64 v[24:25], s[14:15], v[50:51]
	global_store_dwordx4 v[6:7], v[0:3], off offset:256
	global_load_dwordx4 v[0:3], v[8:9], off offset:512
	v_fma_f64 v[22:23], s[14:15], v[44:45], -v[22:23]
	v_fma_f64 v[24:25], s[16:17], v[44:45], v[24:25]
	s_waitcnt vmcnt(0)
	v_mul_f64 v[26:27], s[40:41], v[2:3]
	v_mul_f64 v[2:3], s[38:39], v[2:3]
	v_fma_f64 v[26:27], s[38:39], v[0:1], -v[26:27]
	v_fma_f64 v[2:3], s[40:41], v[0:1], v[2:3]
	v_add_f64 v[0:1], v[22:23], v[26:27]
	v_add_f64 v[2:3], v[24:25], v[2:3]
	v_mul_f64 v[22:23], s[14:15], v[40:41]
	global_store_dwordx4 v[6:7], v[0:3], off offset:512
	global_load_dwordx4 v[0:3], v[8:9], off offset:768
	v_mul_f64 v[8:9], s[16:17], v[40:41]
	v_fma_f64 v[22:23], s[16:17], v[38:39], v[22:23]
	v_fma_f64 v[8:9], s[14:15], v[38:39], -v[8:9]
	s_waitcnt vmcnt(0)
	v_mul_f64 v[24:25], s[40:41], v[2:3]
	v_mul_f64 v[2:3], s[38:39], v[2:3]
	v_fma_f64 v[24:25], s[38:39], v[0:1], -v[24:25]
	v_fma_f64 v[2:3], s[40:41], v[0:1], v[2:3]
	v_add_f64 v[0:1], v[8:9], v[24:25]
	v_add_f64 v[2:3], v[22:23], v[2:3]
	v_add_co_u32 v8, vcc_lo, v28, s0
	v_add_co_ci_u32_e64 v9, null, s1, v29, vcc_lo
	v_add_co_u32 v8, vcc_lo, v8, v4
	v_add_co_ci_u32_e64 v9, null, v9, v5, vcc_lo
	global_store_dwordx4 v[6:7], v[0:3], off offset:768
	global_load_dwordx4 v[0:3], v[8:9], off
	v_mul_f64 v[6:7], s[16:17], v[20:21]
	v_mul_f64 v[20:21], s[14:15], v[20:21]
	v_fma_f64 v[6:7], s[14:15], v[18:19], -v[6:7]
	v_fma_f64 v[18:19], s[16:17], v[18:19], v[20:21]
	s_waitcnt vmcnt(0)
	v_mul_f64 v[22:23], s[40:41], v[2:3]
	v_mul_f64 v[2:3], s[38:39], v[2:3]
	v_fma_f64 v[20:21], s[38:39], v[0:1], -v[22:23]
	v_fma_f64 v[2:3], s[40:41], v[0:1], v[2:3]
	v_add_f64 v[0:1], v[6:7], v[20:21]
	v_add_f64 v[2:3], v[18:19], v[2:3]
	v_add_co_u32 v6, vcc_lo, v30, s2
	v_add_co_ci_u32_e64 v7, null, s3, v31, vcc_lo
	v_add_co_u32 v6, vcc_lo, v6, v4
	v_add_co_ci_u32_e64 v7, null, v7, v5, vcc_lo
	v_mul_f64 v[4:5], s[16:17], v[16:17]
	v_mul_f64 v[16:17], s[14:15], v[16:17]
	global_store_dwordx4 v[6:7], v[0:3], off
	global_load_dwordx4 v[0:3], v[8:9], off offset:256
	v_fma_f64 v[4:5], s[14:15], v[14:15], -v[4:5]
	v_fma_f64 v[14:15], s[16:17], v[14:15], v[16:17]
	s_waitcnt vmcnt(0)
	v_mul_f64 v[18:19], s[40:41], v[2:3]
	v_mul_f64 v[2:3], s[38:39], v[2:3]
	v_fma_f64 v[16:17], s[38:39], v[0:1], -v[18:19]
	v_fma_f64 v[2:3], s[40:41], v[0:1], v[2:3]
	v_add_f64 v[0:1], v[4:5], v[16:17]
	v_add_f64 v[2:3], v[14:15], v[2:3]
	v_mul_f64 v[4:5], s[16:17], v[12:13]
	v_mul_f64 v[12:13], s[14:15], v[12:13]
	global_store_dwordx4 v[6:7], v[0:3], off offset:256
	global_load_dwordx4 v[0:3], v[8:9], off offset:512
	v_fma_f64 v[4:5], s[14:15], v[10:11], -v[4:5]
	v_fma_f64 v[10:11], s[16:17], v[10:11], v[12:13]
	s_waitcnt vmcnt(0)
	v_mul_f64 v[14:15], s[40:41], v[2:3]
	v_mul_f64 v[2:3], s[38:39], v[2:3]
	v_fma_f64 v[12:13], s[38:39], v[0:1], -v[14:15]
	v_fma_f64 v[2:3], s[40:41], v[0:1], v[2:3]
	v_add_f64 v[0:1], v[4:5], v[12:13]
	v_add_f64 v[2:3], v[10:11], v[2:3]
	v_mul_f64 v[4:5], s[16:17], v[76:77]
	global_store_dwordx4 v[6:7], v[0:3], off offset:512
	global_load_dwordx4 v[0:3], v[8:9], off offset:768
	v_mul_f64 v[8:9], s[14:15], v[76:77]
	v_fma_f64 v[4:5], s[14:15], v[74:75], -v[4:5]
	v_fma_f64 v[8:9], s[16:17], v[74:75], v[8:9]
	s_waitcnt vmcnt(0)
	v_mul_f64 v[10:11], s[40:41], v[2:3]
	v_mul_f64 v[2:3], s[38:39], v[2:3]
	v_fma_f64 v[10:11], s[38:39], v[0:1], -v[10:11]
	v_fma_f64 v[0:1], s[40:41], v[0:1], v[2:3]
	v_add_f64 v[10:11], v[4:5], v[10:11]
	v_add_f64 v[2:3], v[8:9], v[0:1]
	v_add_co_u32 v4, vcc_lo, 0x300, v6
	v_add_co_ci_u32_e64 v5, null, 0, v7, vcc_lo
	global_store_dwordx2 v[6:7], v[10:11], off offset:768
.LBB529_8:
	global_store_dwordx2 v[4:5], v[2:3], off offset:8
	s_endpgm
	.section	.rodata,"a",@progbits
	.p2align	6, 0x0
	.amdhsa_kernel _ZN12_GLOBAL__N_127rocblas_gemm_batched_kernelI19rocblas_complex_numIdELi16ELi16ELi64ELi64ELi4ELi64ELi4ELi4ELi64ELc78ELc78EKS2_S3_S2_EEvlllT_PT11_llS6_llS4_PT12_llPT13_lli
		.amdhsa_group_segment_fixed_size 8192
		.amdhsa_private_segment_fixed_size 0
		.amdhsa_kernarg_size 156
		.amdhsa_user_sgpr_count 6
		.amdhsa_user_sgpr_private_segment_buffer 1
		.amdhsa_user_sgpr_dispatch_ptr 0
		.amdhsa_user_sgpr_queue_ptr 0
		.amdhsa_user_sgpr_kernarg_segment_ptr 1
		.amdhsa_user_sgpr_dispatch_id 0
		.amdhsa_user_sgpr_flat_scratch_init 0
		.amdhsa_user_sgpr_private_segment_size 0
		.amdhsa_wavefront_size32 1
		.amdhsa_uses_dynamic_stack 0
		.amdhsa_system_sgpr_private_segment_wavefront_offset 0
		.amdhsa_system_sgpr_workgroup_id_x 1
		.amdhsa_system_sgpr_workgroup_id_y 1
		.amdhsa_system_sgpr_workgroup_id_z 1
		.amdhsa_system_sgpr_workgroup_info 0
		.amdhsa_system_vgpr_workitem_id 1
		.amdhsa_next_free_vgpr 138
		.amdhsa_next_free_sgpr 52
		.amdhsa_reserve_vcc 1
		.amdhsa_reserve_flat_scratch 0
		.amdhsa_float_round_mode_32 0
		.amdhsa_float_round_mode_16_64 0
		.amdhsa_float_denorm_mode_32 3
		.amdhsa_float_denorm_mode_16_64 3
		.amdhsa_dx10_clamp 1
		.amdhsa_ieee_mode 1
		.amdhsa_fp16_overflow 0
		.amdhsa_workgroup_processor_mode 1
		.amdhsa_memory_ordered 1
		.amdhsa_forward_progress 1
		.amdhsa_shared_vgpr_count 0
		.amdhsa_exception_fp_ieee_invalid_op 0
		.amdhsa_exception_fp_denorm_src 0
		.amdhsa_exception_fp_ieee_div_zero 0
		.amdhsa_exception_fp_ieee_overflow 0
		.amdhsa_exception_fp_ieee_underflow 0
		.amdhsa_exception_fp_ieee_inexact 0
		.amdhsa_exception_int_div_zero 0
	.end_amdhsa_kernel
	.section	.text._ZN12_GLOBAL__N_127rocblas_gemm_batched_kernelI19rocblas_complex_numIdELi16ELi16ELi64ELi64ELi4ELi64ELi4ELi4ELi64ELc78ELc78EKS2_S3_S2_EEvlllT_PT11_llS6_llS4_PT12_llPT13_lli,"axG",@progbits,_ZN12_GLOBAL__N_127rocblas_gemm_batched_kernelI19rocblas_complex_numIdELi16ELi16ELi64ELi64ELi4ELi64ELi4ELi4ELi64ELc78ELc78EKS2_S3_S2_EEvlllT_PT11_llS6_llS4_PT12_llPT13_lli,comdat
.Lfunc_end529:
	.size	_ZN12_GLOBAL__N_127rocblas_gemm_batched_kernelI19rocblas_complex_numIdELi16ELi16ELi64ELi64ELi4ELi64ELi4ELi4ELi64ELc78ELc78EKS2_S3_S2_EEvlllT_PT11_llS6_llS4_PT12_llPT13_lli, .Lfunc_end529-_ZN12_GLOBAL__N_127rocblas_gemm_batched_kernelI19rocblas_complex_numIdELi16ELi16ELi64ELi64ELi4ELi64ELi4ELi4ELi64ELc78ELc78EKS2_S3_S2_EEvlllT_PT11_llS6_llS4_PT12_llPT13_lli
                                        ; -- End function
	.set _ZN12_GLOBAL__N_127rocblas_gemm_batched_kernelI19rocblas_complex_numIdELi16ELi16ELi64ELi64ELi4ELi64ELi4ELi4ELi64ELc78ELc78EKS2_S3_S2_EEvlllT_PT11_llS6_llS4_PT12_llPT13_lli.num_vgpr, 138
	.set _ZN12_GLOBAL__N_127rocblas_gemm_batched_kernelI19rocblas_complex_numIdELi16ELi16ELi64ELi64ELi4ELi64ELi4ELi4ELi64ELc78ELc78EKS2_S3_S2_EEvlllT_PT11_llS6_llS4_PT12_llPT13_lli.num_agpr, 0
	.set _ZN12_GLOBAL__N_127rocblas_gemm_batched_kernelI19rocblas_complex_numIdELi16ELi16ELi64ELi64ELi4ELi64ELi4ELi4ELi64ELc78ELc78EKS2_S3_S2_EEvlllT_PT11_llS6_llS4_PT12_llPT13_lli.numbered_sgpr, 52
	.set _ZN12_GLOBAL__N_127rocblas_gemm_batched_kernelI19rocblas_complex_numIdELi16ELi16ELi64ELi64ELi4ELi64ELi4ELi4ELi64ELc78ELc78EKS2_S3_S2_EEvlllT_PT11_llS6_llS4_PT12_llPT13_lli.num_named_barrier, 0
	.set _ZN12_GLOBAL__N_127rocblas_gemm_batched_kernelI19rocblas_complex_numIdELi16ELi16ELi64ELi64ELi4ELi64ELi4ELi4ELi64ELc78ELc78EKS2_S3_S2_EEvlllT_PT11_llS6_llS4_PT12_llPT13_lli.private_seg_size, 0
	.set _ZN12_GLOBAL__N_127rocblas_gemm_batched_kernelI19rocblas_complex_numIdELi16ELi16ELi64ELi64ELi4ELi64ELi4ELi4ELi64ELc78ELc78EKS2_S3_S2_EEvlllT_PT11_llS6_llS4_PT12_llPT13_lli.uses_vcc, 1
	.set _ZN12_GLOBAL__N_127rocblas_gemm_batched_kernelI19rocblas_complex_numIdELi16ELi16ELi64ELi64ELi4ELi64ELi4ELi4ELi64ELc78ELc78EKS2_S3_S2_EEvlllT_PT11_llS6_llS4_PT12_llPT13_lli.uses_flat_scratch, 0
	.set _ZN12_GLOBAL__N_127rocblas_gemm_batched_kernelI19rocblas_complex_numIdELi16ELi16ELi64ELi64ELi4ELi64ELi4ELi4ELi64ELc78ELc78EKS2_S3_S2_EEvlllT_PT11_llS6_llS4_PT12_llPT13_lli.has_dyn_sized_stack, 0
	.set _ZN12_GLOBAL__N_127rocblas_gemm_batched_kernelI19rocblas_complex_numIdELi16ELi16ELi64ELi64ELi4ELi64ELi4ELi4ELi64ELc78ELc78EKS2_S3_S2_EEvlllT_PT11_llS6_llS4_PT12_llPT13_lli.has_recursion, 0
	.set _ZN12_GLOBAL__N_127rocblas_gemm_batched_kernelI19rocblas_complex_numIdELi16ELi16ELi64ELi64ELi4ELi64ELi4ELi4ELi64ELc78ELc78EKS2_S3_S2_EEvlllT_PT11_llS6_llS4_PT12_llPT13_lli.has_indirect_call, 0
	.section	.AMDGPU.csdata,"",@progbits
; Kernel info:
; codeLenInByte = 7376
; TotalNumSgprs: 54
; NumVgprs: 138
; ScratchSize: 0
; MemoryBound: 0
; FloatMode: 240
; IeeeMode: 1
; LDSByteSize: 8192 bytes/workgroup (compile time only)
; SGPRBlocks: 0
; VGPRBlocks: 17
; NumSGPRsForWavesPerEU: 54
; NumVGPRsForWavesPerEU: 138
; Occupancy: 7
; WaveLimiterHint : 1
; COMPUTE_PGM_RSRC2:SCRATCH_EN: 0
; COMPUTE_PGM_RSRC2:USER_SGPR: 6
; COMPUTE_PGM_RSRC2:TRAP_HANDLER: 0
; COMPUTE_PGM_RSRC2:TGID_X_EN: 1
; COMPUTE_PGM_RSRC2:TGID_Y_EN: 1
; COMPUTE_PGM_RSRC2:TGID_Z_EN: 1
; COMPUTE_PGM_RSRC2:TIDIG_COMP_CNT: 1
	.section	.text._ZN12_GLOBAL__N_127rocblas_gemm_batched_kernelI19rocblas_complex_numIdELi16ELi16ELi64ELi64ELi4ELi64ELi4ELi4ELi64ELc84ELc78EKS2_S3_S2_EEvlllT_PT11_llS6_llS4_PT12_llPT13_lli,"axG",@progbits,_ZN12_GLOBAL__N_127rocblas_gemm_batched_kernelI19rocblas_complex_numIdELi16ELi16ELi64ELi64ELi4ELi64ELi4ELi4ELi64ELc84ELc78EKS2_S3_S2_EEvlllT_PT11_llS6_llS4_PT12_llPT13_lli,comdat
	.globl	_ZN12_GLOBAL__N_127rocblas_gemm_batched_kernelI19rocblas_complex_numIdELi16ELi16ELi64ELi64ELi4ELi64ELi4ELi4ELi64ELc84ELc78EKS2_S3_S2_EEvlllT_PT11_llS6_llS4_PT12_llPT13_lli ; -- Begin function _ZN12_GLOBAL__N_127rocblas_gemm_batched_kernelI19rocblas_complex_numIdELi16ELi16ELi64ELi64ELi4ELi64ELi4ELi4ELi64ELc84ELc78EKS2_S3_S2_EEvlllT_PT11_llS6_llS4_PT12_llPT13_lli
	.p2align	8
	.type	_ZN12_GLOBAL__N_127rocblas_gemm_batched_kernelI19rocblas_complex_numIdELi16ELi16ELi64ELi64ELi4ELi64ELi4ELi4ELi64ELc84ELc78EKS2_S3_S2_EEvlllT_PT11_llS6_llS4_PT12_llPT13_lli,@function
_ZN12_GLOBAL__N_127rocblas_gemm_batched_kernelI19rocblas_complex_numIdELi16ELi16ELi64ELi64ELi4ELi64ELi4ELi4ELi64ELc84ELc78EKS2_S3_S2_EEvlllT_PT11_llS6_llS4_PT12_llPT13_lli: ; @_ZN12_GLOBAL__N_127rocblas_gemm_batched_kernelI19rocblas_complex_numIdELi16ELi16ELi64ELi64ELi4ELi64ELi4ELi4ELi64ELc84ELc78EKS2_S3_S2_EEvlllT_PT11_llS6_llS4_PT12_llPT13_lli
; %bb.0:
	s_clause 0x1
	s_load_dwordx16 s[12:27], s[4:5], 0x10
	s_load_dwordx16 s[36:51], s[4:5], 0x50
	s_mov_b32 s2, s7
	s_ashr_i32 s7, s6, 31
	s_ashr_i32 s3, s2, 31
	s_lshl_b64 s[0:1], s[6:7], 6
	s_lshl_b64 s[2:3], s[2:3], 6
	s_waitcnt lgkmcnt(0)
	v_cmp_lt_i64_e64 s9, s[12:13], 1
	s_and_b32 vcc_lo, exec_lo, s9
	s_cbranch_vccnz .LBB530_3
; %bb.1:
	v_lshl_add_u32 v2, v1, 4, v0
	v_and_b32_e32 v4, 3, v0
	s_mul_hi_u32 s7, s22, s8
	v_mov_b32_e32 v76, 0
	v_mov_b32_e32 v74, 0
	v_and_b32_e32 v3, 63, v2
	v_lshrrev_b32_e32 v5, 2, v2
	v_lshlrev_b32_e32 v9, 4, v4
	v_lshrrev_b32_e32 v8, 6, v2
	v_mov_b32_e32 v12, 0
	v_add_co_u32 v6, s6, s0, v3
	v_add_co_ci_u32_e64 v7, null, s1, 0, s6
	v_lshlrev_b32_e32 v4, 4, v3
	v_mul_lo_u32 v10, s21, v6
	v_mad_u64_u32 v[2:3], null, s20, v6, 0
	v_mul_lo_u32 v7, s20, v7
	v_lshl_or_b32 v6, v5, 6, v9
	v_add_co_u32 v5, s6, v5, s2
	v_add_co_ci_u32_e64 v11, null, 0, s3, s6
	v_lshl_or_b32 v91, v8, 10, v4
	v_add_nc_u32_e32 v92, 0x1000, v6
	v_add3_u32 v3, v3, v7, v10
	v_mul_lo_u32 v6, s27, v5
	v_mul_lo_u32 v7, s26, v11
	v_mad_u64_u32 v[4:5], null, s26, v5, 0
	s_mul_i32 s6, s23, s8
	v_lshlrev_b64 v[2:3], 4, v[2:3]
	s_add_i32 s7, s7, s6
	s_mul_i32 s6, s22, s8
	v_lshlrev_b32_e32 v8, 4, v8
	s_lshl_b64 s[6:7], s[6:7], 4
	v_add3_u32 v5, v5, v7, v6
	v_add_co_u32 v6, vcc_lo, v2, s6
	v_add_co_ci_u32_e64 v7, null, s7, v3, vcc_lo
	s_mul_i32 s6, s37, s8
	s_mul_hi_u32 s7, s36, s8
	v_lshlrev_b64 v[2:3], 4, v[4:5]
	s_add_i32 s7, s7, s6
	s_mul_i32 s6, s36, s8
	v_add_co_u32 v4, vcc_lo, v6, v8
	s_lshl_b64 s[6:7], s[6:7], 4
	v_add_co_ci_u32_e64 v5, null, 0, v7, vcc_lo
	v_add_co_u32 v2, vcc_lo, v2, s6
	v_add_co_ci_u32_e64 v3, null, s7, v3, vcc_lo
	v_add_co_u32 v26, vcc_lo, s18, v4
	;; [unrolled: 2-line block ×3, first 2 shown]
	v_add_co_ci_u32_e64 v3, null, 0, v3, vcc_lo
	v_mov_b32_e32 v10, 0
	v_add_co_u32 v28, vcc_lo, s24, v2
	v_mov_b32_e32 v16, 0
	v_mov_b32_e32 v14, 0
	;; [unrolled: 1-line block ×28, first 2 shown]
	v_lshlrev_b32_e32 v90, 4, v0
	v_lshl_add_u32 v93, v1, 6, 0x1000
	v_mov_b32_e32 v77, 0
	v_mov_b32_e32 v75, 0
	v_mov_b32_e32 v13, 0
	v_mov_b32_e32 v11, 0
	v_mov_b32_e32 v17, 0
	v_mov_b32_e32 v15, 0
	v_mov_b32_e32 v21, 0
	v_mov_b32_e32 v19, 0
	v_mov_b32_e32 v41, 0
	v_mov_b32_e32 v39, 0
	v_mov_b32_e32 v51, 0
	v_mov_b32_e32 v45, 0
	v_mov_b32_e32 v61, 0
	v_mov_b32_e32 v57, 0
	v_mov_b32_e32 v69, 0
	v_mov_b32_e32 v67, 0
	v_mov_b32_e32 v47, 0
	v_mov_b32_e32 v43, 0
	v_mov_b32_e32 v59, 0
	v_mov_b32_e32 v55, 0
	v_mov_b32_e32 v65, 0
	v_mov_b32_e32 v63, 0
	v_mov_b32_e32 v73, 0
	v_mov_b32_e32 v71, 0
	v_mov_b32_e32 v25, 0
	v_mov_b32_e32 v23, 0
	v_mov_b32_e32 v33, 0
	v_mov_b32_e32 v31, 0
	v_mov_b32_e32 v37, 0
	v_mov_b32_e32 v35, 0
	v_mov_b32_e32 v53, 0
	v_mov_b32_e32 v49, 0
	v_add_co_ci_u32_e64 v29, null, s25, v3, vcc_lo
	s_mov_b64 s[6:7], 0
.LBB530_2:                              ; =>This Inner Loop Header: Depth=1
	global_load_dwordx4 v[2:5], v[26:27], off
	s_add_u32 s6, s6, 4
	s_addc_u32 s7, s7, 0
	v_add_co_u32 v26, vcc_lo, v26, 64
	v_cmp_lt_i64_e64 s9, s[6:7], s[12:13]
	v_add_co_ci_u32_e64 v27, null, 0, v27, vcc_lo
	s_waitcnt vmcnt(0)
	ds_write2_b64 v91, v[2:3], v[4:5] offset1:1
	global_load_dwordx4 v[2:5], v[28:29], off
	v_add_co_u32 v28, vcc_lo, v28, 64
	v_add_co_ci_u32_e64 v29, null, 0, v29, vcc_lo
	s_and_b32 vcc_lo, exec_lo, s9
	s_waitcnt vmcnt(0)
	ds_write2_b64 v92, v[2:3], v[4:5] offset1:1
	s_waitcnt lgkmcnt(0)
	s_barrier
	buffer_gl0_inv
	ds_read_b128 v[78:81], v93
	ds_read_b128 v[82:85], v93 offset:16
	ds_read_b128 v[6:9], v93 offset:32
	;; [unrolled: 1-line block ×3, first 2 shown]
	ds_read_b128 v[86:89], v90
	s_waitcnt lgkmcnt(0)
	v_mul_f64 v[94:95], v[80:81], v[88:89]
	v_mul_f64 v[96:97], v[78:79], v[88:89]
	v_fma_f64 v[94:95], v[78:79], v[86:87], -v[94:95]
	v_fma_f64 v[96:97], v[80:81], v[86:87], v[96:97]
	v_add_f64 v[98:99], v[48:49], v[94:95]
	v_add_f64 v[100:101], v[96:97], v[52:53]
	ds_read_b128 v[94:97], v90 offset:256
	s_waitcnt lgkmcnt(0)
	v_mul_f64 v[48:49], v[80:81], v[96:97]
	v_mul_f64 v[52:53], v[78:79], v[96:97]
	v_fma_f64 v[48:49], v[78:79], v[94:95], -v[48:49]
	v_fma_f64 v[52:53], v[80:81], v[94:95], v[52:53]
	v_add_f64 v[102:103], v[34:35], v[48:49]
	v_add_f64 v[104:105], v[52:53], v[36:37]
	ds_read_b128 v[34:37], v90 offset:512
	;; [unrolled: 8-line block ×4, first 2 shown]
	s_waitcnt lgkmcnt(0)
	v_mul_f64 v[48:49], v[24:25], v[88:89]
	v_mul_f64 v[52:53], v[22:23], v[88:89]
	v_fma_f64 v[48:49], v[22:23], v[86:87], -v[48:49]
	v_fma_f64 v[52:53], v[24:25], v[86:87], v[52:53]
	v_add_f64 v[70:71], v[70:71], v[48:49]
	v_mul_f64 v[48:49], v[24:25], v[96:97]
	v_add_f64 v[72:73], v[52:53], v[72:73]
	v_mul_f64 v[52:53], v[22:23], v[96:97]
	v_fma_f64 v[48:49], v[22:23], v[94:95], -v[48:49]
	v_fma_f64 v[52:53], v[24:25], v[94:95], v[52:53]
	v_add_f64 v[110:111], v[62:63], v[48:49]
	v_mul_f64 v[48:49], v[24:25], v[36:37]
	v_add_f64 v[112:113], v[52:53], v[64:65]
	;; [unrolled: 6-line block ×3, first 2 shown]
	v_fma_f64 v[48:49], v[22:23], v[30:31], -v[48:49]
	v_mul_f64 v[22:23], v[22:23], v[32:33]
	v_add_f64 v[118:119], v[42:43], v[48:49]
	v_fma_f64 v[22:23], v[24:25], v[30:31], v[22:23]
	v_add_f64 v[120:121], v[22:23], v[46:47]
	ds_read_b128 v[22:25], v93 offset:2048
	s_waitcnt lgkmcnt(0)
	v_mul_f64 v[42:43], v[24:25], v[88:89]
	v_mul_f64 v[46:47], v[22:23], v[88:89]
	v_fma_f64 v[42:43], v[22:23], v[86:87], -v[42:43]
	v_fma_f64 v[46:47], v[24:25], v[86:87], v[46:47]
	v_add_f64 v[122:123], v[66:67], v[42:43]
	v_mul_f64 v[42:43], v[24:25], v[96:97]
	v_add_f64 v[124:125], v[46:47], v[68:69]
	v_mul_f64 v[46:47], v[22:23], v[96:97]
	v_fma_f64 v[42:43], v[22:23], v[94:95], -v[42:43]
	v_fma_f64 v[46:47], v[24:25], v[94:95], v[46:47]
	v_add_f64 v[126:127], v[56:57], v[42:43]
	v_mul_f64 v[42:43], v[24:25], v[36:37]
	v_add_f64 v[128:129], v[46:47], v[60:61]
	;; [unrolled: 6-line block ×3, first 2 shown]
	v_fma_f64 v[42:43], v[22:23], v[30:31], -v[42:43]
	v_mul_f64 v[22:23], v[22:23], v[32:33]
	v_add_f64 v[134:135], v[38:39], v[42:43]
	v_fma_f64 v[22:23], v[24:25], v[30:31], v[22:23]
	v_add_f64 v[136:137], v[22:23], v[40:41]
	ds_read_b128 v[22:25], v93 offset:3072
	s_waitcnt lgkmcnt(0)
	v_mul_f64 v[38:39], v[24:25], v[88:89]
	v_mul_f64 v[40:41], v[22:23], v[88:89]
	v_fma_f64 v[38:39], v[22:23], v[86:87], -v[38:39]
	v_fma_f64 v[40:41], v[24:25], v[86:87], v[40:41]
	v_add_f64 v[58:59], v[18:19], v[38:39]
	v_add_f64 v[60:61], v[40:41], v[20:21]
	v_mul_f64 v[18:19], v[24:25], v[96:97]
	v_mul_f64 v[20:21], v[22:23], v[96:97]
	v_fma_f64 v[18:19], v[22:23], v[94:95], -v[18:19]
	v_fma_f64 v[20:21], v[24:25], v[94:95], v[20:21]
	v_add_f64 v[54:55], v[14:15], v[18:19]
	v_add_f64 v[56:57], v[20:21], v[16:17]
	v_mul_f64 v[14:15], v[24:25], v[36:37]
	v_mul_f64 v[16:17], v[22:23], v[36:37]
	ds_read_b128 v[18:21], v90 offset:1280
	v_fma_f64 v[14:15], v[22:23], v[34:35], -v[14:15]
	v_fma_f64 v[16:17], v[24:25], v[34:35], v[16:17]
	v_add_f64 v[50:51], v[10:11], v[14:15]
	v_add_f64 v[52:53], v[16:17], v[12:13]
	v_mul_f64 v[10:11], v[24:25], v[32:33]
	v_mul_f64 v[12:13], v[22:23], v[32:33]
	ds_read_b128 v[14:17], v90 offset:1536
	v_fma_f64 v[10:11], v[22:23], v[30:31], -v[10:11]
	v_fma_f64 v[12:13], v[24:25], v[30:31], v[12:13]
	ds_read_b128 v[22:25], v90 offset:1024
	v_add_f64 v[46:47], v[74:75], v[10:11]
	v_add_f64 v[48:49], v[12:13], v[76:77]
	s_waitcnt lgkmcnt(0)
	v_mul_f64 v[10:11], v[84:85], v[24:25]
	v_mul_f64 v[12:13], v[82:83], v[24:25]
	ds_read_b128 v[74:77], v93 offset:1040
	v_fma_f64 v[10:11], v[82:83], v[22:23], -v[10:11]
	v_fma_f64 v[12:13], v[84:85], v[22:23], v[12:13]
	s_waitcnt lgkmcnt(0)
	v_mul_f64 v[62:63], v[76:77], v[24:25]
	v_mul_f64 v[64:65], v[74:75], v[24:25]
	;; [unrolled: 1-line block ×4, first 2 shown]
	v_add_f64 v[42:43], v[98:99], v[10:11]
	v_add_f64 v[44:45], v[12:13], v[100:101]
	v_mul_f64 v[10:11], v[84:85], v[20:21]
	v_mul_f64 v[12:13], v[82:83], v[20:21]
	v_fma_f64 v[62:63], v[74:75], v[22:23], -v[62:63]
	v_fma_f64 v[64:65], v[76:77], v[22:23], v[64:65]
	v_fma_f64 v[66:67], v[74:75], v[18:19], -v[66:67]
	v_fma_f64 v[68:69], v[76:77], v[18:19], v[68:69]
	;; [unrolled: 2-line block ×3, first 2 shown]
	v_add_f64 v[62:63], v[70:71], v[62:63]
	v_mul_f64 v[70:71], v[76:77], v[16:17]
	v_add_f64 v[64:65], v[64:65], v[72:73]
	v_mul_f64 v[72:73], v[74:75], v[16:17]
	v_add_f64 v[66:67], v[110:111], v[66:67]
	v_add_f64 v[68:69], v[68:69], v[112:113]
	;; [unrolled: 1-line block ×4, first 2 shown]
	v_mul_f64 v[10:11], v[84:85], v[16:17]
	v_mul_f64 v[12:13], v[82:83], v[16:17]
	v_fma_f64 v[70:71], v[74:75], v[14:15], -v[70:71]
	v_fma_f64 v[72:73], v[76:77], v[14:15], v[72:73]
	v_fma_f64 v[10:11], v[82:83], v[14:15], -v[10:11]
	v_fma_f64 v[12:13], v[84:85], v[14:15], v[12:13]
	v_add_f64 v[70:71], v[114:115], v[70:71]
	v_add_f64 v[72:73], v[72:73], v[116:117]
	;; [unrolled: 1-line block ×4, first 2 shown]
	ds_read_b128 v[10:13], v90 offset:1792
	s_waitcnt lgkmcnt(0)
	v_mul_f64 v[30:31], v[84:85], v[12:13]
	v_mul_f64 v[32:33], v[82:83], v[12:13]
	v_fma_f64 v[30:31], v[82:83], v[10:11], -v[30:31]
	v_fma_f64 v[32:33], v[84:85], v[10:11], v[32:33]
	v_add_f64 v[30:31], v[78:79], v[30:31]
	v_mul_f64 v[78:79], v[76:77], v[12:13]
	v_add_f64 v[32:33], v[32:33], v[80:81]
	v_fma_f64 v[78:79], v[74:75], v[10:11], -v[78:79]
	v_mul_f64 v[74:75], v[74:75], v[12:13]
	v_fma_f64 v[76:77], v[76:77], v[10:11], v[74:75]
	v_add_f64 v[74:75], v[118:119], v[78:79]
	ds_read_b128 v[78:81], v93 offset:2064
	s_waitcnt lgkmcnt(0)
	v_mul_f64 v[82:83], v[80:81], v[24:25]
	v_mul_f64 v[86:87], v[80:81], v[20:21]
	;; [unrolled: 1-line block ×7, first 2 shown]
	v_add_f64 v[76:77], v[76:77], v[120:121]
	v_fma_f64 v[82:83], v[78:79], v[22:23], -v[82:83]
	v_fma_f64 v[86:87], v[78:79], v[18:19], -v[86:87]
	;; [unrolled: 1-line block ×4, first 2 shown]
	v_mul_f64 v[78:79], v[78:79], v[12:13]
	v_fma_f64 v[84:85], v[80:81], v[22:23], v[84:85]
	v_fma_f64 v[88:89], v[80:81], v[18:19], v[88:89]
	;; [unrolled: 1-line block ×3, first 2 shown]
	v_add_f64 v[82:83], v[122:123], v[82:83]
	v_add_f64 v[86:87], v[126:127], v[86:87]
	;; [unrolled: 1-line block ×4, first 2 shown]
	v_fma_f64 v[78:79], v[80:81], v[10:11], v[78:79]
	v_add_f64 v[84:85], v[84:85], v[124:125]
	v_add_f64 v[88:89], v[88:89], v[128:129]
	;; [unrolled: 1-line block ×4, first 2 shown]
	ds_read_b128 v[78:81], v93 offset:3088
	s_waitcnt lgkmcnt(0)
	v_mul_f64 v[102:103], v[80:81], v[24:25]
	v_mul_f64 v[24:25], v[78:79], v[24:25]
	v_fma_f64 v[102:103], v[78:79], v[22:23], -v[102:103]
	v_fma_f64 v[22:23], v[80:81], v[22:23], v[24:25]
	v_add_f64 v[58:59], v[58:59], v[102:103]
	v_add_f64 v[60:61], v[22:23], v[60:61]
	v_mul_f64 v[22:23], v[80:81], v[20:21]
	v_mul_f64 v[20:21], v[78:79], v[20:21]
	v_fma_f64 v[22:23], v[78:79], v[18:19], -v[22:23]
	v_fma_f64 v[18:19], v[80:81], v[18:19], v[20:21]
	v_add_f64 v[54:55], v[54:55], v[22:23]
	v_add_f64 v[56:57], v[18:19], v[56:57]
	;; [unrolled: 6-line block ×4, first 2 shown]
	ds_read_b128 v[10:13], v90 offset:2048
	s_waitcnt lgkmcnt(0)
	v_mul_f64 v[14:15], v[8:9], v[12:13]
	v_mul_f64 v[16:17], v[6:7], v[12:13]
	v_fma_f64 v[14:15], v[6:7], v[10:11], -v[14:15]
	v_fma_f64 v[16:17], v[8:9], v[10:11], v[16:17]
	v_add_f64 v[42:43], v[42:43], v[14:15]
	v_add_f64 v[44:45], v[16:17], v[44:45]
	ds_read_b128 v[14:17], v90 offset:2304
	s_waitcnt lgkmcnt(0)
	v_mul_f64 v[18:19], v[8:9], v[16:17]
	v_mul_f64 v[20:21], v[6:7], v[16:17]
	v_fma_f64 v[18:19], v[6:7], v[14:15], -v[18:19]
	v_fma_f64 v[20:21], v[8:9], v[14:15], v[20:21]
	v_add_f64 v[38:39], v[38:39], v[18:19]
	v_add_f64 v[40:41], v[20:21], v[40:41]
	;; [unrolled: 8-line block ×3, first 2 shown]
	ds_read_b128 v[22:25], v90 offset:2816
	s_waitcnt lgkmcnt(0)
	v_mul_f64 v[34:35], v[8:9], v[24:25]
	v_fma_f64 v[34:35], v[6:7], v[22:23], -v[34:35]
	v_mul_f64 v[6:7], v[6:7], v[24:25]
	v_add_f64 v[106:107], v[30:31], v[34:35]
	v_fma_f64 v[6:7], v[8:9], v[22:23], v[6:7]
	v_add_f64 v[108:109], v[6:7], v[32:33]
	ds_read_b128 v[6:9], v93 offset:1056
	s_waitcnt lgkmcnt(0)
	v_mul_f64 v[30:31], v[8:9], v[12:13]
	v_mul_f64 v[32:33], v[6:7], v[12:13]
	v_fma_f64 v[30:31], v[6:7], v[10:11], -v[30:31]
	v_fma_f64 v[32:33], v[8:9], v[10:11], v[32:33]
	v_add_f64 v[62:63], v[62:63], v[30:31]
	v_mul_f64 v[30:31], v[8:9], v[16:17]
	v_add_f64 v[64:65], v[32:33], v[64:65]
	v_mul_f64 v[32:33], v[6:7], v[16:17]
	v_fma_f64 v[30:31], v[6:7], v[14:15], -v[30:31]
	v_fma_f64 v[32:33], v[8:9], v[14:15], v[32:33]
	v_add_f64 v[66:67], v[66:67], v[30:31]
	v_mul_f64 v[30:31], v[8:9], v[20:21]
	v_add_f64 v[68:69], v[32:33], v[68:69]
	;; [unrolled: 6-line block ×3, first 2 shown]
	v_fma_f64 v[30:31], v[6:7], v[22:23], -v[30:31]
	v_mul_f64 v[6:7], v[6:7], v[24:25]
	v_add_f64 v[114:115], v[74:75], v[30:31]
	v_fma_f64 v[6:7], v[8:9], v[22:23], v[6:7]
	v_add_f64 v[116:117], v[6:7], v[76:77]
	ds_read_b128 v[6:9], v93 offset:2080
	s_waitcnt lgkmcnt(0)
	v_mul_f64 v[30:31], v[8:9], v[12:13]
	v_mul_f64 v[32:33], v[6:7], v[12:13]
	v_fma_f64 v[30:31], v[6:7], v[10:11], -v[30:31]
	v_fma_f64 v[32:33], v[8:9], v[10:11], v[32:33]
	v_add_f64 v[118:119], v[82:83], v[30:31]
	v_mul_f64 v[30:31], v[8:9], v[16:17]
	v_add_f64 v[120:121], v[32:33], v[84:85]
	v_mul_f64 v[32:33], v[6:7], v[16:17]
	v_fma_f64 v[30:31], v[6:7], v[14:15], -v[30:31]
	v_fma_f64 v[32:33], v[8:9], v[14:15], v[32:33]
	v_add_f64 v[122:123], v[86:87], v[30:31]
	v_mul_f64 v[30:31], v[8:9], v[20:21]
	v_add_f64 v[124:125], v[32:33], v[88:89]
	;; [unrolled: 6-line block ×3, first 2 shown]
	v_fma_f64 v[30:31], v[6:7], v[22:23], -v[30:31]
	v_mul_f64 v[6:7], v[6:7], v[24:25]
	v_add_f64 v[98:99], v[98:99], v[30:31]
	v_fma_f64 v[6:7], v[8:9], v[22:23], v[6:7]
	v_add_f64 v[100:101], v[6:7], v[100:101]
	ds_read_b128 v[6:9], v93 offset:3104
	s_waitcnt lgkmcnt(0)
	v_mul_f64 v[30:31], v[8:9], v[12:13]
	v_mul_f64 v[12:13], v[6:7], v[12:13]
	v_fma_f64 v[30:31], v[6:7], v[10:11], -v[30:31]
	v_fma_f64 v[10:11], v[8:9], v[10:11], v[12:13]
	v_mul_f64 v[12:13], v[6:7], v[16:17]
	v_add_f64 v[86:87], v[58:59], v[30:31]
	v_add_f64 v[88:89], v[10:11], v[60:61]
	v_mul_f64 v[10:11], v[8:9], v[16:17]
	v_fma_f64 v[12:13], v[8:9], v[14:15], v[12:13]
	v_fma_f64 v[10:11], v[6:7], v[14:15], -v[10:11]
	v_add_f64 v[84:85], v[12:13], v[56:57]
	v_mul_f64 v[12:13], v[6:7], v[20:21]
	ds_read_b128 v[14:17], v90 offset:3328
	v_add_f64 v[82:83], v[54:55], v[10:11]
	v_mul_f64 v[10:11], v[8:9], v[20:21]
	v_fma_f64 v[12:13], v[8:9], v[18:19], v[12:13]
	v_fma_f64 v[10:11], v[6:7], v[18:19], -v[10:11]
	ds_read_b128 v[18:21], v90 offset:3072
	v_add_f64 v[80:81], v[12:13], v[52:53]
	v_add_f64 v[78:79], v[50:51], v[10:11]
	v_mul_f64 v[10:11], v[8:9], v[24:25]
	v_fma_f64 v[10:11], v[6:7], v[22:23], -v[10:11]
	v_mul_f64 v[6:7], v[6:7], v[24:25]
	v_add_f64 v[74:75], v[46:47], v[10:11]
	v_fma_f64 v[6:7], v[8:9], v[22:23], v[6:7]
	s_waitcnt lgkmcnt(0)
	v_mul_f64 v[8:9], v[2:3], v[20:21]
	ds_read_b128 v[10:13], v90 offset:3584
	v_add_f64 v[76:77], v[6:7], v[48:49]
	v_mul_f64 v[6:7], v[4:5], v[20:21]
	v_fma_f64 v[8:9], v[4:5], v[18:19], v[8:9]
	v_fma_f64 v[6:7], v[2:3], v[18:19], -v[6:7]
	v_add_f64 v[52:53], v[8:9], v[44:45]
	v_mul_f64 v[8:9], v[2:3], v[16:17]
	v_add_f64 v[48:49], v[42:43], v[6:7]
	v_mul_f64 v[6:7], v[4:5], v[16:17]
	v_fma_f64 v[8:9], v[4:5], v[14:15], v[8:9]
	v_fma_f64 v[6:7], v[2:3], v[14:15], -v[6:7]
	v_add_f64 v[36:37], v[8:9], v[40:41]
	s_waitcnt lgkmcnt(0)
	v_mul_f64 v[8:9], v[2:3], v[12:13]
	v_add_f64 v[34:35], v[38:39], v[6:7]
	v_mul_f64 v[6:7], v[4:5], v[12:13]
	v_fma_f64 v[8:9], v[4:5], v[10:11], v[8:9]
	v_fma_f64 v[6:7], v[2:3], v[10:11], -v[6:7]
	v_add_f64 v[32:33], v[8:9], v[104:105]
	v_add_f64 v[30:31], v[102:103], v[6:7]
	ds_read_b128 v[6:9], v90 offset:3840
	s_waitcnt lgkmcnt(0)
	v_mul_f64 v[22:23], v[4:5], v[8:9]
	v_fma_f64 v[22:23], v[2:3], v[6:7], -v[22:23]
	v_mul_f64 v[2:3], v[2:3], v[8:9]
	v_add_f64 v[22:23], v[106:107], v[22:23]
	v_fma_f64 v[2:3], v[4:5], v[6:7], v[2:3]
	v_add_f64 v[24:25], v[2:3], v[108:109]
	ds_read_b128 v[2:5], v93 offset:1072
	s_waitcnt lgkmcnt(0)
	v_mul_f64 v[38:39], v[4:5], v[20:21]
	v_mul_f64 v[40:41], v[2:3], v[20:21]
	v_fma_f64 v[38:39], v[2:3], v[18:19], -v[38:39]
	v_fma_f64 v[40:41], v[4:5], v[18:19], v[40:41]
	v_add_f64 v[70:71], v[62:63], v[38:39]
	v_mul_f64 v[38:39], v[4:5], v[16:17]
	v_add_f64 v[72:73], v[40:41], v[64:65]
	v_mul_f64 v[40:41], v[2:3], v[16:17]
	v_fma_f64 v[38:39], v[2:3], v[14:15], -v[38:39]
	v_fma_f64 v[40:41], v[4:5], v[14:15], v[40:41]
	v_add_f64 v[62:63], v[66:67], v[38:39]
	v_mul_f64 v[38:39], v[4:5], v[12:13]
	v_add_f64 v[64:65], v[40:41], v[68:69]
	v_mul_f64 v[40:41], v[2:3], v[12:13]
	v_fma_f64 v[38:39], v[2:3], v[10:11], -v[38:39]
	v_fma_f64 v[40:41], v[4:5], v[10:11], v[40:41]
	v_add_f64 v[54:55], v[110:111], v[38:39]
	v_mul_f64 v[38:39], v[4:5], v[8:9]
	v_add_f64 v[58:59], v[40:41], v[112:113]
	v_fma_f64 v[38:39], v[2:3], v[6:7], -v[38:39]
	v_mul_f64 v[2:3], v[2:3], v[8:9]
	v_add_f64 v[42:43], v[114:115], v[38:39]
	v_fma_f64 v[2:3], v[4:5], v[6:7], v[2:3]
	v_add_f64 v[46:47], v[2:3], v[116:117]
	ds_read_b128 v[2:5], v93 offset:2096
	s_waitcnt lgkmcnt(0)
	v_mul_f64 v[38:39], v[4:5], v[20:21]
	v_mul_f64 v[40:41], v[2:3], v[20:21]
	v_fma_f64 v[38:39], v[2:3], v[18:19], -v[38:39]
	v_fma_f64 v[40:41], v[4:5], v[18:19], v[40:41]
	v_add_f64 v[66:67], v[118:119], v[38:39]
	v_mul_f64 v[38:39], v[4:5], v[16:17]
	v_add_f64 v[68:69], v[40:41], v[120:121]
	v_mul_f64 v[40:41], v[2:3], v[16:17]
	v_fma_f64 v[38:39], v[2:3], v[14:15], -v[38:39]
	v_fma_f64 v[40:41], v[4:5], v[14:15], v[40:41]
	v_add_f64 v[56:57], v[122:123], v[38:39]
	v_mul_f64 v[38:39], v[4:5], v[12:13]
	v_add_f64 v[60:61], v[40:41], v[124:125]
	;; [unrolled: 6-line block ×3, first 2 shown]
	v_fma_f64 v[38:39], v[2:3], v[6:7], -v[38:39]
	v_mul_f64 v[2:3], v[2:3], v[8:9]
	v_add_f64 v[38:39], v[98:99], v[38:39]
	v_fma_f64 v[2:3], v[4:5], v[6:7], v[2:3]
	v_add_f64 v[40:41], v[2:3], v[100:101]
	ds_read_b128 v[2:5], v93 offset:3120
	s_waitcnt lgkmcnt(0)
	s_barrier
	buffer_gl0_inv
	v_mul_f64 v[94:95], v[4:5], v[20:21]
	v_mul_f64 v[20:21], v[2:3], v[20:21]
	v_fma_f64 v[94:95], v[2:3], v[18:19], -v[94:95]
	v_fma_f64 v[20:21], v[4:5], v[18:19], v[20:21]
	v_add_f64 v[18:19], v[86:87], v[94:95]
	v_mul_f64 v[86:87], v[4:5], v[16:17]
	v_mul_f64 v[16:17], v[2:3], v[16:17]
	v_add_f64 v[20:21], v[20:21], v[88:89]
	v_fma_f64 v[86:87], v[2:3], v[14:15], -v[86:87]
	v_fma_f64 v[16:17], v[4:5], v[14:15], v[16:17]
	v_add_f64 v[14:15], v[82:83], v[86:87]
	v_mul_f64 v[82:83], v[4:5], v[12:13]
	v_mul_f64 v[12:13], v[2:3], v[12:13]
	v_add_f64 v[16:17], v[16:17], v[84:85]
	v_fma_f64 v[82:83], v[2:3], v[10:11], -v[82:83]
	v_fma_f64 v[12:13], v[4:5], v[10:11], v[12:13]
	v_add_f64 v[10:11], v[78:79], v[82:83]
	v_mul_f64 v[78:79], v[4:5], v[8:9]
	v_add_f64 v[12:13], v[12:13], v[80:81]
	v_fma_f64 v[78:79], v[2:3], v[6:7], -v[78:79]
	v_mul_f64 v[2:3], v[2:3], v[8:9]
	v_add_f64 v[74:75], v[74:75], v[78:79]
	v_fma_f64 v[2:3], v[4:5], v[6:7], v[2:3]
	v_add_f64 v[76:77], v[2:3], v[76:77]
	s_cbranch_vccnz .LBB530_2
	s_branch .LBB530_4
.LBB530_3:
	v_mov_b32_e32 v48, 0
	v_mov_b32_e32 v52, 0
	;; [unrolled: 1-line block ×64, first 2 shown]
.LBB530_4:
	s_load_dwordx2 s[4:5], s[4:5], 0x90
	v_cmp_neq_f64_e64 s6, s[38:39], 0
	v_cmp_neq_f64_e64 s7, s[40:41], 0
	v_add_co_u32 v6, s2, s2, v1
	v_add_co_u32 v0, s0, s0, v0
	v_add_co_ci_u32_e64 v7, null, s3, 0, s2
	v_add_co_ci_u32_e64 v1, null, s1, 0, s0
	s_waitcnt lgkmcnt(0)
	s_mul_i32 s5, s5, s8
	s_mul_hi_u32 s9, s4, s8
	s_mul_i32 s4, s4, s8
	s_add_i32 s5, s9, s5
	s_lshl_b64 s[4:5], s[4:5], 4
	s_add_u32 s2, s48, s4
	s_addc_u32 s3, s49, s5
	s_or_b32 s4, s6, s7
	s_and_b32 vcc_lo, exec_lo, s4
	s_cbranch_vccnz .LBB530_6
; %bb.5:
	v_mul_f64 v[4:5], s[16:17], v[52:53]
	v_mul_f64 v[8:9], s[14:15], v[52:53]
	v_mul_lo_u32 v78, v7, s50
	v_mul_lo_u32 v79, v6, s51
	v_mad_u64_u32 v[2:3], null, v6, s50, 0
	v_mul_f64 v[26:27], s[16:17], v[36:37]
	v_mul_f64 v[28:29], s[14:15], v[36:37]
	;; [unrolled: 1-line block ×6, first 2 shown]
	v_add3_u32 v3, v3, v79, v78
	v_mul_f64 v[78:79], s[16:17], v[32:33]
	v_mul_f64 v[88:89], s[14:15], v[72:73]
	;; [unrolled: 1-line block ×4, first 2 shown]
	v_lshlrev_b64 v[2:3], 4, v[2:3]
	v_mul_f64 v[94:95], s[16:17], v[58:59]
	v_mul_f64 v[96:97], s[14:15], v[58:59]
	;; [unrolled: 1-line block ×4, first 2 shown]
	s_lshl_b64 s[0:1], s[50:51], 8
	v_add_co_u32 v104, vcc_lo, s2, v2
	v_add_co_ci_u32_e64 v105, null, s3, v3, vcc_lo
	v_fma_f64 v[2:3], s[14:15], v[48:49], -v[4:5]
	v_fma_f64 v[4:5], s[16:17], v[48:49], v[8:9]
	v_lshlrev_b64 v[8:9], 4, v[0:1]
	v_fma_f64 v[26:27], s[14:15], v[34:35], -v[26:27]
	v_fma_f64 v[28:29], s[16:17], v[34:35], v[28:29]
	v_fma_f64 v[80:81], s[16:17], v[30:31], v[80:81]
	v_fma_f64 v[82:83], s[14:15], v[22:23], -v[82:83]
	v_fma_f64 v[84:85], s[16:17], v[22:23], v[84:85]
	v_add_co_u32 v102, vcc_lo, v104, v8
	v_fma_f64 v[78:79], s[14:15], v[30:31], -v[78:79]
	v_add_co_ci_u32_e64 v103, null, v105, v9, vcc_lo
	v_fma_f64 v[86:87], s[14:15], v[70:71], -v[86:87]
	v_fma_f64 v[88:89], s[16:17], v[70:71], v[88:89]
	v_fma_f64 v[90:91], s[14:15], v[62:63], -v[90:91]
	v_fma_f64 v[92:93], s[16:17], v[62:63], v[92:93]
	;; [unrolled: 2-line block ×3, first 2 shown]
	v_add_co_u32 v106, vcc_lo, v104, s0
	v_add_co_ci_u32_e64 v107, null, s1, v105, vcc_lo
	global_store_dwordx4 v[102:103], v[2:5], off
	v_fma_f64 v[2:3], s[14:15], v[42:43], -v[98:99]
	v_fma_f64 v[4:5], s[16:17], v[42:43], v[100:101]
	v_add_co_u32 v104, vcc_lo, v106, v8
	v_add_co_ci_u32_e64 v105, null, v107, v9, vcc_lo
	global_store_dwordx4 v[102:103], v[26:29], off offset:256
	global_store_dwordx4 v[102:103], v[78:81], off offset:512
	;; [unrolled: 1-line block ×3, first 2 shown]
	global_store_dwordx4 v[104:105], v[86:89], off
	global_store_dwordx4 v[104:105], v[90:93], off offset:256
	global_store_dwordx4 v[104:105], v[94:97], off offset:512
	v_mul_f64 v[26:27], s[16:17], v[68:69]
	v_mul_f64 v[28:29], s[14:15], v[68:69]
	v_mul_f64 v[78:79], s[16:17], v[60:61]
	v_mul_f64 v[80:81], s[14:15], v[60:61]
	v_mul_f64 v[82:83], s[16:17], v[50:51]
	v_mul_f64 v[84:85], s[14:15], v[50:51]
	v_mul_f64 v[86:87], s[16:17], v[40:41]
	v_mul_f64 v[88:89], s[14:15], v[40:41]
	v_mul_f64 v[90:91], s[16:17], v[20:21]
	v_mul_f64 v[92:93], s[14:15], v[20:21]
	v_mul_f64 v[94:95], s[16:17], v[16:17]
	v_mul_f64 v[96:97], s[14:15], v[16:17]
	global_store_dwordx4 v[104:105], v[2:5], off offset:768
	v_mul_f64 v[2:3], s[16:17], v[76:77]
	v_mul_f64 v[4:5], s[14:15], v[76:77]
	;; [unrolled: 1-line block ×4, first 2 shown]
	v_add_co_u32 v104, vcc_lo, v106, s0
	v_add_co_ci_u32_e64 v105, null, s1, v107, vcc_lo
	v_fma_f64 v[26:27], s[14:15], v[66:67], -v[26:27]
	v_fma_f64 v[28:29], s[16:17], v[66:67], v[28:29]
	v_fma_f64 v[78:79], s[14:15], v[56:57], -v[78:79]
	v_fma_f64 v[80:81], s[16:17], v[56:57], v[80:81]
	;; [unrolled: 2-line block ×6, first 2 shown]
	v_add_co_u32 v106, vcc_lo, v104, s0
	v_fma_f64 v[102:103], s[14:15], v[74:75], -v[2:3]
	v_fma_f64 v[2:3], s[16:17], v[74:75], v[4:5]
	v_fma_f64 v[98:99], s[14:15], v[10:11], -v[98:99]
	v_fma_f64 v[100:101], s[16:17], v[10:11], v[100:101]
	v_add_co_ci_u32_e64 v107, null, s1, v105, vcc_lo
	v_add_co_u32 v4, vcc_lo, v104, v8
	v_add_co_ci_u32_e64 v5, null, v105, v9, vcc_lo
	v_add_co_u32 v8, vcc_lo, v106, v8
	v_add_co_ci_u32_e64 v9, null, v107, v9, vcc_lo
	global_store_dwordx4 v[4:5], v[26:29], off
	global_store_dwordx4 v[4:5], v[78:81], off offset:256
	global_store_dwordx4 v[4:5], v[82:85], off offset:512
	;; [unrolled: 1-line block ×3, first 2 shown]
	global_store_dwordx4 v[8:9], v[90:93], off
	v_add_co_u32 v4, vcc_lo, 0x300, v8
	v_add_co_ci_u32_e64 v5, null, 0, v9, vcc_lo
	global_store_dwordx4 v[8:9], v[94:97], off offset:256
	global_store_dwordx4 v[8:9], v[98:101], off offset:512
	global_store_dwordx2 v[8:9], v[102:103], off offset:768
	s_cbranch_execz .LBB530_7
	s_branch .LBB530_8
.LBB530_6:
                                        ; implicit-def: $vgpr2_vgpr3
                                        ; implicit-def: $vgpr4_vgpr5
.LBB530_7:
	v_mul_lo_u32 v4, v7, s44
	v_mul_lo_u32 v5, v6, s45
	v_mad_u64_u32 v[2:3], null, v6, s44, 0
	s_mul_i32 s1, s47, s8
	s_mul_hi_u32 s4, s46, s8
	s_mul_i32 s0, s46, s8
	s_add_i32 s1, s4, s1
	v_mul_f64 v[26:27], s[16:17], v[52:53]
	s_lshl_b64 s[0:1], s[0:1], 4
	v_add3_u32 v3, v3, v5, v4
	s_add_u32 s0, s42, s0
	v_lshlrev_b64 v[4:5], 4, v[0:1]
	s_addc_u32 s1, s43, s1
	v_mul_f64 v[28:29], s[14:15], v[52:53]
	v_lshlrev_b64 v[2:3], 4, v[2:3]
	v_add_co_u32 v78, vcc_lo, s0, v2
	v_add_co_ci_u32_e64 v79, null, s1, v3, vcc_lo
	s_lshl_b64 s[0:1], s[44:45], 8
	v_add_co_u32 v8, vcc_lo, v78, v4
	v_add_co_ci_u32_e64 v9, null, v79, v5, vcc_lo
	v_fma_f64 v[26:27], s[14:15], v[48:49], -v[26:27]
	global_load_dwordx4 v[0:3], v[8:9], off
	v_fma_f64 v[28:29], s[16:17], v[48:49], v[28:29]
	s_waitcnt vmcnt(0)
	v_mul_f64 v[52:53], s[40:41], v[2:3]
	v_mul_f64 v[2:3], s[38:39], v[2:3]
	v_fma_f64 v[48:49], s[38:39], v[0:1], -v[52:53]
	v_fma_f64 v[2:3], s[40:41], v[0:1], v[2:3]
	v_mul_lo_u32 v0, v7, s50
	v_mul_lo_u32 v1, v6, s51
	v_mad_u64_u32 v[6:7], null, v6, s50, 0
	v_add3_u32 v7, v7, v1, v0
	v_lshlrev_b64 v[6:7], 4, v[6:7]
	v_add_f64 v[0:1], v[26:27], v[48:49]
	v_add_f64 v[2:3], v[28:29], v[2:3]
	v_add_co_u32 v48, vcc_lo, s2, v6
	v_add_co_ci_u32_e64 v49, null, s3, v7, vcc_lo
	v_mul_f64 v[26:27], s[16:17], v[36:37]
	v_add_co_u32 v6, vcc_lo, v48, v4
	v_add_co_ci_u32_e64 v7, null, v49, v5, vcc_lo
	v_mul_f64 v[28:29], s[14:15], v[36:37]
	s_lshl_b64 s[2:3], s[50:51], 8
	global_store_dwordx4 v[6:7], v[0:3], off
	global_load_dwordx4 v[0:3], v[8:9], off offset:256
	v_fma_f64 v[26:27], s[14:15], v[34:35], -v[26:27]
	v_fma_f64 v[28:29], s[16:17], v[34:35], v[28:29]
	s_waitcnt vmcnt(0)
	v_mul_f64 v[36:37], s[40:41], v[2:3]
	v_mul_f64 v[2:3], s[38:39], v[2:3]
	v_fma_f64 v[34:35], s[38:39], v[0:1], -v[36:37]
	v_fma_f64 v[2:3], s[40:41], v[0:1], v[2:3]
	v_add_f64 v[0:1], v[26:27], v[34:35]
	v_add_f64 v[2:3], v[28:29], v[2:3]
	v_mul_f64 v[26:27], s[16:17], v[32:33]
	v_mul_f64 v[28:29], s[14:15], v[32:33]
	global_store_dwordx4 v[6:7], v[0:3], off offset:256
	global_load_dwordx4 v[0:3], v[8:9], off offset:512
	v_fma_f64 v[26:27], s[14:15], v[30:31], -v[26:27]
	v_fma_f64 v[28:29], s[16:17], v[30:31], v[28:29]
	s_waitcnt vmcnt(0)
	v_mul_f64 v[32:33], s[40:41], v[2:3]
	v_mul_f64 v[2:3], s[38:39], v[2:3]
	v_fma_f64 v[30:31], s[38:39], v[0:1], -v[32:33]
	v_fma_f64 v[2:3], s[40:41], v[0:1], v[2:3]
	v_add_f64 v[0:1], v[26:27], v[30:31]
	v_add_f64 v[2:3], v[28:29], v[2:3]
	v_add_co_u32 v28, vcc_lo, v78, s0
	v_add_co_ci_u32_e64 v29, null, s1, v79, vcc_lo
	global_store_dwordx4 v[6:7], v[0:3], off offset:512
	global_load_dwordx4 v[0:3], v[8:9], off offset:768
	v_mul_f64 v[8:9], s[16:17], v[24:25]
	v_mul_f64 v[24:25], s[14:15], v[24:25]
	v_fma_f64 v[8:9], s[14:15], v[22:23], -v[8:9]
	v_fma_f64 v[22:23], s[16:17], v[22:23], v[24:25]
	s_waitcnt vmcnt(0)
	v_mul_f64 v[26:27], s[40:41], v[2:3]
	v_mul_f64 v[2:3], s[38:39], v[2:3]
	v_fma_f64 v[24:25], s[38:39], v[0:1], -v[26:27]
	v_fma_f64 v[2:3], s[40:41], v[0:1], v[2:3]
	v_add_f64 v[0:1], v[8:9], v[24:25]
	v_add_f64 v[2:3], v[22:23], v[2:3]
	v_add_co_u32 v8, vcc_lo, v28, v4
	v_add_co_ci_u32_e64 v9, null, v29, v5, vcc_lo
	v_mul_f64 v[22:23], s[14:15], v[72:73]
	v_add_co_u32 v30, vcc_lo, v48, s2
	v_add_co_ci_u32_e64 v31, null, s3, v49, vcc_lo
	global_store_dwordx4 v[6:7], v[0:3], off offset:768
	global_load_dwordx4 v[0:3], v[8:9], off
	v_mul_f64 v[6:7], s[16:17], v[72:73]
	v_fma_f64 v[22:23], s[16:17], v[70:71], v[22:23]
	v_fma_f64 v[6:7], s[14:15], v[70:71], -v[6:7]
	s_waitcnt vmcnt(0)
	v_mul_f64 v[24:25], s[40:41], v[2:3]
	v_mul_f64 v[2:3], s[38:39], v[2:3]
	v_fma_f64 v[24:25], s[38:39], v[0:1], -v[24:25]
	v_fma_f64 v[2:3], s[40:41], v[0:1], v[2:3]
	v_add_f64 v[0:1], v[6:7], v[24:25]
	v_add_f64 v[2:3], v[22:23], v[2:3]
	v_add_co_u32 v6, vcc_lo, v30, v4
	v_add_co_ci_u32_e64 v7, null, v31, v5, vcc_lo
	v_mul_f64 v[22:23], s[16:17], v[64:65]
	v_mul_f64 v[24:25], s[14:15], v[64:65]
	v_add_co_u32 v28, vcc_lo, v28, s0
	v_add_co_ci_u32_e64 v29, null, s1, v29, vcc_lo
	global_store_dwordx4 v[6:7], v[0:3], off
	global_load_dwordx4 v[0:3], v[8:9], off offset:256
	v_fma_f64 v[22:23], s[14:15], v[62:63], -v[22:23]
	v_fma_f64 v[24:25], s[16:17], v[62:63], v[24:25]
	s_waitcnt vmcnt(0)
	v_mul_f64 v[26:27], s[40:41], v[2:3]
	v_mul_f64 v[2:3], s[38:39], v[2:3]
	v_fma_f64 v[26:27], s[38:39], v[0:1], -v[26:27]
	v_fma_f64 v[2:3], s[40:41], v[0:1], v[2:3]
	v_add_f64 v[0:1], v[22:23], v[26:27]
	v_add_f64 v[2:3], v[24:25], v[2:3]
	v_mul_f64 v[22:23], s[16:17], v[58:59]
	v_mul_f64 v[24:25], s[14:15], v[58:59]
	global_store_dwordx4 v[6:7], v[0:3], off offset:256
	global_load_dwordx4 v[0:3], v[8:9], off offset:512
	v_fma_f64 v[22:23], s[14:15], v[54:55], -v[22:23]
	v_fma_f64 v[24:25], s[16:17], v[54:55], v[24:25]
	s_waitcnt vmcnt(0)
	v_mul_f64 v[26:27], s[40:41], v[2:3]
	v_mul_f64 v[2:3], s[38:39], v[2:3]
	v_fma_f64 v[26:27], s[38:39], v[0:1], -v[26:27]
	v_fma_f64 v[2:3], s[40:41], v[0:1], v[2:3]
	v_add_f64 v[0:1], v[22:23], v[26:27]
	v_add_f64 v[2:3], v[24:25], v[2:3]
	v_mul_f64 v[22:23], s[14:15], v[46:47]
	global_store_dwordx4 v[6:7], v[0:3], off offset:512
	global_load_dwordx4 v[0:3], v[8:9], off offset:768
	v_mul_f64 v[8:9], s[16:17], v[46:47]
	v_fma_f64 v[22:23], s[16:17], v[42:43], v[22:23]
	v_fma_f64 v[8:9], s[14:15], v[42:43], -v[8:9]
	s_waitcnt vmcnt(0)
	v_mul_f64 v[24:25], s[40:41], v[2:3]
	v_mul_f64 v[2:3], s[38:39], v[2:3]
	v_fma_f64 v[24:25], s[38:39], v[0:1], -v[24:25]
	v_fma_f64 v[2:3], s[40:41], v[0:1], v[2:3]
	v_add_f64 v[0:1], v[8:9], v[24:25]
	v_add_f64 v[2:3], v[22:23], v[2:3]
	v_add_co_u32 v8, vcc_lo, v28, v4
	v_add_co_ci_u32_e64 v9, null, v29, v5, vcc_lo
	v_mul_f64 v[22:23], s[14:15], v[68:69]
	v_add_co_u32 v30, vcc_lo, v30, s2
	v_add_co_ci_u32_e64 v31, null, s3, v31, vcc_lo
	global_store_dwordx4 v[6:7], v[0:3], off offset:768
	global_load_dwordx4 v[0:3], v[8:9], off
	v_mul_f64 v[6:7], s[16:17], v[68:69]
	v_fma_f64 v[22:23], s[16:17], v[66:67], v[22:23]
	v_fma_f64 v[6:7], s[14:15], v[66:67], -v[6:7]
	s_waitcnt vmcnt(0)
	v_mul_f64 v[24:25], s[40:41], v[2:3]
	v_mul_f64 v[2:3], s[38:39], v[2:3]
	v_fma_f64 v[24:25], s[38:39], v[0:1], -v[24:25]
	v_fma_f64 v[2:3], s[40:41], v[0:1], v[2:3]
	v_add_f64 v[0:1], v[6:7], v[24:25]
	v_add_f64 v[2:3], v[22:23], v[2:3]
	v_add_co_u32 v6, vcc_lo, v30, v4
	v_add_co_ci_u32_e64 v7, null, v31, v5, vcc_lo
	v_mul_f64 v[22:23], s[16:17], v[60:61]
	v_mul_f64 v[24:25], s[14:15], v[60:61]
	global_store_dwordx4 v[6:7], v[0:3], off
	global_load_dwordx4 v[0:3], v[8:9], off offset:256
	v_fma_f64 v[22:23], s[14:15], v[56:57], -v[22:23]
	v_fma_f64 v[24:25], s[16:17], v[56:57], v[24:25]
	s_waitcnt vmcnt(0)
	v_mul_f64 v[26:27], s[40:41], v[2:3]
	v_mul_f64 v[2:3], s[38:39], v[2:3]
	v_fma_f64 v[26:27], s[38:39], v[0:1], -v[26:27]
	v_fma_f64 v[2:3], s[40:41], v[0:1], v[2:3]
	v_add_f64 v[0:1], v[22:23], v[26:27]
	v_add_f64 v[2:3], v[24:25], v[2:3]
	v_mul_f64 v[22:23], s[16:17], v[50:51]
	v_mul_f64 v[24:25], s[14:15], v[50:51]
	global_store_dwordx4 v[6:7], v[0:3], off offset:256
	global_load_dwordx4 v[0:3], v[8:9], off offset:512
	v_fma_f64 v[22:23], s[14:15], v[44:45], -v[22:23]
	v_fma_f64 v[24:25], s[16:17], v[44:45], v[24:25]
	s_waitcnt vmcnt(0)
	v_mul_f64 v[26:27], s[40:41], v[2:3]
	v_mul_f64 v[2:3], s[38:39], v[2:3]
	v_fma_f64 v[26:27], s[38:39], v[0:1], -v[26:27]
	v_fma_f64 v[2:3], s[40:41], v[0:1], v[2:3]
	v_add_f64 v[0:1], v[22:23], v[26:27]
	v_add_f64 v[2:3], v[24:25], v[2:3]
	v_mul_f64 v[22:23], s[14:15], v[40:41]
	global_store_dwordx4 v[6:7], v[0:3], off offset:512
	global_load_dwordx4 v[0:3], v[8:9], off offset:768
	v_mul_f64 v[8:9], s[16:17], v[40:41]
	v_fma_f64 v[22:23], s[16:17], v[38:39], v[22:23]
	v_fma_f64 v[8:9], s[14:15], v[38:39], -v[8:9]
	s_waitcnt vmcnt(0)
	v_mul_f64 v[24:25], s[40:41], v[2:3]
	v_mul_f64 v[2:3], s[38:39], v[2:3]
	v_fma_f64 v[24:25], s[38:39], v[0:1], -v[24:25]
	v_fma_f64 v[2:3], s[40:41], v[0:1], v[2:3]
	v_add_f64 v[0:1], v[8:9], v[24:25]
	v_add_f64 v[2:3], v[22:23], v[2:3]
	v_add_co_u32 v8, vcc_lo, v28, s0
	v_add_co_ci_u32_e64 v9, null, s1, v29, vcc_lo
	v_add_co_u32 v8, vcc_lo, v8, v4
	v_add_co_ci_u32_e64 v9, null, v9, v5, vcc_lo
	global_store_dwordx4 v[6:7], v[0:3], off offset:768
	global_load_dwordx4 v[0:3], v[8:9], off
	v_mul_f64 v[6:7], s[16:17], v[20:21]
	v_mul_f64 v[20:21], s[14:15], v[20:21]
	v_fma_f64 v[6:7], s[14:15], v[18:19], -v[6:7]
	v_fma_f64 v[18:19], s[16:17], v[18:19], v[20:21]
	s_waitcnt vmcnt(0)
	v_mul_f64 v[22:23], s[40:41], v[2:3]
	v_mul_f64 v[2:3], s[38:39], v[2:3]
	v_fma_f64 v[20:21], s[38:39], v[0:1], -v[22:23]
	v_fma_f64 v[2:3], s[40:41], v[0:1], v[2:3]
	v_add_f64 v[0:1], v[6:7], v[20:21]
	v_add_f64 v[2:3], v[18:19], v[2:3]
	v_add_co_u32 v6, vcc_lo, v30, s2
	v_add_co_ci_u32_e64 v7, null, s3, v31, vcc_lo
	v_add_co_u32 v6, vcc_lo, v6, v4
	v_add_co_ci_u32_e64 v7, null, v7, v5, vcc_lo
	v_mul_f64 v[4:5], s[16:17], v[16:17]
	v_mul_f64 v[16:17], s[14:15], v[16:17]
	global_store_dwordx4 v[6:7], v[0:3], off
	global_load_dwordx4 v[0:3], v[8:9], off offset:256
	v_fma_f64 v[4:5], s[14:15], v[14:15], -v[4:5]
	v_fma_f64 v[14:15], s[16:17], v[14:15], v[16:17]
	s_waitcnt vmcnt(0)
	v_mul_f64 v[18:19], s[40:41], v[2:3]
	v_mul_f64 v[2:3], s[38:39], v[2:3]
	v_fma_f64 v[16:17], s[38:39], v[0:1], -v[18:19]
	v_fma_f64 v[2:3], s[40:41], v[0:1], v[2:3]
	v_add_f64 v[0:1], v[4:5], v[16:17]
	v_add_f64 v[2:3], v[14:15], v[2:3]
	v_mul_f64 v[4:5], s[16:17], v[12:13]
	v_mul_f64 v[12:13], s[14:15], v[12:13]
	global_store_dwordx4 v[6:7], v[0:3], off offset:256
	global_load_dwordx4 v[0:3], v[8:9], off offset:512
	v_fma_f64 v[4:5], s[14:15], v[10:11], -v[4:5]
	v_fma_f64 v[10:11], s[16:17], v[10:11], v[12:13]
	s_waitcnt vmcnt(0)
	v_mul_f64 v[14:15], s[40:41], v[2:3]
	v_mul_f64 v[2:3], s[38:39], v[2:3]
	v_fma_f64 v[12:13], s[38:39], v[0:1], -v[14:15]
	v_fma_f64 v[2:3], s[40:41], v[0:1], v[2:3]
	v_add_f64 v[0:1], v[4:5], v[12:13]
	v_add_f64 v[2:3], v[10:11], v[2:3]
	v_mul_f64 v[4:5], s[16:17], v[76:77]
	global_store_dwordx4 v[6:7], v[0:3], off offset:512
	global_load_dwordx4 v[0:3], v[8:9], off offset:768
	v_mul_f64 v[8:9], s[14:15], v[76:77]
	v_fma_f64 v[4:5], s[14:15], v[74:75], -v[4:5]
	v_fma_f64 v[8:9], s[16:17], v[74:75], v[8:9]
	s_waitcnt vmcnt(0)
	v_mul_f64 v[10:11], s[40:41], v[2:3]
	v_mul_f64 v[2:3], s[38:39], v[2:3]
	v_fma_f64 v[10:11], s[38:39], v[0:1], -v[10:11]
	v_fma_f64 v[0:1], s[40:41], v[0:1], v[2:3]
	v_add_f64 v[10:11], v[4:5], v[10:11]
	v_add_f64 v[2:3], v[8:9], v[0:1]
	v_add_co_u32 v4, vcc_lo, 0x300, v6
	v_add_co_ci_u32_e64 v5, null, 0, v7, vcc_lo
	global_store_dwordx2 v[6:7], v[10:11], off offset:768
.LBB530_8:
	global_store_dwordx2 v[4:5], v[2:3], off offset:8
	s_endpgm
	.section	.rodata,"a",@progbits
	.p2align	6, 0x0
	.amdhsa_kernel _ZN12_GLOBAL__N_127rocblas_gemm_batched_kernelI19rocblas_complex_numIdELi16ELi16ELi64ELi64ELi4ELi64ELi4ELi4ELi64ELc84ELc78EKS2_S3_S2_EEvlllT_PT11_llS6_llS4_PT12_llPT13_lli
		.amdhsa_group_segment_fixed_size 8192
		.amdhsa_private_segment_fixed_size 0
		.amdhsa_kernarg_size 156
		.amdhsa_user_sgpr_count 6
		.amdhsa_user_sgpr_private_segment_buffer 1
		.amdhsa_user_sgpr_dispatch_ptr 0
		.amdhsa_user_sgpr_queue_ptr 0
		.amdhsa_user_sgpr_kernarg_segment_ptr 1
		.amdhsa_user_sgpr_dispatch_id 0
		.amdhsa_user_sgpr_flat_scratch_init 0
		.amdhsa_user_sgpr_private_segment_size 0
		.amdhsa_wavefront_size32 1
		.amdhsa_uses_dynamic_stack 0
		.amdhsa_system_sgpr_private_segment_wavefront_offset 0
		.amdhsa_system_sgpr_workgroup_id_x 1
		.amdhsa_system_sgpr_workgroup_id_y 1
		.amdhsa_system_sgpr_workgroup_id_z 1
		.amdhsa_system_sgpr_workgroup_info 0
		.amdhsa_system_vgpr_workitem_id 1
		.amdhsa_next_free_vgpr 138
		.amdhsa_next_free_sgpr 52
		.amdhsa_reserve_vcc 1
		.amdhsa_reserve_flat_scratch 0
		.amdhsa_float_round_mode_32 0
		.amdhsa_float_round_mode_16_64 0
		.amdhsa_float_denorm_mode_32 3
		.amdhsa_float_denorm_mode_16_64 3
		.amdhsa_dx10_clamp 1
		.amdhsa_ieee_mode 1
		.amdhsa_fp16_overflow 0
		.amdhsa_workgroup_processor_mode 1
		.amdhsa_memory_ordered 1
		.amdhsa_forward_progress 1
		.amdhsa_shared_vgpr_count 0
		.amdhsa_exception_fp_ieee_invalid_op 0
		.amdhsa_exception_fp_denorm_src 0
		.amdhsa_exception_fp_ieee_div_zero 0
		.amdhsa_exception_fp_ieee_overflow 0
		.amdhsa_exception_fp_ieee_underflow 0
		.amdhsa_exception_fp_ieee_inexact 0
		.amdhsa_exception_int_div_zero 0
	.end_amdhsa_kernel
	.section	.text._ZN12_GLOBAL__N_127rocblas_gemm_batched_kernelI19rocblas_complex_numIdELi16ELi16ELi64ELi64ELi4ELi64ELi4ELi4ELi64ELc84ELc78EKS2_S3_S2_EEvlllT_PT11_llS6_llS4_PT12_llPT13_lli,"axG",@progbits,_ZN12_GLOBAL__N_127rocblas_gemm_batched_kernelI19rocblas_complex_numIdELi16ELi16ELi64ELi64ELi4ELi64ELi4ELi4ELi64ELc84ELc78EKS2_S3_S2_EEvlllT_PT11_llS6_llS4_PT12_llPT13_lli,comdat
.Lfunc_end530:
	.size	_ZN12_GLOBAL__N_127rocblas_gemm_batched_kernelI19rocblas_complex_numIdELi16ELi16ELi64ELi64ELi4ELi64ELi4ELi4ELi64ELc84ELc78EKS2_S3_S2_EEvlllT_PT11_llS6_llS4_PT12_llPT13_lli, .Lfunc_end530-_ZN12_GLOBAL__N_127rocblas_gemm_batched_kernelI19rocblas_complex_numIdELi16ELi16ELi64ELi64ELi4ELi64ELi4ELi4ELi64ELc84ELc78EKS2_S3_S2_EEvlllT_PT11_llS6_llS4_PT12_llPT13_lli
                                        ; -- End function
	.set _ZN12_GLOBAL__N_127rocblas_gemm_batched_kernelI19rocblas_complex_numIdELi16ELi16ELi64ELi64ELi4ELi64ELi4ELi4ELi64ELc84ELc78EKS2_S3_S2_EEvlllT_PT11_llS6_llS4_PT12_llPT13_lli.num_vgpr, 138
	.set _ZN12_GLOBAL__N_127rocblas_gemm_batched_kernelI19rocblas_complex_numIdELi16ELi16ELi64ELi64ELi4ELi64ELi4ELi4ELi64ELc84ELc78EKS2_S3_S2_EEvlllT_PT11_llS6_llS4_PT12_llPT13_lli.num_agpr, 0
	.set _ZN12_GLOBAL__N_127rocblas_gemm_batched_kernelI19rocblas_complex_numIdELi16ELi16ELi64ELi64ELi4ELi64ELi4ELi4ELi64ELc84ELc78EKS2_S3_S2_EEvlllT_PT11_llS6_llS4_PT12_llPT13_lli.numbered_sgpr, 52
	.set _ZN12_GLOBAL__N_127rocblas_gemm_batched_kernelI19rocblas_complex_numIdELi16ELi16ELi64ELi64ELi4ELi64ELi4ELi4ELi64ELc84ELc78EKS2_S3_S2_EEvlllT_PT11_llS6_llS4_PT12_llPT13_lli.num_named_barrier, 0
	.set _ZN12_GLOBAL__N_127rocblas_gemm_batched_kernelI19rocblas_complex_numIdELi16ELi16ELi64ELi64ELi4ELi64ELi4ELi4ELi64ELc84ELc78EKS2_S3_S2_EEvlllT_PT11_llS6_llS4_PT12_llPT13_lli.private_seg_size, 0
	.set _ZN12_GLOBAL__N_127rocblas_gemm_batched_kernelI19rocblas_complex_numIdELi16ELi16ELi64ELi64ELi4ELi64ELi4ELi4ELi64ELc84ELc78EKS2_S3_S2_EEvlllT_PT11_llS6_llS4_PT12_llPT13_lli.uses_vcc, 1
	.set _ZN12_GLOBAL__N_127rocblas_gemm_batched_kernelI19rocblas_complex_numIdELi16ELi16ELi64ELi64ELi4ELi64ELi4ELi4ELi64ELc84ELc78EKS2_S3_S2_EEvlllT_PT11_llS6_llS4_PT12_llPT13_lli.uses_flat_scratch, 0
	.set _ZN12_GLOBAL__N_127rocblas_gemm_batched_kernelI19rocblas_complex_numIdELi16ELi16ELi64ELi64ELi4ELi64ELi4ELi4ELi64ELc84ELc78EKS2_S3_S2_EEvlllT_PT11_llS6_llS4_PT12_llPT13_lli.has_dyn_sized_stack, 0
	.set _ZN12_GLOBAL__N_127rocblas_gemm_batched_kernelI19rocblas_complex_numIdELi16ELi16ELi64ELi64ELi4ELi64ELi4ELi4ELi64ELc84ELc78EKS2_S3_S2_EEvlllT_PT11_llS6_llS4_PT12_llPT13_lli.has_recursion, 0
	.set _ZN12_GLOBAL__N_127rocblas_gemm_batched_kernelI19rocblas_complex_numIdELi16ELi16ELi64ELi64ELi4ELi64ELi4ELi4ELi64ELc84ELc78EKS2_S3_S2_EEvlllT_PT11_llS6_llS4_PT12_llPT13_lli.has_indirect_call, 0
	.section	.AMDGPU.csdata,"",@progbits
; Kernel info:
; codeLenInByte = 7416
; TotalNumSgprs: 54
; NumVgprs: 138
; ScratchSize: 0
; MemoryBound: 0
; FloatMode: 240
; IeeeMode: 1
; LDSByteSize: 8192 bytes/workgroup (compile time only)
; SGPRBlocks: 0
; VGPRBlocks: 17
; NumSGPRsForWavesPerEU: 54
; NumVGPRsForWavesPerEU: 138
; Occupancy: 7
; WaveLimiterHint : 1
; COMPUTE_PGM_RSRC2:SCRATCH_EN: 0
; COMPUTE_PGM_RSRC2:USER_SGPR: 6
; COMPUTE_PGM_RSRC2:TRAP_HANDLER: 0
; COMPUTE_PGM_RSRC2:TGID_X_EN: 1
; COMPUTE_PGM_RSRC2:TGID_Y_EN: 1
; COMPUTE_PGM_RSRC2:TGID_Z_EN: 1
; COMPUTE_PGM_RSRC2:TIDIG_COMP_CNT: 1
	.section	.text._ZN12_GLOBAL__N_127rocblas_gemm_batched_kernelI19rocblas_complex_numIdELi16ELi16ELi64ELi64ELi4ELi64ELi4ELi4ELi64ELc78ELc84EKS2_S3_S2_EEvlllT_PT11_llS6_llS4_PT12_llPT13_lli,"axG",@progbits,_ZN12_GLOBAL__N_127rocblas_gemm_batched_kernelI19rocblas_complex_numIdELi16ELi16ELi64ELi64ELi4ELi64ELi4ELi4ELi64ELc78ELc84EKS2_S3_S2_EEvlllT_PT11_llS6_llS4_PT12_llPT13_lli,comdat
	.globl	_ZN12_GLOBAL__N_127rocblas_gemm_batched_kernelI19rocblas_complex_numIdELi16ELi16ELi64ELi64ELi4ELi64ELi4ELi4ELi64ELc78ELc84EKS2_S3_S2_EEvlllT_PT11_llS6_llS4_PT12_llPT13_lli ; -- Begin function _ZN12_GLOBAL__N_127rocblas_gemm_batched_kernelI19rocblas_complex_numIdELi16ELi16ELi64ELi64ELi4ELi64ELi4ELi4ELi64ELc78ELc84EKS2_S3_S2_EEvlllT_PT11_llS6_llS4_PT12_llPT13_lli
	.p2align	8
	.type	_ZN12_GLOBAL__N_127rocblas_gemm_batched_kernelI19rocblas_complex_numIdELi16ELi16ELi64ELi64ELi4ELi64ELi4ELi4ELi64ELc78ELc84EKS2_S3_S2_EEvlllT_PT11_llS6_llS4_PT12_llPT13_lli,@function
_ZN12_GLOBAL__N_127rocblas_gemm_batched_kernelI19rocblas_complex_numIdELi16ELi16ELi64ELi64ELi4ELi64ELi4ELi4ELi64ELc78ELc84EKS2_S3_S2_EEvlllT_PT11_llS6_llS4_PT12_llPT13_lli: ; @_ZN12_GLOBAL__N_127rocblas_gemm_batched_kernelI19rocblas_complex_numIdELi16ELi16ELi64ELi64ELi4ELi64ELi4ELi4ELi64ELc78ELc84EKS2_S3_S2_EEvlllT_PT11_llS6_llS4_PT12_llPT13_lli
; %bb.0:
	s_clause 0x1
	s_load_dwordx16 s[12:27], s[4:5], 0x10
	s_load_dwordx16 s[36:51], s[4:5], 0x50
	s_mov_b32 s2, s7
	s_ashr_i32 s7, s6, 31
	s_ashr_i32 s3, s2, 31
	s_lshl_b64 s[0:1], s[6:7], 6
	s_lshl_b64 s[2:3], s[2:3], 6
	s_waitcnt lgkmcnt(0)
	v_cmp_lt_i64_e64 s9, s[12:13], 1
	s_and_b32 vcc_lo, exec_lo, s9
	s_cbranch_vccnz .LBB531_3
; %bb.1:
	v_lshl_add_u32 v8, v1, 4, v0
	v_and_b32_e32 v9, 3, v0
	s_mul_i32 s7, s23, s8
	s_mul_hi_u32 s9, s22, s8
	s_mul_i32 s10, s37, s8
	v_lshrrev_b32_e32 v11, 2, v8
	v_lshrrev_b32_e32 v10, 6, v8
	s_add_i32 s7, s9, s7
	s_mul_hi_u32 s11, s36, s8
	v_mov_b32_e32 v76, 0
	v_add_co_u32 v4, s6, v11, s2
	v_add_co_ci_u32_e64 v5, null, 0, s3, s6
	v_mad_u64_u32 v[2:3], null, s20, v10, s[0:1]
	s_mul_i32 s6, s22, s8
	v_mad_u64_u32 v[4:5], null, s26, v9, v[4:5]
	s_lshl_b64 s[6:7], s[6:7], 4
	v_mov_b32_e32 v74, 0
	s_add_u32 s6, s18, s6
	s_addc_u32 s7, s19, s7
	s_add_i32 s11, s11, s10
	s_mul_i32 s10, s36, s8
	v_mad_u64_u32 v[6:7], null, s21, v10, v[3:4]
	v_and_b32_e32 v7, 63, v8
	v_mov_b32_e32 v3, v5
	v_lshlrev_b32_e32 v8, 4, v9
	s_lshl_b64 s[10:11], s[10:11], 4
	v_mov_b32_e32 v12, 0
	v_add_co_u32 v5, vcc_lo, v2, v7
	v_mad_u64_u32 v[2:3], null, s27, v9, v[3:4]
	v_add_co_ci_u32_e64 v6, null, 0, v6, vcc_lo
	v_lshlrev_b32_e32 v3, 4, v7
	v_lshl_or_b32 v8, v11, 6, v8
	v_mov_b32_e32 v16, 0
	v_lshlrev_b64 v[6:7], 4, v[5:6]
	v_mov_b32_e32 v5, v2
	v_lshl_or_b32 v92, v10, 10, v3
	v_mov_b32_e32 v10, 0
	v_mov_b32_e32 v14, 0
	;; [unrolled: 1-line block ×3, first 2 shown]
	v_lshlrev_b64 v[2:3], 4, v[4:5]
	v_add_co_u32 v26, vcc_lo, s6, v6
	v_add_co_ci_u32_e64 v27, null, s7, v7, vcc_lo
	s_lshl_b64 s[6:7], s[20:21], 6
	s_add_u32 s9, s24, s10
	s_addc_u32 s10, s25, s11
	v_add_co_u32 v28, vcc_lo, s9, v2
	v_mov_b32_e32 v18, 0
	v_mov_b32_e32 v40, 0
	;; [unrolled: 1-line block ×25, first 2 shown]
	v_lshlrev_b32_e32 v90, 4, v0
	v_lshl_add_u32 v91, v1, 6, 0x1000
	v_add_nc_u32_e32 v93, 0x1000, v8
	v_mov_b32_e32 v77, 0
	v_mov_b32_e32 v75, 0
	v_mov_b32_e32 v13, 0
	v_mov_b32_e32 v11, 0
	v_mov_b32_e32 v17, 0
	v_mov_b32_e32 v15, 0
	v_mov_b32_e32 v21, 0
	v_mov_b32_e32 v19, 0
	v_mov_b32_e32 v41, 0
	v_mov_b32_e32 v39, 0
	v_mov_b32_e32 v51, 0
	v_mov_b32_e32 v45, 0
	v_mov_b32_e32 v61, 0
	v_mov_b32_e32 v57, 0
	v_mov_b32_e32 v69, 0
	v_mov_b32_e32 v67, 0
	v_mov_b32_e32 v47, 0
	v_mov_b32_e32 v43, 0
	v_mov_b32_e32 v59, 0
	v_mov_b32_e32 v55, 0
	v_mov_b32_e32 v65, 0
	v_mov_b32_e32 v63, 0
	v_mov_b32_e32 v73, 0
	v_mov_b32_e32 v71, 0
	v_mov_b32_e32 v25, 0
	v_mov_b32_e32 v23, 0
	v_mov_b32_e32 v33, 0
	v_mov_b32_e32 v31, 0
	v_mov_b32_e32 v37, 0
	v_mov_b32_e32 v35, 0
	v_mov_b32_e32 v53, 0
	v_mov_b32_e32 v49, 0
	v_add_co_ci_u32_e64 v29, null, s10, v3, vcc_lo
	s_lshl_b64 s[10:11], s[26:27], 6
	s_mov_b64 s[18:19], 0
.LBB531_2:                              ; =>This Inner Loop Header: Depth=1
	global_load_dwordx4 v[2:5], v[26:27], off
	s_add_u32 s18, s18, 4
	s_addc_u32 s19, s19, 0
	v_add_co_u32 v26, vcc_lo, v26, s6
	v_cmp_lt_i64_e64 s9, s[18:19], s[12:13]
	v_add_co_ci_u32_e64 v27, null, s7, v27, vcc_lo
	s_waitcnt vmcnt(0)
	ds_write2_b64 v92, v[2:3], v[4:5] offset1:1
	global_load_dwordx4 v[2:5], v[28:29], off
	v_add_co_u32 v28, vcc_lo, v28, s10
	v_add_co_ci_u32_e64 v29, null, s11, v29, vcc_lo
	s_and_b32 vcc_lo, exec_lo, s9
	s_waitcnt vmcnt(0)
	ds_write2_b64 v93, v[2:3], v[4:5] offset1:1
	s_waitcnt lgkmcnt(0)
	s_barrier
	buffer_gl0_inv
	ds_read_b128 v[78:81], v91
	ds_read_b128 v[82:85], v91 offset:16
	ds_read_b128 v[6:9], v91 offset:32
	;; [unrolled: 1-line block ×3, first 2 shown]
	ds_read_b128 v[86:89], v90
	s_waitcnt lgkmcnt(0)
	v_mul_f64 v[94:95], v[80:81], v[88:89]
	v_mul_f64 v[96:97], v[78:79], v[88:89]
	v_fma_f64 v[94:95], v[78:79], v[86:87], -v[94:95]
	v_fma_f64 v[96:97], v[80:81], v[86:87], v[96:97]
	v_add_f64 v[98:99], v[48:49], v[94:95]
	v_add_f64 v[100:101], v[96:97], v[52:53]
	ds_read_b128 v[94:97], v90 offset:256
	s_waitcnt lgkmcnt(0)
	v_mul_f64 v[48:49], v[80:81], v[96:97]
	v_mul_f64 v[52:53], v[78:79], v[96:97]
	v_fma_f64 v[48:49], v[78:79], v[94:95], -v[48:49]
	v_fma_f64 v[52:53], v[80:81], v[94:95], v[52:53]
	v_add_f64 v[102:103], v[34:35], v[48:49]
	v_add_f64 v[104:105], v[52:53], v[36:37]
	ds_read_b128 v[34:37], v90 offset:512
	;; [unrolled: 8-line block ×4, first 2 shown]
	s_waitcnt lgkmcnt(0)
	v_mul_f64 v[48:49], v[24:25], v[88:89]
	v_mul_f64 v[52:53], v[22:23], v[88:89]
	v_fma_f64 v[48:49], v[22:23], v[86:87], -v[48:49]
	v_fma_f64 v[52:53], v[24:25], v[86:87], v[52:53]
	v_add_f64 v[70:71], v[70:71], v[48:49]
	v_mul_f64 v[48:49], v[24:25], v[96:97]
	v_add_f64 v[72:73], v[52:53], v[72:73]
	v_mul_f64 v[52:53], v[22:23], v[96:97]
	v_fma_f64 v[48:49], v[22:23], v[94:95], -v[48:49]
	v_fma_f64 v[52:53], v[24:25], v[94:95], v[52:53]
	v_add_f64 v[110:111], v[62:63], v[48:49]
	v_mul_f64 v[48:49], v[24:25], v[36:37]
	v_add_f64 v[112:113], v[52:53], v[64:65]
	;; [unrolled: 6-line block ×3, first 2 shown]
	v_fma_f64 v[48:49], v[22:23], v[30:31], -v[48:49]
	v_mul_f64 v[22:23], v[22:23], v[32:33]
	v_add_f64 v[118:119], v[42:43], v[48:49]
	v_fma_f64 v[22:23], v[24:25], v[30:31], v[22:23]
	v_add_f64 v[120:121], v[22:23], v[46:47]
	ds_read_b128 v[22:25], v91 offset:2048
	s_waitcnt lgkmcnt(0)
	v_mul_f64 v[42:43], v[24:25], v[88:89]
	v_mul_f64 v[46:47], v[22:23], v[88:89]
	v_fma_f64 v[42:43], v[22:23], v[86:87], -v[42:43]
	v_fma_f64 v[46:47], v[24:25], v[86:87], v[46:47]
	v_add_f64 v[122:123], v[66:67], v[42:43]
	v_mul_f64 v[42:43], v[24:25], v[96:97]
	v_add_f64 v[124:125], v[46:47], v[68:69]
	v_mul_f64 v[46:47], v[22:23], v[96:97]
	v_fma_f64 v[42:43], v[22:23], v[94:95], -v[42:43]
	v_fma_f64 v[46:47], v[24:25], v[94:95], v[46:47]
	v_add_f64 v[126:127], v[56:57], v[42:43]
	v_mul_f64 v[42:43], v[24:25], v[36:37]
	v_add_f64 v[128:129], v[46:47], v[60:61]
	;; [unrolled: 6-line block ×3, first 2 shown]
	v_fma_f64 v[42:43], v[22:23], v[30:31], -v[42:43]
	v_mul_f64 v[22:23], v[22:23], v[32:33]
	v_add_f64 v[134:135], v[38:39], v[42:43]
	v_fma_f64 v[22:23], v[24:25], v[30:31], v[22:23]
	v_add_f64 v[136:137], v[22:23], v[40:41]
	ds_read_b128 v[22:25], v91 offset:3072
	s_waitcnt lgkmcnt(0)
	v_mul_f64 v[38:39], v[24:25], v[88:89]
	v_mul_f64 v[40:41], v[22:23], v[88:89]
	v_fma_f64 v[38:39], v[22:23], v[86:87], -v[38:39]
	v_fma_f64 v[40:41], v[24:25], v[86:87], v[40:41]
	v_add_f64 v[58:59], v[18:19], v[38:39]
	v_add_f64 v[60:61], v[40:41], v[20:21]
	v_mul_f64 v[18:19], v[24:25], v[96:97]
	v_mul_f64 v[20:21], v[22:23], v[96:97]
	v_fma_f64 v[18:19], v[22:23], v[94:95], -v[18:19]
	v_fma_f64 v[20:21], v[24:25], v[94:95], v[20:21]
	v_add_f64 v[54:55], v[14:15], v[18:19]
	v_add_f64 v[56:57], v[20:21], v[16:17]
	v_mul_f64 v[14:15], v[24:25], v[36:37]
	v_mul_f64 v[16:17], v[22:23], v[36:37]
	ds_read_b128 v[18:21], v90 offset:1280
	v_fma_f64 v[14:15], v[22:23], v[34:35], -v[14:15]
	v_fma_f64 v[16:17], v[24:25], v[34:35], v[16:17]
	v_add_f64 v[50:51], v[10:11], v[14:15]
	v_add_f64 v[52:53], v[16:17], v[12:13]
	v_mul_f64 v[10:11], v[24:25], v[32:33]
	v_mul_f64 v[12:13], v[22:23], v[32:33]
	ds_read_b128 v[14:17], v90 offset:1536
	v_fma_f64 v[10:11], v[22:23], v[30:31], -v[10:11]
	v_fma_f64 v[12:13], v[24:25], v[30:31], v[12:13]
	ds_read_b128 v[22:25], v90 offset:1024
	v_add_f64 v[46:47], v[74:75], v[10:11]
	v_add_f64 v[48:49], v[12:13], v[76:77]
	s_waitcnt lgkmcnt(0)
	v_mul_f64 v[10:11], v[84:85], v[24:25]
	v_mul_f64 v[12:13], v[82:83], v[24:25]
	ds_read_b128 v[74:77], v91 offset:1040
	v_fma_f64 v[10:11], v[82:83], v[22:23], -v[10:11]
	v_fma_f64 v[12:13], v[84:85], v[22:23], v[12:13]
	s_waitcnt lgkmcnt(0)
	v_mul_f64 v[62:63], v[76:77], v[24:25]
	v_mul_f64 v[64:65], v[74:75], v[24:25]
	;; [unrolled: 1-line block ×4, first 2 shown]
	v_add_f64 v[42:43], v[98:99], v[10:11]
	v_add_f64 v[44:45], v[12:13], v[100:101]
	v_mul_f64 v[10:11], v[84:85], v[20:21]
	v_mul_f64 v[12:13], v[82:83], v[20:21]
	v_fma_f64 v[62:63], v[74:75], v[22:23], -v[62:63]
	v_fma_f64 v[64:65], v[76:77], v[22:23], v[64:65]
	v_fma_f64 v[66:67], v[74:75], v[18:19], -v[66:67]
	v_fma_f64 v[68:69], v[76:77], v[18:19], v[68:69]
	;; [unrolled: 2-line block ×3, first 2 shown]
	v_add_f64 v[62:63], v[70:71], v[62:63]
	v_mul_f64 v[70:71], v[76:77], v[16:17]
	v_add_f64 v[64:65], v[64:65], v[72:73]
	v_mul_f64 v[72:73], v[74:75], v[16:17]
	v_add_f64 v[66:67], v[110:111], v[66:67]
	v_add_f64 v[68:69], v[68:69], v[112:113]
	;; [unrolled: 1-line block ×4, first 2 shown]
	v_mul_f64 v[10:11], v[84:85], v[16:17]
	v_mul_f64 v[12:13], v[82:83], v[16:17]
	v_fma_f64 v[70:71], v[74:75], v[14:15], -v[70:71]
	v_fma_f64 v[72:73], v[76:77], v[14:15], v[72:73]
	v_fma_f64 v[10:11], v[82:83], v[14:15], -v[10:11]
	v_fma_f64 v[12:13], v[84:85], v[14:15], v[12:13]
	v_add_f64 v[70:71], v[114:115], v[70:71]
	v_add_f64 v[72:73], v[72:73], v[116:117]
	;; [unrolled: 1-line block ×4, first 2 shown]
	ds_read_b128 v[10:13], v90 offset:1792
	s_waitcnt lgkmcnt(0)
	v_mul_f64 v[30:31], v[84:85], v[12:13]
	v_mul_f64 v[32:33], v[82:83], v[12:13]
	v_fma_f64 v[30:31], v[82:83], v[10:11], -v[30:31]
	v_fma_f64 v[32:33], v[84:85], v[10:11], v[32:33]
	v_add_f64 v[30:31], v[78:79], v[30:31]
	v_mul_f64 v[78:79], v[76:77], v[12:13]
	v_add_f64 v[32:33], v[32:33], v[80:81]
	v_fma_f64 v[78:79], v[74:75], v[10:11], -v[78:79]
	v_mul_f64 v[74:75], v[74:75], v[12:13]
	v_fma_f64 v[76:77], v[76:77], v[10:11], v[74:75]
	v_add_f64 v[74:75], v[118:119], v[78:79]
	ds_read_b128 v[78:81], v91 offset:2064
	s_waitcnt lgkmcnt(0)
	v_mul_f64 v[82:83], v[80:81], v[24:25]
	v_mul_f64 v[86:87], v[80:81], v[20:21]
	;; [unrolled: 1-line block ×7, first 2 shown]
	v_add_f64 v[76:77], v[76:77], v[120:121]
	v_fma_f64 v[82:83], v[78:79], v[22:23], -v[82:83]
	v_fma_f64 v[86:87], v[78:79], v[18:19], -v[86:87]
	;; [unrolled: 1-line block ×4, first 2 shown]
	v_mul_f64 v[78:79], v[78:79], v[12:13]
	v_fma_f64 v[84:85], v[80:81], v[22:23], v[84:85]
	v_fma_f64 v[88:89], v[80:81], v[18:19], v[88:89]
	;; [unrolled: 1-line block ×3, first 2 shown]
	v_add_f64 v[82:83], v[122:123], v[82:83]
	v_add_f64 v[86:87], v[126:127], v[86:87]
	;; [unrolled: 1-line block ×4, first 2 shown]
	v_fma_f64 v[78:79], v[80:81], v[10:11], v[78:79]
	v_add_f64 v[84:85], v[84:85], v[124:125]
	v_add_f64 v[88:89], v[88:89], v[128:129]
	;; [unrolled: 1-line block ×4, first 2 shown]
	ds_read_b128 v[78:81], v91 offset:3088
	s_waitcnt lgkmcnt(0)
	v_mul_f64 v[102:103], v[80:81], v[24:25]
	v_mul_f64 v[24:25], v[78:79], v[24:25]
	v_fma_f64 v[102:103], v[78:79], v[22:23], -v[102:103]
	v_fma_f64 v[22:23], v[80:81], v[22:23], v[24:25]
	v_add_f64 v[58:59], v[58:59], v[102:103]
	v_add_f64 v[60:61], v[22:23], v[60:61]
	v_mul_f64 v[22:23], v[80:81], v[20:21]
	v_mul_f64 v[20:21], v[78:79], v[20:21]
	v_fma_f64 v[22:23], v[78:79], v[18:19], -v[22:23]
	v_fma_f64 v[18:19], v[80:81], v[18:19], v[20:21]
	v_add_f64 v[54:55], v[54:55], v[22:23]
	v_add_f64 v[56:57], v[18:19], v[56:57]
	;; [unrolled: 6-line block ×4, first 2 shown]
	ds_read_b128 v[10:13], v90 offset:2048
	s_waitcnt lgkmcnt(0)
	v_mul_f64 v[14:15], v[8:9], v[12:13]
	v_mul_f64 v[16:17], v[6:7], v[12:13]
	v_fma_f64 v[14:15], v[6:7], v[10:11], -v[14:15]
	v_fma_f64 v[16:17], v[8:9], v[10:11], v[16:17]
	v_add_f64 v[42:43], v[42:43], v[14:15]
	v_add_f64 v[44:45], v[16:17], v[44:45]
	ds_read_b128 v[14:17], v90 offset:2304
	s_waitcnt lgkmcnt(0)
	v_mul_f64 v[18:19], v[8:9], v[16:17]
	v_mul_f64 v[20:21], v[6:7], v[16:17]
	v_fma_f64 v[18:19], v[6:7], v[14:15], -v[18:19]
	v_fma_f64 v[20:21], v[8:9], v[14:15], v[20:21]
	v_add_f64 v[38:39], v[38:39], v[18:19]
	v_add_f64 v[40:41], v[20:21], v[40:41]
	;; [unrolled: 8-line block ×3, first 2 shown]
	ds_read_b128 v[22:25], v90 offset:2816
	s_waitcnt lgkmcnt(0)
	v_mul_f64 v[34:35], v[8:9], v[24:25]
	v_fma_f64 v[34:35], v[6:7], v[22:23], -v[34:35]
	v_mul_f64 v[6:7], v[6:7], v[24:25]
	v_add_f64 v[106:107], v[30:31], v[34:35]
	v_fma_f64 v[6:7], v[8:9], v[22:23], v[6:7]
	v_add_f64 v[108:109], v[6:7], v[32:33]
	ds_read_b128 v[6:9], v91 offset:1056
	s_waitcnt lgkmcnt(0)
	v_mul_f64 v[30:31], v[8:9], v[12:13]
	v_mul_f64 v[32:33], v[6:7], v[12:13]
	v_fma_f64 v[30:31], v[6:7], v[10:11], -v[30:31]
	v_fma_f64 v[32:33], v[8:9], v[10:11], v[32:33]
	v_add_f64 v[62:63], v[62:63], v[30:31]
	v_mul_f64 v[30:31], v[8:9], v[16:17]
	v_add_f64 v[64:65], v[32:33], v[64:65]
	v_mul_f64 v[32:33], v[6:7], v[16:17]
	v_fma_f64 v[30:31], v[6:7], v[14:15], -v[30:31]
	v_fma_f64 v[32:33], v[8:9], v[14:15], v[32:33]
	v_add_f64 v[66:67], v[66:67], v[30:31]
	v_mul_f64 v[30:31], v[8:9], v[20:21]
	v_add_f64 v[68:69], v[32:33], v[68:69]
	;; [unrolled: 6-line block ×3, first 2 shown]
	v_fma_f64 v[30:31], v[6:7], v[22:23], -v[30:31]
	v_mul_f64 v[6:7], v[6:7], v[24:25]
	v_add_f64 v[114:115], v[74:75], v[30:31]
	v_fma_f64 v[6:7], v[8:9], v[22:23], v[6:7]
	v_add_f64 v[116:117], v[6:7], v[76:77]
	ds_read_b128 v[6:9], v91 offset:2080
	s_waitcnt lgkmcnt(0)
	v_mul_f64 v[30:31], v[8:9], v[12:13]
	v_mul_f64 v[32:33], v[6:7], v[12:13]
	v_fma_f64 v[30:31], v[6:7], v[10:11], -v[30:31]
	v_fma_f64 v[32:33], v[8:9], v[10:11], v[32:33]
	v_add_f64 v[118:119], v[82:83], v[30:31]
	v_mul_f64 v[30:31], v[8:9], v[16:17]
	v_add_f64 v[120:121], v[32:33], v[84:85]
	v_mul_f64 v[32:33], v[6:7], v[16:17]
	v_fma_f64 v[30:31], v[6:7], v[14:15], -v[30:31]
	v_fma_f64 v[32:33], v[8:9], v[14:15], v[32:33]
	v_add_f64 v[122:123], v[86:87], v[30:31]
	v_mul_f64 v[30:31], v[8:9], v[20:21]
	v_add_f64 v[124:125], v[32:33], v[88:89]
	;; [unrolled: 6-line block ×3, first 2 shown]
	v_fma_f64 v[30:31], v[6:7], v[22:23], -v[30:31]
	v_mul_f64 v[6:7], v[6:7], v[24:25]
	v_add_f64 v[98:99], v[98:99], v[30:31]
	v_fma_f64 v[6:7], v[8:9], v[22:23], v[6:7]
	v_add_f64 v[100:101], v[6:7], v[100:101]
	ds_read_b128 v[6:9], v91 offset:3104
	s_waitcnt lgkmcnt(0)
	v_mul_f64 v[30:31], v[8:9], v[12:13]
	v_mul_f64 v[12:13], v[6:7], v[12:13]
	v_fma_f64 v[30:31], v[6:7], v[10:11], -v[30:31]
	v_fma_f64 v[10:11], v[8:9], v[10:11], v[12:13]
	v_mul_f64 v[12:13], v[6:7], v[16:17]
	v_add_f64 v[86:87], v[58:59], v[30:31]
	v_add_f64 v[88:89], v[10:11], v[60:61]
	v_mul_f64 v[10:11], v[8:9], v[16:17]
	v_fma_f64 v[12:13], v[8:9], v[14:15], v[12:13]
	v_fma_f64 v[10:11], v[6:7], v[14:15], -v[10:11]
	v_add_f64 v[84:85], v[12:13], v[56:57]
	v_mul_f64 v[12:13], v[6:7], v[20:21]
	ds_read_b128 v[14:17], v90 offset:3328
	v_add_f64 v[82:83], v[54:55], v[10:11]
	v_mul_f64 v[10:11], v[8:9], v[20:21]
	v_fma_f64 v[12:13], v[8:9], v[18:19], v[12:13]
	v_fma_f64 v[10:11], v[6:7], v[18:19], -v[10:11]
	ds_read_b128 v[18:21], v90 offset:3072
	v_add_f64 v[80:81], v[12:13], v[52:53]
	v_add_f64 v[78:79], v[50:51], v[10:11]
	v_mul_f64 v[10:11], v[8:9], v[24:25]
	v_fma_f64 v[10:11], v[6:7], v[22:23], -v[10:11]
	v_mul_f64 v[6:7], v[6:7], v[24:25]
	v_add_f64 v[74:75], v[46:47], v[10:11]
	v_fma_f64 v[6:7], v[8:9], v[22:23], v[6:7]
	s_waitcnt lgkmcnt(0)
	v_mul_f64 v[8:9], v[2:3], v[20:21]
	ds_read_b128 v[10:13], v90 offset:3584
	v_add_f64 v[76:77], v[6:7], v[48:49]
	v_mul_f64 v[6:7], v[4:5], v[20:21]
	v_fma_f64 v[8:9], v[4:5], v[18:19], v[8:9]
	v_fma_f64 v[6:7], v[2:3], v[18:19], -v[6:7]
	v_add_f64 v[52:53], v[8:9], v[44:45]
	v_mul_f64 v[8:9], v[2:3], v[16:17]
	v_add_f64 v[48:49], v[42:43], v[6:7]
	v_mul_f64 v[6:7], v[4:5], v[16:17]
	v_fma_f64 v[8:9], v[4:5], v[14:15], v[8:9]
	v_fma_f64 v[6:7], v[2:3], v[14:15], -v[6:7]
	v_add_f64 v[36:37], v[8:9], v[40:41]
	s_waitcnt lgkmcnt(0)
	v_mul_f64 v[8:9], v[2:3], v[12:13]
	v_add_f64 v[34:35], v[38:39], v[6:7]
	v_mul_f64 v[6:7], v[4:5], v[12:13]
	v_fma_f64 v[8:9], v[4:5], v[10:11], v[8:9]
	v_fma_f64 v[6:7], v[2:3], v[10:11], -v[6:7]
	v_add_f64 v[32:33], v[8:9], v[104:105]
	v_add_f64 v[30:31], v[102:103], v[6:7]
	ds_read_b128 v[6:9], v90 offset:3840
	s_waitcnt lgkmcnt(0)
	v_mul_f64 v[22:23], v[4:5], v[8:9]
	v_fma_f64 v[22:23], v[2:3], v[6:7], -v[22:23]
	v_mul_f64 v[2:3], v[2:3], v[8:9]
	v_add_f64 v[22:23], v[106:107], v[22:23]
	v_fma_f64 v[2:3], v[4:5], v[6:7], v[2:3]
	v_add_f64 v[24:25], v[2:3], v[108:109]
	ds_read_b128 v[2:5], v91 offset:1072
	s_waitcnt lgkmcnt(0)
	v_mul_f64 v[38:39], v[4:5], v[20:21]
	v_mul_f64 v[40:41], v[2:3], v[20:21]
	v_fma_f64 v[38:39], v[2:3], v[18:19], -v[38:39]
	v_fma_f64 v[40:41], v[4:5], v[18:19], v[40:41]
	v_add_f64 v[70:71], v[62:63], v[38:39]
	v_mul_f64 v[38:39], v[4:5], v[16:17]
	v_add_f64 v[72:73], v[40:41], v[64:65]
	v_mul_f64 v[40:41], v[2:3], v[16:17]
	v_fma_f64 v[38:39], v[2:3], v[14:15], -v[38:39]
	v_fma_f64 v[40:41], v[4:5], v[14:15], v[40:41]
	v_add_f64 v[62:63], v[66:67], v[38:39]
	v_mul_f64 v[38:39], v[4:5], v[12:13]
	v_add_f64 v[64:65], v[40:41], v[68:69]
	;; [unrolled: 6-line block ×3, first 2 shown]
	v_fma_f64 v[38:39], v[2:3], v[6:7], -v[38:39]
	v_mul_f64 v[2:3], v[2:3], v[8:9]
	v_add_f64 v[42:43], v[114:115], v[38:39]
	v_fma_f64 v[2:3], v[4:5], v[6:7], v[2:3]
	v_add_f64 v[46:47], v[2:3], v[116:117]
	ds_read_b128 v[2:5], v91 offset:2096
	s_waitcnt lgkmcnt(0)
	v_mul_f64 v[38:39], v[4:5], v[20:21]
	v_mul_f64 v[40:41], v[2:3], v[20:21]
	v_fma_f64 v[38:39], v[2:3], v[18:19], -v[38:39]
	v_fma_f64 v[40:41], v[4:5], v[18:19], v[40:41]
	v_add_f64 v[66:67], v[118:119], v[38:39]
	v_mul_f64 v[38:39], v[4:5], v[16:17]
	v_add_f64 v[68:69], v[40:41], v[120:121]
	v_mul_f64 v[40:41], v[2:3], v[16:17]
	v_fma_f64 v[38:39], v[2:3], v[14:15], -v[38:39]
	v_fma_f64 v[40:41], v[4:5], v[14:15], v[40:41]
	v_add_f64 v[56:57], v[122:123], v[38:39]
	v_mul_f64 v[38:39], v[4:5], v[12:13]
	v_add_f64 v[60:61], v[40:41], v[124:125]
	;; [unrolled: 6-line block ×3, first 2 shown]
	v_fma_f64 v[38:39], v[2:3], v[6:7], -v[38:39]
	v_mul_f64 v[2:3], v[2:3], v[8:9]
	v_add_f64 v[38:39], v[98:99], v[38:39]
	v_fma_f64 v[2:3], v[4:5], v[6:7], v[2:3]
	v_add_f64 v[40:41], v[2:3], v[100:101]
	ds_read_b128 v[2:5], v91 offset:3120
	s_waitcnt lgkmcnt(0)
	s_barrier
	buffer_gl0_inv
	v_mul_f64 v[94:95], v[4:5], v[20:21]
	v_mul_f64 v[20:21], v[2:3], v[20:21]
	v_fma_f64 v[94:95], v[2:3], v[18:19], -v[94:95]
	v_fma_f64 v[20:21], v[4:5], v[18:19], v[20:21]
	v_add_f64 v[18:19], v[86:87], v[94:95]
	v_mul_f64 v[86:87], v[4:5], v[16:17]
	v_mul_f64 v[16:17], v[2:3], v[16:17]
	v_add_f64 v[20:21], v[20:21], v[88:89]
	v_fma_f64 v[86:87], v[2:3], v[14:15], -v[86:87]
	v_fma_f64 v[16:17], v[4:5], v[14:15], v[16:17]
	v_add_f64 v[14:15], v[82:83], v[86:87]
	v_mul_f64 v[82:83], v[4:5], v[12:13]
	v_mul_f64 v[12:13], v[2:3], v[12:13]
	v_add_f64 v[16:17], v[16:17], v[84:85]
	v_fma_f64 v[82:83], v[2:3], v[10:11], -v[82:83]
	v_fma_f64 v[12:13], v[4:5], v[10:11], v[12:13]
	v_add_f64 v[10:11], v[78:79], v[82:83]
	v_mul_f64 v[78:79], v[4:5], v[8:9]
	v_add_f64 v[12:13], v[12:13], v[80:81]
	v_fma_f64 v[78:79], v[2:3], v[6:7], -v[78:79]
	v_mul_f64 v[2:3], v[2:3], v[8:9]
	v_add_f64 v[74:75], v[74:75], v[78:79]
	v_fma_f64 v[2:3], v[4:5], v[6:7], v[2:3]
	v_add_f64 v[76:77], v[2:3], v[76:77]
	s_cbranch_vccnz .LBB531_2
	s_branch .LBB531_4
.LBB531_3:
	v_mov_b32_e32 v48, 0
	v_mov_b32_e32 v52, 0
	;; [unrolled: 1-line block ×64, first 2 shown]
.LBB531_4:
	s_load_dwordx2 s[4:5], s[4:5], 0x90
	v_cmp_neq_f64_e64 s6, s[38:39], 0
	v_cmp_neq_f64_e64 s7, s[40:41], 0
	v_add_co_u32 v6, s2, s2, v1
	v_add_co_u32 v0, s0, s0, v0
	v_add_co_ci_u32_e64 v7, null, s3, 0, s2
	v_add_co_ci_u32_e64 v1, null, s1, 0, s0
	s_waitcnt lgkmcnt(0)
	s_mul_i32 s5, s5, s8
	s_mul_hi_u32 s9, s4, s8
	s_mul_i32 s4, s4, s8
	s_add_i32 s5, s9, s5
	s_lshl_b64 s[4:5], s[4:5], 4
	s_add_u32 s2, s48, s4
	s_addc_u32 s3, s49, s5
	s_or_b32 s4, s6, s7
	s_and_b32 vcc_lo, exec_lo, s4
	s_cbranch_vccnz .LBB531_6
; %bb.5:
	v_mul_f64 v[4:5], s[16:17], v[52:53]
	v_mul_f64 v[8:9], s[14:15], v[52:53]
	v_mul_lo_u32 v78, v7, s50
	v_mul_lo_u32 v79, v6, s51
	v_mad_u64_u32 v[2:3], null, v6, s50, 0
	v_mul_f64 v[26:27], s[16:17], v[36:37]
	v_mul_f64 v[28:29], s[14:15], v[36:37]
	;; [unrolled: 1-line block ×6, first 2 shown]
	v_add3_u32 v3, v3, v79, v78
	v_mul_f64 v[78:79], s[16:17], v[32:33]
	v_mul_f64 v[88:89], s[14:15], v[72:73]
	;; [unrolled: 1-line block ×4, first 2 shown]
	v_lshlrev_b64 v[2:3], 4, v[2:3]
	v_mul_f64 v[94:95], s[16:17], v[58:59]
	v_mul_f64 v[96:97], s[14:15], v[58:59]
	;; [unrolled: 1-line block ×4, first 2 shown]
	s_lshl_b64 s[0:1], s[50:51], 8
	v_add_co_u32 v104, vcc_lo, s2, v2
	v_add_co_ci_u32_e64 v105, null, s3, v3, vcc_lo
	v_fma_f64 v[2:3], s[14:15], v[48:49], -v[4:5]
	v_fma_f64 v[4:5], s[16:17], v[48:49], v[8:9]
	v_lshlrev_b64 v[8:9], 4, v[0:1]
	v_fma_f64 v[26:27], s[14:15], v[34:35], -v[26:27]
	v_fma_f64 v[28:29], s[16:17], v[34:35], v[28:29]
	v_fma_f64 v[80:81], s[16:17], v[30:31], v[80:81]
	v_fma_f64 v[82:83], s[14:15], v[22:23], -v[82:83]
	v_fma_f64 v[84:85], s[16:17], v[22:23], v[84:85]
	v_add_co_u32 v102, vcc_lo, v104, v8
	v_fma_f64 v[78:79], s[14:15], v[30:31], -v[78:79]
	v_add_co_ci_u32_e64 v103, null, v105, v9, vcc_lo
	v_fma_f64 v[86:87], s[14:15], v[70:71], -v[86:87]
	v_fma_f64 v[88:89], s[16:17], v[70:71], v[88:89]
	v_fma_f64 v[90:91], s[14:15], v[62:63], -v[90:91]
	v_fma_f64 v[92:93], s[16:17], v[62:63], v[92:93]
	;; [unrolled: 2-line block ×3, first 2 shown]
	v_add_co_u32 v106, vcc_lo, v104, s0
	v_add_co_ci_u32_e64 v107, null, s1, v105, vcc_lo
	global_store_dwordx4 v[102:103], v[2:5], off
	v_fma_f64 v[2:3], s[14:15], v[42:43], -v[98:99]
	v_fma_f64 v[4:5], s[16:17], v[42:43], v[100:101]
	v_add_co_u32 v104, vcc_lo, v106, v8
	v_add_co_ci_u32_e64 v105, null, v107, v9, vcc_lo
	global_store_dwordx4 v[102:103], v[26:29], off offset:256
	global_store_dwordx4 v[102:103], v[78:81], off offset:512
	;; [unrolled: 1-line block ×3, first 2 shown]
	global_store_dwordx4 v[104:105], v[86:89], off
	global_store_dwordx4 v[104:105], v[90:93], off offset:256
	global_store_dwordx4 v[104:105], v[94:97], off offset:512
	v_mul_f64 v[26:27], s[16:17], v[68:69]
	v_mul_f64 v[28:29], s[14:15], v[68:69]
	v_mul_f64 v[78:79], s[16:17], v[60:61]
	v_mul_f64 v[80:81], s[14:15], v[60:61]
	v_mul_f64 v[82:83], s[16:17], v[50:51]
	v_mul_f64 v[84:85], s[14:15], v[50:51]
	v_mul_f64 v[86:87], s[16:17], v[40:41]
	v_mul_f64 v[88:89], s[14:15], v[40:41]
	v_mul_f64 v[90:91], s[16:17], v[20:21]
	v_mul_f64 v[92:93], s[14:15], v[20:21]
	v_mul_f64 v[94:95], s[16:17], v[16:17]
	v_mul_f64 v[96:97], s[14:15], v[16:17]
	global_store_dwordx4 v[104:105], v[2:5], off offset:768
	v_mul_f64 v[2:3], s[16:17], v[76:77]
	v_mul_f64 v[4:5], s[14:15], v[76:77]
	;; [unrolled: 1-line block ×4, first 2 shown]
	v_add_co_u32 v104, vcc_lo, v106, s0
	v_add_co_ci_u32_e64 v105, null, s1, v107, vcc_lo
	v_fma_f64 v[26:27], s[14:15], v[66:67], -v[26:27]
	v_fma_f64 v[28:29], s[16:17], v[66:67], v[28:29]
	v_fma_f64 v[78:79], s[14:15], v[56:57], -v[78:79]
	v_fma_f64 v[80:81], s[16:17], v[56:57], v[80:81]
	;; [unrolled: 2-line block ×6, first 2 shown]
	v_add_co_u32 v106, vcc_lo, v104, s0
	v_fma_f64 v[102:103], s[14:15], v[74:75], -v[2:3]
	v_fma_f64 v[2:3], s[16:17], v[74:75], v[4:5]
	v_fma_f64 v[98:99], s[14:15], v[10:11], -v[98:99]
	v_fma_f64 v[100:101], s[16:17], v[10:11], v[100:101]
	v_add_co_ci_u32_e64 v107, null, s1, v105, vcc_lo
	v_add_co_u32 v4, vcc_lo, v104, v8
	v_add_co_ci_u32_e64 v5, null, v105, v9, vcc_lo
	v_add_co_u32 v8, vcc_lo, v106, v8
	v_add_co_ci_u32_e64 v9, null, v107, v9, vcc_lo
	global_store_dwordx4 v[4:5], v[26:29], off
	global_store_dwordx4 v[4:5], v[78:81], off offset:256
	global_store_dwordx4 v[4:5], v[82:85], off offset:512
	;; [unrolled: 1-line block ×3, first 2 shown]
	global_store_dwordx4 v[8:9], v[90:93], off
	v_add_co_u32 v4, vcc_lo, 0x300, v8
	v_add_co_ci_u32_e64 v5, null, 0, v9, vcc_lo
	global_store_dwordx4 v[8:9], v[94:97], off offset:256
	global_store_dwordx4 v[8:9], v[98:101], off offset:512
	global_store_dwordx2 v[8:9], v[102:103], off offset:768
	s_cbranch_execz .LBB531_7
	s_branch .LBB531_8
.LBB531_6:
                                        ; implicit-def: $vgpr2_vgpr3
                                        ; implicit-def: $vgpr4_vgpr5
.LBB531_7:
	v_mul_lo_u32 v4, v7, s44
	v_mul_lo_u32 v5, v6, s45
	v_mad_u64_u32 v[2:3], null, v6, s44, 0
	s_mul_i32 s1, s47, s8
	s_mul_hi_u32 s4, s46, s8
	s_mul_i32 s0, s46, s8
	s_add_i32 s1, s4, s1
	v_mul_f64 v[26:27], s[16:17], v[52:53]
	s_lshl_b64 s[0:1], s[0:1], 4
	v_add3_u32 v3, v3, v5, v4
	s_add_u32 s0, s42, s0
	v_lshlrev_b64 v[4:5], 4, v[0:1]
	s_addc_u32 s1, s43, s1
	v_mul_f64 v[28:29], s[14:15], v[52:53]
	v_lshlrev_b64 v[2:3], 4, v[2:3]
	v_add_co_u32 v78, vcc_lo, s0, v2
	v_add_co_ci_u32_e64 v79, null, s1, v3, vcc_lo
	s_lshl_b64 s[0:1], s[44:45], 8
	v_add_co_u32 v8, vcc_lo, v78, v4
	v_add_co_ci_u32_e64 v9, null, v79, v5, vcc_lo
	v_fma_f64 v[26:27], s[14:15], v[48:49], -v[26:27]
	global_load_dwordx4 v[0:3], v[8:9], off
	v_fma_f64 v[28:29], s[16:17], v[48:49], v[28:29]
	s_waitcnt vmcnt(0)
	v_mul_f64 v[52:53], s[40:41], v[2:3]
	v_mul_f64 v[2:3], s[38:39], v[2:3]
	v_fma_f64 v[48:49], s[38:39], v[0:1], -v[52:53]
	v_fma_f64 v[2:3], s[40:41], v[0:1], v[2:3]
	v_mul_lo_u32 v0, v7, s50
	v_mul_lo_u32 v1, v6, s51
	v_mad_u64_u32 v[6:7], null, v6, s50, 0
	v_add3_u32 v7, v7, v1, v0
	v_lshlrev_b64 v[6:7], 4, v[6:7]
	v_add_f64 v[0:1], v[26:27], v[48:49]
	v_add_f64 v[2:3], v[28:29], v[2:3]
	v_add_co_u32 v48, vcc_lo, s2, v6
	v_add_co_ci_u32_e64 v49, null, s3, v7, vcc_lo
	v_mul_f64 v[26:27], s[16:17], v[36:37]
	v_add_co_u32 v6, vcc_lo, v48, v4
	v_add_co_ci_u32_e64 v7, null, v49, v5, vcc_lo
	v_mul_f64 v[28:29], s[14:15], v[36:37]
	s_lshl_b64 s[2:3], s[50:51], 8
	global_store_dwordx4 v[6:7], v[0:3], off
	global_load_dwordx4 v[0:3], v[8:9], off offset:256
	v_fma_f64 v[26:27], s[14:15], v[34:35], -v[26:27]
	v_fma_f64 v[28:29], s[16:17], v[34:35], v[28:29]
	s_waitcnt vmcnt(0)
	v_mul_f64 v[36:37], s[40:41], v[2:3]
	v_mul_f64 v[2:3], s[38:39], v[2:3]
	v_fma_f64 v[34:35], s[38:39], v[0:1], -v[36:37]
	v_fma_f64 v[2:3], s[40:41], v[0:1], v[2:3]
	v_add_f64 v[0:1], v[26:27], v[34:35]
	v_add_f64 v[2:3], v[28:29], v[2:3]
	v_mul_f64 v[26:27], s[16:17], v[32:33]
	v_mul_f64 v[28:29], s[14:15], v[32:33]
	global_store_dwordx4 v[6:7], v[0:3], off offset:256
	global_load_dwordx4 v[0:3], v[8:9], off offset:512
	v_fma_f64 v[26:27], s[14:15], v[30:31], -v[26:27]
	v_fma_f64 v[28:29], s[16:17], v[30:31], v[28:29]
	s_waitcnt vmcnt(0)
	v_mul_f64 v[32:33], s[40:41], v[2:3]
	v_mul_f64 v[2:3], s[38:39], v[2:3]
	v_fma_f64 v[30:31], s[38:39], v[0:1], -v[32:33]
	v_fma_f64 v[2:3], s[40:41], v[0:1], v[2:3]
	v_add_f64 v[0:1], v[26:27], v[30:31]
	v_add_f64 v[2:3], v[28:29], v[2:3]
	v_add_co_u32 v28, vcc_lo, v78, s0
	v_add_co_ci_u32_e64 v29, null, s1, v79, vcc_lo
	global_store_dwordx4 v[6:7], v[0:3], off offset:512
	global_load_dwordx4 v[0:3], v[8:9], off offset:768
	v_mul_f64 v[8:9], s[16:17], v[24:25]
	v_mul_f64 v[24:25], s[14:15], v[24:25]
	v_fma_f64 v[8:9], s[14:15], v[22:23], -v[8:9]
	v_fma_f64 v[22:23], s[16:17], v[22:23], v[24:25]
	s_waitcnt vmcnt(0)
	v_mul_f64 v[26:27], s[40:41], v[2:3]
	v_mul_f64 v[2:3], s[38:39], v[2:3]
	v_fma_f64 v[24:25], s[38:39], v[0:1], -v[26:27]
	v_fma_f64 v[2:3], s[40:41], v[0:1], v[2:3]
	v_add_f64 v[0:1], v[8:9], v[24:25]
	v_add_f64 v[2:3], v[22:23], v[2:3]
	v_add_co_u32 v8, vcc_lo, v28, v4
	v_add_co_ci_u32_e64 v9, null, v29, v5, vcc_lo
	v_mul_f64 v[22:23], s[14:15], v[72:73]
	v_add_co_u32 v30, vcc_lo, v48, s2
	v_add_co_ci_u32_e64 v31, null, s3, v49, vcc_lo
	global_store_dwordx4 v[6:7], v[0:3], off offset:768
	global_load_dwordx4 v[0:3], v[8:9], off
	v_mul_f64 v[6:7], s[16:17], v[72:73]
	v_fma_f64 v[22:23], s[16:17], v[70:71], v[22:23]
	v_fma_f64 v[6:7], s[14:15], v[70:71], -v[6:7]
	s_waitcnt vmcnt(0)
	v_mul_f64 v[24:25], s[40:41], v[2:3]
	v_mul_f64 v[2:3], s[38:39], v[2:3]
	v_fma_f64 v[24:25], s[38:39], v[0:1], -v[24:25]
	v_fma_f64 v[2:3], s[40:41], v[0:1], v[2:3]
	v_add_f64 v[0:1], v[6:7], v[24:25]
	v_add_f64 v[2:3], v[22:23], v[2:3]
	v_add_co_u32 v6, vcc_lo, v30, v4
	v_add_co_ci_u32_e64 v7, null, v31, v5, vcc_lo
	v_mul_f64 v[22:23], s[16:17], v[64:65]
	v_mul_f64 v[24:25], s[14:15], v[64:65]
	v_add_co_u32 v28, vcc_lo, v28, s0
	v_add_co_ci_u32_e64 v29, null, s1, v29, vcc_lo
	global_store_dwordx4 v[6:7], v[0:3], off
	global_load_dwordx4 v[0:3], v[8:9], off offset:256
	v_fma_f64 v[22:23], s[14:15], v[62:63], -v[22:23]
	v_fma_f64 v[24:25], s[16:17], v[62:63], v[24:25]
	s_waitcnt vmcnt(0)
	v_mul_f64 v[26:27], s[40:41], v[2:3]
	v_mul_f64 v[2:3], s[38:39], v[2:3]
	v_fma_f64 v[26:27], s[38:39], v[0:1], -v[26:27]
	v_fma_f64 v[2:3], s[40:41], v[0:1], v[2:3]
	v_add_f64 v[0:1], v[22:23], v[26:27]
	v_add_f64 v[2:3], v[24:25], v[2:3]
	v_mul_f64 v[22:23], s[16:17], v[58:59]
	v_mul_f64 v[24:25], s[14:15], v[58:59]
	global_store_dwordx4 v[6:7], v[0:3], off offset:256
	global_load_dwordx4 v[0:3], v[8:9], off offset:512
	v_fma_f64 v[22:23], s[14:15], v[54:55], -v[22:23]
	v_fma_f64 v[24:25], s[16:17], v[54:55], v[24:25]
	s_waitcnt vmcnt(0)
	v_mul_f64 v[26:27], s[40:41], v[2:3]
	v_mul_f64 v[2:3], s[38:39], v[2:3]
	v_fma_f64 v[26:27], s[38:39], v[0:1], -v[26:27]
	v_fma_f64 v[2:3], s[40:41], v[0:1], v[2:3]
	v_add_f64 v[0:1], v[22:23], v[26:27]
	v_add_f64 v[2:3], v[24:25], v[2:3]
	v_mul_f64 v[22:23], s[14:15], v[46:47]
	global_store_dwordx4 v[6:7], v[0:3], off offset:512
	global_load_dwordx4 v[0:3], v[8:9], off offset:768
	v_mul_f64 v[8:9], s[16:17], v[46:47]
	v_fma_f64 v[22:23], s[16:17], v[42:43], v[22:23]
	v_fma_f64 v[8:9], s[14:15], v[42:43], -v[8:9]
	s_waitcnt vmcnt(0)
	v_mul_f64 v[24:25], s[40:41], v[2:3]
	v_mul_f64 v[2:3], s[38:39], v[2:3]
	v_fma_f64 v[24:25], s[38:39], v[0:1], -v[24:25]
	v_fma_f64 v[2:3], s[40:41], v[0:1], v[2:3]
	v_add_f64 v[0:1], v[8:9], v[24:25]
	v_add_f64 v[2:3], v[22:23], v[2:3]
	v_add_co_u32 v8, vcc_lo, v28, v4
	v_add_co_ci_u32_e64 v9, null, v29, v5, vcc_lo
	v_mul_f64 v[22:23], s[14:15], v[68:69]
	v_add_co_u32 v30, vcc_lo, v30, s2
	v_add_co_ci_u32_e64 v31, null, s3, v31, vcc_lo
	global_store_dwordx4 v[6:7], v[0:3], off offset:768
	global_load_dwordx4 v[0:3], v[8:9], off
	v_mul_f64 v[6:7], s[16:17], v[68:69]
	v_fma_f64 v[22:23], s[16:17], v[66:67], v[22:23]
	v_fma_f64 v[6:7], s[14:15], v[66:67], -v[6:7]
	s_waitcnt vmcnt(0)
	v_mul_f64 v[24:25], s[40:41], v[2:3]
	v_mul_f64 v[2:3], s[38:39], v[2:3]
	v_fma_f64 v[24:25], s[38:39], v[0:1], -v[24:25]
	v_fma_f64 v[2:3], s[40:41], v[0:1], v[2:3]
	v_add_f64 v[0:1], v[6:7], v[24:25]
	v_add_f64 v[2:3], v[22:23], v[2:3]
	v_add_co_u32 v6, vcc_lo, v30, v4
	v_add_co_ci_u32_e64 v7, null, v31, v5, vcc_lo
	v_mul_f64 v[22:23], s[16:17], v[60:61]
	v_mul_f64 v[24:25], s[14:15], v[60:61]
	global_store_dwordx4 v[6:7], v[0:3], off
	global_load_dwordx4 v[0:3], v[8:9], off offset:256
	v_fma_f64 v[22:23], s[14:15], v[56:57], -v[22:23]
	v_fma_f64 v[24:25], s[16:17], v[56:57], v[24:25]
	s_waitcnt vmcnt(0)
	v_mul_f64 v[26:27], s[40:41], v[2:3]
	v_mul_f64 v[2:3], s[38:39], v[2:3]
	v_fma_f64 v[26:27], s[38:39], v[0:1], -v[26:27]
	v_fma_f64 v[2:3], s[40:41], v[0:1], v[2:3]
	v_add_f64 v[0:1], v[22:23], v[26:27]
	v_add_f64 v[2:3], v[24:25], v[2:3]
	v_mul_f64 v[22:23], s[16:17], v[50:51]
	v_mul_f64 v[24:25], s[14:15], v[50:51]
	global_store_dwordx4 v[6:7], v[0:3], off offset:256
	global_load_dwordx4 v[0:3], v[8:9], off offset:512
	v_fma_f64 v[22:23], s[14:15], v[44:45], -v[22:23]
	v_fma_f64 v[24:25], s[16:17], v[44:45], v[24:25]
	s_waitcnt vmcnt(0)
	v_mul_f64 v[26:27], s[40:41], v[2:3]
	v_mul_f64 v[2:3], s[38:39], v[2:3]
	v_fma_f64 v[26:27], s[38:39], v[0:1], -v[26:27]
	v_fma_f64 v[2:3], s[40:41], v[0:1], v[2:3]
	v_add_f64 v[0:1], v[22:23], v[26:27]
	v_add_f64 v[2:3], v[24:25], v[2:3]
	v_mul_f64 v[22:23], s[14:15], v[40:41]
	global_store_dwordx4 v[6:7], v[0:3], off offset:512
	global_load_dwordx4 v[0:3], v[8:9], off offset:768
	v_mul_f64 v[8:9], s[16:17], v[40:41]
	v_fma_f64 v[22:23], s[16:17], v[38:39], v[22:23]
	v_fma_f64 v[8:9], s[14:15], v[38:39], -v[8:9]
	s_waitcnt vmcnt(0)
	v_mul_f64 v[24:25], s[40:41], v[2:3]
	v_mul_f64 v[2:3], s[38:39], v[2:3]
	v_fma_f64 v[24:25], s[38:39], v[0:1], -v[24:25]
	v_fma_f64 v[2:3], s[40:41], v[0:1], v[2:3]
	v_add_f64 v[0:1], v[8:9], v[24:25]
	v_add_f64 v[2:3], v[22:23], v[2:3]
	v_add_co_u32 v8, vcc_lo, v28, s0
	v_add_co_ci_u32_e64 v9, null, s1, v29, vcc_lo
	v_add_co_u32 v8, vcc_lo, v8, v4
	v_add_co_ci_u32_e64 v9, null, v9, v5, vcc_lo
	global_store_dwordx4 v[6:7], v[0:3], off offset:768
	global_load_dwordx4 v[0:3], v[8:9], off
	v_mul_f64 v[6:7], s[16:17], v[20:21]
	v_mul_f64 v[20:21], s[14:15], v[20:21]
	v_fma_f64 v[6:7], s[14:15], v[18:19], -v[6:7]
	v_fma_f64 v[18:19], s[16:17], v[18:19], v[20:21]
	s_waitcnt vmcnt(0)
	v_mul_f64 v[22:23], s[40:41], v[2:3]
	v_mul_f64 v[2:3], s[38:39], v[2:3]
	v_fma_f64 v[20:21], s[38:39], v[0:1], -v[22:23]
	v_fma_f64 v[2:3], s[40:41], v[0:1], v[2:3]
	v_add_f64 v[0:1], v[6:7], v[20:21]
	v_add_f64 v[2:3], v[18:19], v[2:3]
	v_add_co_u32 v6, vcc_lo, v30, s2
	v_add_co_ci_u32_e64 v7, null, s3, v31, vcc_lo
	v_add_co_u32 v6, vcc_lo, v6, v4
	v_add_co_ci_u32_e64 v7, null, v7, v5, vcc_lo
	v_mul_f64 v[4:5], s[16:17], v[16:17]
	v_mul_f64 v[16:17], s[14:15], v[16:17]
	global_store_dwordx4 v[6:7], v[0:3], off
	global_load_dwordx4 v[0:3], v[8:9], off offset:256
	v_fma_f64 v[4:5], s[14:15], v[14:15], -v[4:5]
	v_fma_f64 v[14:15], s[16:17], v[14:15], v[16:17]
	s_waitcnt vmcnt(0)
	v_mul_f64 v[18:19], s[40:41], v[2:3]
	v_mul_f64 v[2:3], s[38:39], v[2:3]
	v_fma_f64 v[16:17], s[38:39], v[0:1], -v[18:19]
	v_fma_f64 v[2:3], s[40:41], v[0:1], v[2:3]
	v_add_f64 v[0:1], v[4:5], v[16:17]
	v_add_f64 v[2:3], v[14:15], v[2:3]
	v_mul_f64 v[4:5], s[16:17], v[12:13]
	v_mul_f64 v[12:13], s[14:15], v[12:13]
	global_store_dwordx4 v[6:7], v[0:3], off offset:256
	global_load_dwordx4 v[0:3], v[8:9], off offset:512
	v_fma_f64 v[4:5], s[14:15], v[10:11], -v[4:5]
	v_fma_f64 v[10:11], s[16:17], v[10:11], v[12:13]
	s_waitcnt vmcnt(0)
	v_mul_f64 v[14:15], s[40:41], v[2:3]
	v_mul_f64 v[2:3], s[38:39], v[2:3]
	v_fma_f64 v[12:13], s[38:39], v[0:1], -v[14:15]
	v_fma_f64 v[2:3], s[40:41], v[0:1], v[2:3]
	v_add_f64 v[0:1], v[4:5], v[12:13]
	v_add_f64 v[2:3], v[10:11], v[2:3]
	v_mul_f64 v[4:5], s[16:17], v[76:77]
	global_store_dwordx4 v[6:7], v[0:3], off offset:512
	global_load_dwordx4 v[0:3], v[8:9], off offset:768
	v_mul_f64 v[8:9], s[14:15], v[76:77]
	v_fma_f64 v[4:5], s[14:15], v[74:75], -v[4:5]
	v_fma_f64 v[8:9], s[16:17], v[74:75], v[8:9]
	s_waitcnt vmcnt(0)
	v_mul_f64 v[10:11], s[40:41], v[2:3]
	v_mul_f64 v[2:3], s[38:39], v[2:3]
	v_fma_f64 v[10:11], s[38:39], v[0:1], -v[10:11]
	v_fma_f64 v[0:1], s[40:41], v[0:1], v[2:3]
	v_add_f64 v[10:11], v[4:5], v[10:11]
	v_add_f64 v[2:3], v[8:9], v[0:1]
	v_add_co_u32 v4, vcc_lo, 0x300, v6
	v_add_co_ci_u32_e64 v5, null, 0, v7, vcc_lo
	global_store_dwordx2 v[6:7], v[10:11], off offset:768
.LBB531_8:
	global_store_dwordx2 v[4:5], v[2:3], off offset:8
	s_endpgm
	.section	.rodata,"a",@progbits
	.p2align	6, 0x0
	.amdhsa_kernel _ZN12_GLOBAL__N_127rocblas_gemm_batched_kernelI19rocblas_complex_numIdELi16ELi16ELi64ELi64ELi4ELi64ELi4ELi4ELi64ELc78ELc84EKS2_S3_S2_EEvlllT_PT11_llS6_llS4_PT12_llPT13_lli
		.amdhsa_group_segment_fixed_size 8192
		.amdhsa_private_segment_fixed_size 0
		.amdhsa_kernarg_size 156
		.amdhsa_user_sgpr_count 6
		.amdhsa_user_sgpr_private_segment_buffer 1
		.amdhsa_user_sgpr_dispatch_ptr 0
		.amdhsa_user_sgpr_queue_ptr 0
		.amdhsa_user_sgpr_kernarg_segment_ptr 1
		.amdhsa_user_sgpr_dispatch_id 0
		.amdhsa_user_sgpr_flat_scratch_init 0
		.amdhsa_user_sgpr_private_segment_size 0
		.amdhsa_wavefront_size32 1
		.amdhsa_uses_dynamic_stack 0
		.amdhsa_system_sgpr_private_segment_wavefront_offset 0
		.amdhsa_system_sgpr_workgroup_id_x 1
		.amdhsa_system_sgpr_workgroup_id_y 1
		.amdhsa_system_sgpr_workgroup_id_z 1
		.amdhsa_system_sgpr_workgroup_info 0
		.amdhsa_system_vgpr_workitem_id 1
		.amdhsa_next_free_vgpr 138
		.amdhsa_next_free_sgpr 52
		.amdhsa_reserve_vcc 1
		.amdhsa_reserve_flat_scratch 0
		.amdhsa_float_round_mode_32 0
		.amdhsa_float_round_mode_16_64 0
		.amdhsa_float_denorm_mode_32 3
		.amdhsa_float_denorm_mode_16_64 3
		.amdhsa_dx10_clamp 1
		.amdhsa_ieee_mode 1
		.amdhsa_fp16_overflow 0
		.amdhsa_workgroup_processor_mode 1
		.amdhsa_memory_ordered 1
		.amdhsa_forward_progress 1
		.amdhsa_shared_vgpr_count 0
		.amdhsa_exception_fp_ieee_invalid_op 0
		.amdhsa_exception_fp_denorm_src 0
		.amdhsa_exception_fp_ieee_div_zero 0
		.amdhsa_exception_fp_ieee_overflow 0
		.amdhsa_exception_fp_ieee_underflow 0
		.amdhsa_exception_fp_ieee_inexact 0
		.amdhsa_exception_int_div_zero 0
	.end_amdhsa_kernel
	.section	.text._ZN12_GLOBAL__N_127rocblas_gemm_batched_kernelI19rocblas_complex_numIdELi16ELi16ELi64ELi64ELi4ELi64ELi4ELi4ELi64ELc78ELc84EKS2_S3_S2_EEvlllT_PT11_llS6_llS4_PT12_llPT13_lli,"axG",@progbits,_ZN12_GLOBAL__N_127rocblas_gemm_batched_kernelI19rocblas_complex_numIdELi16ELi16ELi64ELi64ELi4ELi64ELi4ELi4ELi64ELc78ELc84EKS2_S3_S2_EEvlllT_PT11_llS6_llS4_PT12_llPT13_lli,comdat
.Lfunc_end531:
	.size	_ZN12_GLOBAL__N_127rocblas_gemm_batched_kernelI19rocblas_complex_numIdELi16ELi16ELi64ELi64ELi4ELi64ELi4ELi4ELi64ELc78ELc84EKS2_S3_S2_EEvlllT_PT11_llS6_llS4_PT12_llPT13_lli, .Lfunc_end531-_ZN12_GLOBAL__N_127rocblas_gemm_batched_kernelI19rocblas_complex_numIdELi16ELi16ELi64ELi64ELi4ELi64ELi4ELi4ELi64ELc78ELc84EKS2_S3_S2_EEvlllT_PT11_llS6_llS4_PT12_llPT13_lli
                                        ; -- End function
	.set _ZN12_GLOBAL__N_127rocblas_gemm_batched_kernelI19rocblas_complex_numIdELi16ELi16ELi64ELi64ELi4ELi64ELi4ELi4ELi64ELc78ELc84EKS2_S3_S2_EEvlllT_PT11_llS6_llS4_PT12_llPT13_lli.num_vgpr, 138
	.set _ZN12_GLOBAL__N_127rocblas_gemm_batched_kernelI19rocblas_complex_numIdELi16ELi16ELi64ELi64ELi4ELi64ELi4ELi4ELi64ELc78ELc84EKS2_S3_S2_EEvlllT_PT11_llS6_llS4_PT12_llPT13_lli.num_agpr, 0
	.set _ZN12_GLOBAL__N_127rocblas_gemm_batched_kernelI19rocblas_complex_numIdELi16ELi16ELi64ELi64ELi4ELi64ELi4ELi4ELi64ELc78ELc84EKS2_S3_S2_EEvlllT_PT11_llS6_llS4_PT12_llPT13_lli.numbered_sgpr, 52
	.set _ZN12_GLOBAL__N_127rocblas_gemm_batched_kernelI19rocblas_complex_numIdELi16ELi16ELi64ELi64ELi4ELi64ELi4ELi4ELi64ELc78ELc84EKS2_S3_S2_EEvlllT_PT11_llS6_llS4_PT12_llPT13_lli.num_named_barrier, 0
	.set _ZN12_GLOBAL__N_127rocblas_gemm_batched_kernelI19rocblas_complex_numIdELi16ELi16ELi64ELi64ELi4ELi64ELi4ELi4ELi64ELc78ELc84EKS2_S3_S2_EEvlllT_PT11_llS6_llS4_PT12_llPT13_lli.private_seg_size, 0
	.set _ZN12_GLOBAL__N_127rocblas_gemm_batched_kernelI19rocblas_complex_numIdELi16ELi16ELi64ELi64ELi4ELi64ELi4ELi4ELi64ELc78ELc84EKS2_S3_S2_EEvlllT_PT11_llS6_llS4_PT12_llPT13_lli.uses_vcc, 1
	.set _ZN12_GLOBAL__N_127rocblas_gemm_batched_kernelI19rocblas_complex_numIdELi16ELi16ELi64ELi64ELi4ELi64ELi4ELi4ELi64ELc78ELc84EKS2_S3_S2_EEvlllT_PT11_llS6_llS4_PT12_llPT13_lli.uses_flat_scratch, 0
	.set _ZN12_GLOBAL__N_127rocblas_gemm_batched_kernelI19rocblas_complex_numIdELi16ELi16ELi64ELi64ELi4ELi64ELi4ELi4ELi64ELc78ELc84EKS2_S3_S2_EEvlllT_PT11_llS6_llS4_PT12_llPT13_lli.has_dyn_sized_stack, 0
	.set _ZN12_GLOBAL__N_127rocblas_gemm_batched_kernelI19rocblas_complex_numIdELi16ELi16ELi64ELi64ELi4ELi64ELi4ELi4ELi64ELc78ELc84EKS2_S3_S2_EEvlllT_PT11_llS6_llS4_PT12_llPT13_lli.has_recursion, 0
	.set _ZN12_GLOBAL__N_127rocblas_gemm_batched_kernelI19rocblas_complex_numIdELi16ELi16ELi64ELi64ELi4ELi64ELi4ELi4ELi64ELc78ELc84EKS2_S3_S2_EEvlllT_PT11_llS6_llS4_PT12_llPT13_lli.has_indirect_call, 0
	.section	.AMDGPU.csdata,"",@progbits
; Kernel info:
; codeLenInByte = 7348
; TotalNumSgprs: 54
; NumVgprs: 138
; ScratchSize: 0
; MemoryBound: 0
; FloatMode: 240
; IeeeMode: 1
; LDSByteSize: 8192 bytes/workgroup (compile time only)
; SGPRBlocks: 0
; VGPRBlocks: 17
; NumSGPRsForWavesPerEU: 54
; NumVGPRsForWavesPerEU: 138
; Occupancy: 7
; WaveLimiterHint : 1
; COMPUTE_PGM_RSRC2:SCRATCH_EN: 0
; COMPUTE_PGM_RSRC2:USER_SGPR: 6
; COMPUTE_PGM_RSRC2:TRAP_HANDLER: 0
; COMPUTE_PGM_RSRC2:TGID_X_EN: 1
; COMPUTE_PGM_RSRC2:TGID_Y_EN: 1
; COMPUTE_PGM_RSRC2:TGID_Z_EN: 1
; COMPUTE_PGM_RSRC2:TIDIG_COMP_CNT: 1
	.section	.text._ZN12_GLOBAL__N_127rocblas_gemm_batched_kernelI19rocblas_complex_numIdELi16ELi16ELi64ELi64ELi4ELi64ELi4ELi4ELi64ELc84ELc84EKS2_S3_S2_EEvlllT_PT11_llS6_llS4_PT12_llPT13_lli,"axG",@progbits,_ZN12_GLOBAL__N_127rocblas_gemm_batched_kernelI19rocblas_complex_numIdELi16ELi16ELi64ELi64ELi4ELi64ELi4ELi4ELi64ELc84ELc84EKS2_S3_S2_EEvlllT_PT11_llS6_llS4_PT12_llPT13_lli,comdat
	.globl	_ZN12_GLOBAL__N_127rocblas_gemm_batched_kernelI19rocblas_complex_numIdELi16ELi16ELi64ELi64ELi4ELi64ELi4ELi4ELi64ELc84ELc84EKS2_S3_S2_EEvlllT_PT11_llS6_llS4_PT12_llPT13_lli ; -- Begin function _ZN12_GLOBAL__N_127rocblas_gemm_batched_kernelI19rocblas_complex_numIdELi16ELi16ELi64ELi64ELi4ELi64ELi4ELi4ELi64ELc84ELc84EKS2_S3_S2_EEvlllT_PT11_llS6_llS4_PT12_llPT13_lli
	.p2align	8
	.type	_ZN12_GLOBAL__N_127rocblas_gemm_batched_kernelI19rocblas_complex_numIdELi16ELi16ELi64ELi64ELi4ELi64ELi4ELi4ELi64ELc84ELc84EKS2_S3_S2_EEvlllT_PT11_llS6_llS4_PT12_llPT13_lli,@function
_ZN12_GLOBAL__N_127rocblas_gemm_batched_kernelI19rocblas_complex_numIdELi16ELi16ELi64ELi64ELi4ELi64ELi4ELi4ELi64ELc84ELc84EKS2_S3_S2_EEvlllT_PT11_llS6_llS4_PT12_llPT13_lli: ; @_ZN12_GLOBAL__N_127rocblas_gemm_batched_kernelI19rocblas_complex_numIdELi16ELi16ELi64ELi64ELi4ELi64ELi4ELi4ELi64ELc84ELc84EKS2_S3_S2_EEvlllT_PT11_llS6_llS4_PT12_llPT13_lli
; %bb.0:
	s_clause 0x1
	s_load_dwordx16 s[12:27], s[4:5], 0x10
	s_load_dwordx16 s[36:51], s[4:5], 0x50
	s_mov_b32 s2, s7
	s_ashr_i32 s7, s6, 31
	s_ashr_i32 s3, s2, 31
	s_lshl_b64 s[0:1], s[6:7], 6
	s_lshl_b64 s[2:3], s[2:3], 6
	s_waitcnt lgkmcnt(0)
	v_cmp_lt_i64_e64 s9, s[12:13], 1
	s_and_b32 vcc_lo, exec_lo, s9
	s_cbranch_vccnz .LBB532_3
; %bb.1:
	v_lshl_add_u32 v6, v1, 4, v0
	v_and_b32_e32 v7, 3, v0
	s_mul_i32 s7, s23, s8
	s_mul_hi_u32 s9, s22, s8
	v_mov_b32_e32 v76, 0
	v_lshrrev_b32_e32 v8, 2, v6
	v_and_b32_e32 v9, 63, v6
	v_lshrrev_b32_e32 v12, 6, v6
	v_lshlrev_b32_e32 v13, 4, v7
	s_add_i32 s7, s9, s7
	v_add_co_u32 v2, s6, v8, s2
	v_add_co_ci_u32_e64 v3, null, 0, s3, s6
	v_add_co_u32 v4, s6, s0, v9
	v_add_co_ci_u32_e64 v5, null, s1, 0, s6
	v_mad_u64_u32 v[2:3], null, s26, v7, v[2:3]
	v_mul_lo_u32 v10, s21, v4
	v_mul_lo_u32 v11, s20, v5
	v_mad_u64_u32 v[4:5], null, s20, v4, 0
	s_mul_i32 s6, s22, s8
	v_mov_b32_e32 v74, 0
	s_lshl_b64 s[6:7], s[6:7], 4
	v_mov_b32_e32 v16, 0
	v_mov_b32_e32 v14, 0
	;; [unrolled: 1-line block ×3, first 2 shown]
	v_add3_u32 v5, v5, v11, v10
	v_mad_u64_u32 v[6:7], null, s27, v7, v[3:4]
	v_lshlrev_b32_e32 v3, 4, v9
	v_lshl_or_b32 v7, v8, 6, v13
	v_lshlrev_b64 v[4:5], 4, v[4:5]
	v_mov_b32_e32 v10, 0
	v_mov_b32_e32 v18, 0
	v_lshl_or_b32 v92, v12, 10, v3
	v_mov_b32_e32 v3, v6
	v_lshlrev_b32_e32 v6, 4, v12
	v_add_co_u32 v4, vcc_lo, v4, s6
	v_add_co_ci_u32_e64 v5, null, s7, v5, vcc_lo
	s_mul_i32 s6, s37, s8
	s_mul_hi_u32 s7, s36, s8
	v_add_co_u32 v4, vcc_lo, v4, v6
	s_add_i32 s7, s7, s6
	s_mul_i32 s6, s36, s8
	v_lshlrev_b64 v[2:3], 4, v[2:3]
	v_add_co_ci_u32_e64 v5, null, 0, v5, vcc_lo
	s_lshl_b64 s[6:7], s[6:7], 4
	v_add_co_u32 v26, vcc_lo, s18, v4
	s_add_u32 s6, s24, s6
	v_add_co_ci_u32_e64 v27, null, s19, v5, vcc_lo
	s_addc_u32 s7, s25, s7
	v_add_co_u32 v28, vcc_lo, s6, v2
	v_mov_b32_e32 v12, 0
	v_mov_b32_e32 v40, 0
	;; [unrolled: 1-line block ×25, first 2 shown]
	v_lshlrev_b32_e32 v90, 4, v0
	v_lshl_add_u32 v91, v1, 6, 0x1000
	v_add_nc_u32_e32 v93, 0x1000, v7
	v_mov_b32_e32 v77, 0
	v_mov_b32_e32 v75, 0
	;; [unrolled: 1-line block ×32, first 2 shown]
	v_add_co_ci_u32_e64 v29, null, s7, v3, vcc_lo
	s_lshl_b64 s[6:7], s[26:27], 6
	s_mov_b64 s[10:11], 0
.LBB532_2:                              ; =>This Inner Loop Header: Depth=1
	global_load_dwordx4 v[2:5], v[26:27], off
	s_add_u32 s10, s10, 4
	s_addc_u32 s11, s11, 0
	v_add_co_u32 v26, vcc_lo, v26, 64
	v_cmp_lt_i64_e64 s9, s[10:11], s[12:13]
	v_add_co_ci_u32_e64 v27, null, 0, v27, vcc_lo
	s_waitcnt vmcnt(0)
	ds_write2_b64 v92, v[2:3], v[4:5] offset1:1
	global_load_dwordx4 v[2:5], v[28:29], off
	v_add_co_u32 v28, vcc_lo, v28, s6
	v_add_co_ci_u32_e64 v29, null, s7, v29, vcc_lo
	s_and_b32 vcc_lo, exec_lo, s9
	s_waitcnt vmcnt(0)
	ds_write2_b64 v93, v[2:3], v[4:5] offset1:1
	s_waitcnt lgkmcnt(0)
	s_barrier
	buffer_gl0_inv
	ds_read_b128 v[78:81], v91
	ds_read_b128 v[82:85], v91 offset:16
	ds_read_b128 v[6:9], v91 offset:32
	;; [unrolled: 1-line block ×3, first 2 shown]
	ds_read_b128 v[86:89], v90
	s_waitcnt lgkmcnt(0)
	v_mul_f64 v[94:95], v[80:81], v[88:89]
	v_mul_f64 v[96:97], v[78:79], v[88:89]
	v_fma_f64 v[94:95], v[78:79], v[86:87], -v[94:95]
	v_fma_f64 v[96:97], v[80:81], v[86:87], v[96:97]
	v_add_f64 v[98:99], v[48:49], v[94:95]
	v_add_f64 v[100:101], v[96:97], v[52:53]
	ds_read_b128 v[94:97], v90 offset:256
	s_waitcnt lgkmcnt(0)
	v_mul_f64 v[48:49], v[80:81], v[96:97]
	v_mul_f64 v[52:53], v[78:79], v[96:97]
	v_fma_f64 v[48:49], v[78:79], v[94:95], -v[48:49]
	v_fma_f64 v[52:53], v[80:81], v[94:95], v[52:53]
	v_add_f64 v[102:103], v[34:35], v[48:49]
	v_add_f64 v[104:105], v[52:53], v[36:37]
	ds_read_b128 v[34:37], v90 offset:512
	;; [unrolled: 8-line block ×4, first 2 shown]
	s_waitcnt lgkmcnt(0)
	v_mul_f64 v[48:49], v[24:25], v[88:89]
	v_mul_f64 v[52:53], v[22:23], v[88:89]
	v_fma_f64 v[48:49], v[22:23], v[86:87], -v[48:49]
	v_fma_f64 v[52:53], v[24:25], v[86:87], v[52:53]
	v_add_f64 v[70:71], v[70:71], v[48:49]
	v_mul_f64 v[48:49], v[24:25], v[96:97]
	v_add_f64 v[72:73], v[52:53], v[72:73]
	v_mul_f64 v[52:53], v[22:23], v[96:97]
	v_fma_f64 v[48:49], v[22:23], v[94:95], -v[48:49]
	v_fma_f64 v[52:53], v[24:25], v[94:95], v[52:53]
	v_add_f64 v[110:111], v[62:63], v[48:49]
	v_mul_f64 v[48:49], v[24:25], v[36:37]
	v_add_f64 v[112:113], v[52:53], v[64:65]
	;; [unrolled: 6-line block ×3, first 2 shown]
	v_fma_f64 v[48:49], v[22:23], v[30:31], -v[48:49]
	v_mul_f64 v[22:23], v[22:23], v[32:33]
	v_add_f64 v[118:119], v[42:43], v[48:49]
	v_fma_f64 v[22:23], v[24:25], v[30:31], v[22:23]
	v_add_f64 v[120:121], v[22:23], v[46:47]
	ds_read_b128 v[22:25], v91 offset:2048
	s_waitcnt lgkmcnt(0)
	v_mul_f64 v[42:43], v[24:25], v[88:89]
	v_mul_f64 v[46:47], v[22:23], v[88:89]
	v_fma_f64 v[42:43], v[22:23], v[86:87], -v[42:43]
	v_fma_f64 v[46:47], v[24:25], v[86:87], v[46:47]
	v_add_f64 v[122:123], v[66:67], v[42:43]
	v_mul_f64 v[42:43], v[24:25], v[96:97]
	v_add_f64 v[124:125], v[46:47], v[68:69]
	v_mul_f64 v[46:47], v[22:23], v[96:97]
	v_fma_f64 v[42:43], v[22:23], v[94:95], -v[42:43]
	v_fma_f64 v[46:47], v[24:25], v[94:95], v[46:47]
	v_add_f64 v[126:127], v[56:57], v[42:43]
	v_mul_f64 v[42:43], v[24:25], v[36:37]
	v_add_f64 v[128:129], v[46:47], v[60:61]
	;; [unrolled: 6-line block ×3, first 2 shown]
	v_fma_f64 v[42:43], v[22:23], v[30:31], -v[42:43]
	v_mul_f64 v[22:23], v[22:23], v[32:33]
	v_add_f64 v[134:135], v[38:39], v[42:43]
	v_fma_f64 v[22:23], v[24:25], v[30:31], v[22:23]
	v_add_f64 v[136:137], v[22:23], v[40:41]
	ds_read_b128 v[22:25], v91 offset:3072
	s_waitcnt lgkmcnt(0)
	v_mul_f64 v[38:39], v[24:25], v[88:89]
	v_mul_f64 v[40:41], v[22:23], v[88:89]
	v_fma_f64 v[38:39], v[22:23], v[86:87], -v[38:39]
	v_fma_f64 v[40:41], v[24:25], v[86:87], v[40:41]
	v_add_f64 v[58:59], v[18:19], v[38:39]
	v_add_f64 v[60:61], v[40:41], v[20:21]
	v_mul_f64 v[18:19], v[24:25], v[96:97]
	v_mul_f64 v[20:21], v[22:23], v[96:97]
	v_fma_f64 v[18:19], v[22:23], v[94:95], -v[18:19]
	v_fma_f64 v[20:21], v[24:25], v[94:95], v[20:21]
	v_add_f64 v[54:55], v[14:15], v[18:19]
	v_add_f64 v[56:57], v[20:21], v[16:17]
	v_mul_f64 v[14:15], v[24:25], v[36:37]
	v_mul_f64 v[16:17], v[22:23], v[36:37]
	ds_read_b128 v[18:21], v90 offset:1280
	v_fma_f64 v[14:15], v[22:23], v[34:35], -v[14:15]
	v_fma_f64 v[16:17], v[24:25], v[34:35], v[16:17]
	v_add_f64 v[50:51], v[10:11], v[14:15]
	v_add_f64 v[52:53], v[16:17], v[12:13]
	v_mul_f64 v[10:11], v[24:25], v[32:33]
	v_mul_f64 v[12:13], v[22:23], v[32:33]
	ds_read_b128 v[14:17], v90 offset:1536
	v_fma_f64 v[10:11], v[22:23], v[30:31], -v[10:11]
	v_fma_f64 v[12:13], v[24:25], v[30:31], v[12:13]
	ds_read_b128 v[22:25], v90 offset:1024
	v_add_f64 v[46:47], v[74:75], v[10:11]
	v_add_f64 v[48:49], v[12:13], v[76:77]
	s_waitcnt lgkmcnt(0)
	v_mul_f64 v[10:11], v[84:85], v[24:25]
	v_mul_f64 v[12:13], v[82:83], v[24:25]
	ds_read_b128 v[74:77], v91 offset:1040
	v_fma_f64 v[10:11], v[82:83], v[22:23], -v[10:11]
	v_fma_f64 v[12:13], v[84:85], v[22:23], v[12:13]
	s_waitcnt lgkmcnt(0)
	v_mul_f64 v[62:63], v[76:77], v[24:25]
	v_mul_f64 v[64:65], v[74:75], v[24:25]
	v_mul_f64 v[66:67], v[76:77], v[20:21]
	v_mul_f64 v[68:69], v[74:75], v[20:21]
	v_add_f64 v[42:43], v[98:99], v[10:11]
	v_add_f64 v[44:45], v[12:13], v[100:101]
	v_mul_f64 v[10:11], v[84:85], v[20:21]
	v_mul_f64 v[12:13], v[82:83], v[20:21]
	v_fma_f64 v[62:63], v[74:75], v[22:23], -v[62:63]
	v_fma_f64 v[64:65], v[76:77], v[22:23], v[64:65]
	v_fma_f64 v[66:67], v[74:75], v[18:19], -v[66:67]
	v_fma_f64 v[68:69], v[76:77], v[18:19], v[68:69]
	;; [unrolled: 2-line block ×3, first 2 shown]
	v_add_f64 v[62:63], v[70:71], v[62:63]
	v_mul_f64 v[70:71], v[76:77], v[16:17]
	v_add_f64 v[64:65], v[64:65], v[72:73]
	v_mul_f64 v[72:73], v[74:75], v[16:17]
	v_add_f64 v[66:67], v[110:111], v[66:67]
	v_add_f64 v[68:69], v[68:69], v[112:113]
	;; [unrolled: 1-line block ×4, first 2 shown]
	v_mul_f64 v[10:11], v[84:85], v[16:17]
	v_mul_f64 v[12:13], v[82:83], v[16:17]
	v_fma_f64 v[70:71], v[74:75], v[14:15], -v[70:71]
	v_fma_f64 v[72:73], v[76:77], v[14:15], v[72:73]
	v_fma_f64 v[10:11], v[82:83], v[14:15], -v[10:11]
	v_fma_f64 v[12:13], v[84:85], v[14:15], v[12:13]
	v_add_f64 v[70:71], v[114:115], v[70:71]
	v_add_f64 v[72:73], v[72:73], v[116:117]
	;; [unrolled: 1-line block ×4, first 2 shown]
	ds_read_b128 v[10:13], v90 offset:1792
	s_waitcnt lgkmcnt(0)
	v_mul_f64 v[30:31], v[84:85], v[12:13]
	v_mul_f64 v[32:33], v[82:83], v[12:13]
	v_fma_f64 v[30:31], v[82:83], v[10:11], -v[30:31]
	v_fma_f64 v[32:33], v[84:85], v[10:11], v[32:33]
	v_add_f64 v[30:31], v[78:79], v[30:31]
	v_mul_f64 v[78:79], v[76:77], v[12:13]
	v_add_f64 v[32:33], v[32:33], v[80:81]
	v_fma_f64 v[78:79], v[74:75], v[10:11], -v[78:79]
	v_mul_f64 v[74:75], v[74:75], v[12:13]
	v_fma_f64 v[76:77], v[76:77], v[10:11], v[74:75]
	v_add_f64 v[74:75], v[118:119], v[78:79]
	ds_read_b128 v[78:81], v91 offset:2064
	s_waitcnt lgkmcnt(0)
	v_mul_f64 v[82:83], v[80:81], v[24:25]
	v_mul_f64 v[86:87], v[80:81], v[20:21]
	;; [unrolled: 1-line block ×7, first 2 shown]
	v_add_f64 v[76:77], v[76:77], v[120:121]
	v_fma_f64 v[82:83], v[78:79], v[22:23], -v[82:83]
	v_fma_f64 v[86:87], v[78:79], v[18:19], -v[86:87]
	;; [unrolled: 1-line block ×4, first 2 shown]
	v_mul_f64 v[78:79], v[78:79], v[12:13]
	v_fma_f64 v[84:85], v[80:81], v[22:23], v[84:85]
	v_fma_f64 v[88:89], v[80:81], v[18:19], v[88:89]
	;; [unrolled: 1-line block ×3, first 2 shown]
	v_add_f64 v[82:83], v[122:123], v[82:83]
	v_add_f64 v[86:87], v[126:127], v[86:87]
	;; [unrolled: 1-line block ×4, first 2 shown]
	v_fma_f64 v[78:79], v[80:81], v[10:11], v[78:79]
	v_add_f64 v[84:85], v[84:85], v[124:125]
	v_add_f64 v[88:89], v[88:89], v[128:129]
	;; [unrolled: 1-line block ×4, first 2 shown]
	ds_read_b128 v[78:81], v91 offset:3088
	s_waitcnt lgkmcnt(0)
	v_mul_f64 v[102:103], v[80:81], v[24:25]
	v_mul_f64 v[24:25], v[78:79], v[24:25]
	v_fma_f64 v[102:103], v[78:79], v[22:23], -v[102:103]
	v_fma_f64 v[22:23], v[80:81], v[22:23], v[24:25]
	v_add_f64 v[58:59], v[58:59], v[102:103]
	v_add_f64 v[60:61], v[22:23], v[60:61]
	v_mul_f64 v[22:23], v[80:81], v[20:21]
	v_mul_f64 v[20:21], v[78:79], v[20:21]
	v_fma_f64 v[22:23], v[78:79], v[18:19], -v[22:23]
	v_fma_f64 v[18:19], v[80:81], v[18:19], v[20:21]
	v_add_f64 v[54:55], v[54:55], v[22:23]
	v_add_f64 v[56:57], v[18:19], v[56:57]
	;; [unrolled: 6-line block ×4, first 2 shown]
	ds_read_b128 v[10:13], v90 offset:2048
	s_waitcnt lgkmcnt(0)
	v_mul_f64 v[14:15], v[8:9], v[12:13]
	v_mul_f64 v[16:17], v[6:7], v[12:13]
	v_fma_f64 v[14:15], v[6:7], v[10:11], -v[14:15]
	v_fma_f64 v[16:17], v[8:9], v[10:11], v[16:17]
	v_add_f64 v[42:43], v[42:43], v[14:15]
	v_add_f64 v[44:45], v[16:17], v[44:45]
	ds_read_b128 v[14:17], v90 offset:2304
	s_waitcnt lgkmcnt(0)
	v_mul_f64 v[18:19], v[8:9], v[16:17]
	v_mul_f64 v[20:21], v[6:7], v[16:17]
	v_fma_f64 v[18:19], v[6:7], v[14:15], -v[18:19]
	v_fma_f64 v[20:21], v[8:9], v[14:15], v[20:21]
	v_add_f64 v[38:39], v[38:39], v[18:19]
	v_add_f64 v[40:41], v[20:21], v[40:41]
	;; [unrolled: 8-line block ×3, first 2 shown]
	ds_read_b128 v[22:25], v90 offset:2816
	s_waitcnt lgkmcnt(0)
	v_mul_f64 v[34:35], v[8:9], v[24:25]
	v_fma_f64 v[34:35], v[6:7], v[22:23], -v[34:35]
	v_mul_f64 v[6:7], v[6:7], v[24:25]
	v_add_f64 v[106:107], v[30:31], v[34:35]
	v_fma_f64 v[6:7], v[8:9], v[22:23], v[6:7]
	v_add_f64 v[108:109], v[6:7], v[32:33]
	ds_read_b128 v[6:9], v91 offset:1056
	s_waitcnt lgkmcnt(0)
	v_mul_f64 v[30:31], v[8:9], v[12:13]
	v_mul_f64 v[32:33], v[6:7], v[12:13]
	v_fma_f64 v[30:31], v[6:7], v[10:11], -v[30:31]
	v_fma_f64 v[32:33], v[8:9], v[10:11], v[32:33]
	v_add_f64 v[62:63], v[62:63], v[30:31]
	v_mul_f64 v[30:31], v[8:9], v[16:17]
	v_add_f64 v[64:65], v[32:33], v[64:65]
	v_mul_f64 v[32:33], v[6:7], v[16:17]
	v_fma_f64 v[30:31], v[6:7], v[14:15], -v[30:31]
	v_fma_f64 v[32:33], v[8:9], v[14:15], v[32:33]
	v_add_f64 v[66:67], v[66:67], v[30:31]
	v_mul_f64 v[30:31], v[8:9], v[20:21]
	v_add_f64 v[68:69], v[32:33], v[68:69]
	;; [unrolled: 6-line block ×3, first 2 shown]
	v_fma_f64 v[30:31], v[6:7], v[22:23], -v[30:31]
	v_mul_f64 v[6:7], v[6:7], v[24:25]
	v_add_f64 v[114:115], v[74:75], v[30:31]
	v_fma_f64 v[6:7], v[8:9], v[22:23], v[6:7]
	v_add_f64 v[116:117], v[6:7], v[76:77]
	ds_read_b128 v[6:9], v91 offset:2080
	s_waitcnt lgkmcnt(0)
	v_mul_f64 v[30:31], v[8:9], v[12:13]
	v_mul_f64 v[32:33], v[6:7], v[12:13]
	v_fma_f64 v[30:31], v[6:7], v[10:11], -v[30:31]
	v_fma_f64 v[32:33], v[8:9], v[10:11], v[32:33]
	v_add_f64 v[118:119], v[82:83], v[30:31]
	v_mul_f64 v[30:31], v[8:9], v[16:17]
	v_add_f64 v[120:121], v[32:33], v[84:85]
	v_mul_f64 v[32:33], v[6:7], v[16:17]
	v_fma_f64 v[30:31], v[6:7], v[14:15], -v[30:31]
	v_fma_f64 v[32:33], v[8:9], v[14:15], v[32:33]
	v_add_f64 v[122:123], v[86:87], v[30:31]
	v_mul_f64 v[30:31], v[8:9], v[20:21]
	v_add_f64 v[124:125], v[32:33], v[88:89]
	;; [unrolled: 6-line block ×3, first 2 shown]
	v_fma_f64 v[30:31], v[6:7], v[22:23], -v[30:31]
	v_mul_f64 v[6:7], v[6:7], v[24:25]
	v_add_f64 v[98:99], v[98:99], v[30:31]
	v_fma_f64 v[6:7], v[8:9], v[22:23], v[6:7]
	v_add_f64 v[100:101], v[6:7], v[100:101]
	ds_read_b128 v[6:9], v91 offset:3104
	s_waitcnt lgkmcnt(0)
	v_mul_f64 v[30:31], v[8:9], v[12:13]
	v_mul_f64 v[12:13], v[6:7], v[12:13]
	v_fma_f64 v[30:31], v[6:7], v[10:11], -v[30:31]
	v_fma_f64 v[10:11], v[8:9], v[10:11], v[12:13]
	v_mul_f64 v[12:13], v[6:7], v[16:17]
	v_add_f64 v[86:87], v[58:59], v[30:31]
	v_add_f64 v[88:89], v[10:11], v[60:61]
	v_mul_f64 v[10:11], v[8:9], v[16:17]
	v_fma_f64 v[12:13], v[8:9], v[14:15], v[12:13]
	v_fma_f64 v[10:11], v[6:7], v[14:15], -v[10:11]
	v_add_f64 v[84:85], v[12:13], v[56:57]
	v_mul_f64 v[12:13], v[6:7], v[20:21]
	ds_read_b128 v[14:17], v90 offset:3328
	v_add_f64 v[82:83], v[54:55], v[10:11]
	v_mul_f64 v[10:11], v[8:9], v[20:21]
	v_fma_f64 v[12:13], v[8:9], v[18:19], v[12:13]
	v_fma_f64 v[10:11], v[6:7], v[18:19], -v[10:11]
	ds_read_b128 v[18:21], v90 offset:3072
	v_add_f64 v[80:81], v[12:13], v[52:53]
	v_add_f64 v[78:79], v[50:51], v[10:11]
	v_mul_f64 v[10:11], v[8:9], v[24:25]
	v_fma_f64 v[10:11], v[6:7], v[22:23], -v[10:11]
	v_mul_f64 v[6:7], v[6:7], v[24:25]
	v_add_f64 v[74:75], v[46:47], v[10:11]
	v_fma_f64 v[6:7], v[8:9], v[22:23], v[6:7]
	s_waitcnt lgkmcnt(0)
	v_mul_f64 v[8:9], v[2:3], v[20:21]
	ds_read_b128 v[10:13], v90 offset:3584
	v_add_f64 v[76:77], v[6:7], v[48:49]
	v_mul_f64 v[6:7], v[4:5], v[20:21]
	v_fma_f64 v[8:9], v[4:5], v[18:19], v[8:9]
	v_fma_f64 v[6:7], v[2:3], v[18:19], -v[6:7]
	v_add_f64 v[52:53], v[8:9], v[44:45]
	v_mul_f64 v[8:9], v[2:3], v[16:17]
	v_add_f64 v[48:49], v[42:43], v[6:7]
	v_mul_f64 v[6:7], v[4:5], v[16:17]
	v_fma_f64 v[8:9], v[4:5], v[14:15], v[8:9]
	v_fma_f64 v[6:7], v[2:3], v[14:15], -v[6:7]
	v_add_f64 v[36:37], v[8:9], v[40:41]
	s_waitcnt lgkmcnt(0)
	v_mul_f64 v[8:9], v[2:3], v[12:13]
	v_add_f64 v[34:35], v[38:39], v[6:7]
	v_mul_f64 v[6:7], v[4:5], v[12:13]
	v_fma_f64 v[8:9], v[4:5], v[10:11], v[8:9]
	v_fma_f64 v[6:7], v[2:3], v[10:11], -v[6:7]
	v_add_f64 v[32:33], v[8:9], v[104:105]
	v_add_f64 v[30:31], v[102:103], v[6:7]
	ds_read_b128 v[6:9], v90 offset:3840
	s_waitcnt lgkmcnt(0)
	v_mul_f64 v[22:23], v[4:5], v[8:9]
	v_fma_f64 v[22:23], v[2:3], v[6:7], -v[22:23]
	v_mul_f64 v[2:3], v[2:3], v[8:9]
	v_add_f64 v[22:23], v[106:107], v[22:23]
	v_fma_f64 v[2:3], v[4:5], v[6:7], v[2:3]
	v_add_f64 v[24:25], v[2:3], v[108:109]
	ds_read_b128 v[2:5], v91 offset:1072
	s_waitcnt lgkmcnt(0)
	v_mul_f64 v[38:39], v[4:5], v[20:21]
	v_mul_f64 v[40:41], v[2:3], v[20:21]
	v_fma_f64 v[38:39], v[2:3], v[18:19], -v[38:39]
	v_fma_f64 v[40:41], v[4:5], v[18:19], v[40:41]
	v_add_f64 v[70:71], v[62:63], v[38:39]
	v_mul_f64 v[38:39], v[4:5], v[16:17]
	v_add_f64 v[72:73], v[40:41], v[64:65]
	v_mul_f64 v[40:41], v[2:3], v[16:17]
	v_fma_f64 v[38:39], v[2:3], v[14:15], -v[38:39]
	v_fma_f64 v[40:41], v[4:5], v[14:15], v[40:41]
	v_add_f64 v[62:63], v[66:67], v[38:39]
	v_mul_f64 v[38:39], v[4:5], v[12:13]
	v_add_f64 v[64:65], v[40:41], v[68:69]
	;; [unrolled: 6-line block ×3, first 2 shown]
	v_fma_f64 v[38:39], v[2:3], v[6:7], -v[38:39]
	v_mul_f64 v[2:3], v[2:3], v[8:9]
	v_add_f64 v[42:43], v[114:115], v[38:39]
	v_fma_f64 v[2:3], v[4:5], v[6:7], v[2:3]
	v_add_f64 v[46:47], v[2:3], v[116:117]
	ds_read_b128 v[2:5], v91 offset:2096
	s_waitcnt lgkmcnt(0)
	v_mul_f64 v[38:39], v[4:5], v[20:21]
	v_mul_f64 v[40:41], v[2:3], v[20:21]
	v_fma_f64 v[38:39], v[2:3], v[18:19], -v[38:39]
	v_fma_f64 v[40:41], v[4:5], v[18:19], v[40:41]
	v_add_f64 v[66:67], v[118:119], v[38:39]
	v_mul_f64 v[38:39], v[4:5], v[16:17]
	v_add_f64 v[68:69], v[40:41], v[120:121]
	v_mul_f64 v[40:41], v[2:3], v[16:17]
	v_fma_f64 v[38:39], v[2:3], v[14:15], -v[38:39]
	v_fma_f64 v[40:41], v[4:5], v[14:15], v[40:41]
	v_add_f64 v[56:57], v[122:123], v[38:39]
	v_mul_f64 v[38:39], v[4:5], v[12:13]
	v_add_f64 v[60:61], v[40:41], v[124:125]
	;; [unrolled: 6-line block ×3, first 2 shown]
	v_fma_f64 v[38:39], v[2:3], v[6:7], -v[38:39]
	v_mul_f64 v[2:3], v[2:3], v[8:9]
	v_add_f64 v[38:39], v[98:99], v[38:39]
	v_fma_f64 v[2:3], v[4:5], v[6:7], v[2:3]
	v_add_f64 v[40:41], v[2:3], v[100:101]
	ds_read_b128 v[2:5], v91 offset:3120
	s_waitcnt lgkmcnt(0)
	s_barrier
	buffer_gl0_inv
	v_mul_f64 v[94:95], v[4:5], v[20:21]
	v_mul_f64 v[20:21], v[2:3], v[20:21]
	v_fma_f64 v[94:95], v[2:3], v[18:19], -v[94:95]
	v_fma_f64 v[20:21], v[4:5], v[18:19], v[20:21]
	v_add_f64 v[18:19], v[86:87], v[94:95]
	v_mul_f64 v[86:87], v[4:5], v[16:17]
	v_mul_f64 v[16:17], v[2:3], v[16:17]
	v_add_f64 v[20:21], v[20:21], v[88:89]
	v_fma_f64 v[86:87], v[2:3], v[14:15], -v[86:87]
	v_fma_f64 v[16:17], v[4:5], v[14:15], v[16:17]
	v_add_f64 v[14:15], v[82:83], v[86:87]
	v_mul_f64 v[82:83], v[4:5], v[12:13]
	v_mul_f64 v[12:13], v[2:3], v[12:13]
	v_add_f64 v[16:17], v[16:17], v[84:85]
	v_fma_f64 v[82:83], v[2:3], v[10:11], -v[82:83]
	v_fma_f64 v[12:13], v[4:5], v[10:11], v[12:13]
	v_add_f64 v[10:11], v[78:79], v[82:83]
	v_mul_f64 v[78:79], v[4:5], v[8:9]
	v_add_f64 v[12:13], v[12:13], v[80:81]
	v_fma_f64 v[78:79], v[2:3], v[6:7], -v[78:79]
	v_mul_f64 v[2:3], v[2:3], v[8:9]
	v_add_f64 v[74:75], v[74:75], v[78:79]
	v_fma_f64 v[2:3], v[4:5], v[6:7], v[2:3]
	v_add_f64 v[76:77], v[2:3], v[76:77]
	s_cbranch_vccnz .LBB532_2
	s_branch .LBB532_4
.LBB532_3:
	v_mov_b32_e32 v48, 0
	v_mov_b32_e32 v52, 0
	;; [unrolled: 1-line block ×64, first 2 shown]
.LBB532_4:
	s_load_dwordx2 s[4:5], s[4:5], 0x90
	v_cmp_neq_f64_e64 s6, s[38:39], 0
	v_cmp_neq_f64_e64 s7, s[40:41], 0
	v_add_co_u32 v6, s2, s2, v1
	v_add_co_u32 v0, s0, s0, v0
	v_add_co_ci_u32_e64 v7, null, s3, 0, s2
	v_add_co_ci_u32_e64 v1, null, s1, 0, s0
	s_waitcnt lgkmcnt(0)
	s_mul_i32 s5, s5, s8
	s_mul_hi_u32 s9, s4, s8
	s_mul_i32 s4, s4, s8
	s_add_i32 s5, s9, s5
	s_lshl_b64 s[4:5], s[4:5], 4
	s_add_u32 s2, s48, s4
	s_addc_u32 s3, s49, s5
	s_or_b32 s4, s6, s7
	s_and_b32 vcc_lo, exec_lo, s4
	s_cbranch_vccnz .LBB532_6
; %bb.5:
	v_mul_f64 v[4:5], s[16:17], v[52:53]
	v_mul_f64 v[8:9], s[14:15], v[52:53]
	v_mul_lo_u32 v78, v7, s50
	v_mul_lo_u32 v79, v6, s51
	v_mad_u64_u32 v[2:3], null, v6, s50, 0
	v_mul_f64 v[26:27], s[16:17], v[36:37]
	v_mul_f64 v[28:29], s[14:15], v[36:37]
	;; [unrolled: 1-line block ×6, first 2 shown]
	v_add3_u32 v3, v3, v79, v78
	v_mul_f64 v[78:79], s[16:17], v[32:33]
	v_mul_f64 v[88:89], s[14:15], v[72:73]
	;; [unrolled: 1-line block ×4, first 2 shown]
	v_lshlrev_b64 v[2:3], 4, v[2:3]
	v_mul_f64 v[94:95], s[16:17], v[58:59]
	v_mul_f64 v[96:97], s[14:15], v[58:59]
	;; [unrolled: 1-line block ×4, first 2 shown]
	s_lshl_b64 s[0:1], s[50:51], 8
	v_add_co_u32 v104, vcc_lo, s2, v2
	v_add_co_ci_u32_e64 v105, null, s3, v3, vcc_lo
	v_fma_f64 v[2:3], s[14:15], v[48:49], -v[4:5]
	v_fma_f64 v[4:5], s[16:17], v[48:49], v[8:9]
	v_lshlrev_b64 v[8:9], 4, v[0:1]
	v_fma_f64 v[26:27], s[14:15], v[34:35], -v[26:27]
	v_fma_f64 v[28:29], s[16:17], v[34:35], v[28:29]
	v_fma_f64 v[80:81], s[16:17], v[30:31], v[80:81]
	v_fma_f64 v[82:83], s[14:15], v[22:23], -v[82:83]
	v_fma_f64 v[84:85], s[16:17], v[22:23], v[84:85]
	v_add_co_u32 v102, vcc_lo, v104, v8
	v_fma_f64 v[78:79], s[14:15], v[30:31], -v[78:79]
	v_add_co_ci_u32_e64 v103, null, v105, v9, vcc_lo
	v_fma_f64 v[86:87], s[14:15], v[70:71], -v[86:87]
	v_fma_f64 v[88:89], s[16:17], v[70:71], v[88:89]
	v_fma_f64 v[90:91], s[14:15], v[62:63], -v[90:91]
	v_fma_f64 v[92:93], s[16:17], v[62:63], v[92:93]
	;; [unrolled: 2-line block ×3, first 2 shown]
	v_add_co_u32 v106, vcc_lo, v104, s0
	v_add_co_ci_u32_e64 v107, null, s1, v105, vcc_lo
	global_store_dwordx4 v[102:103], v[2:5], off
	v_fma_f64 v[2:3], s[14:15], v[42:43], -v[98:99]
	v_fma_f64 v[4:5], s[16:17], v[42:43], v[100:101]
	v_add_co_u32 v104, vcc_lo, v106, v8
	v_add_co_ci_u32_e64 v105, null, v107, v9, vcc_lo
	global_store_dwordx4 v[102:103], v[26:29], off offset:256
	global_store_dwordx4 v[102:103], v[78:81], off offset:512
	;; [unrolled: 1-line block ×3, first 2 shown]
	global_store_dwordx4 v[104:105], v[86:89], off
	global_store_dwordx4 v[104:105], v[90:93], off offset:256
	global_store_dwordx4 v[104:105], v[94:97], off offset:512
	v_mul_f64 v[26:27], s[16:17], v[68:69]
	v_mul_f64 v[28:29], s[14:15], v[68:69]
	;; [unrolled: 1-line block ×12, first 2 shown]
	global_store_dwordx4 v[104:105], v[2:5], off offset:768
	v_mul_f64 v[2:3], s[16:17], v[76:77]
	v_mul_f64 v[4:5], s[14:15], v[76:77]
	;; [unrolled: 1-line block ×4, first 2 shown]
	v_add_co_u32 v104, vcc_lo, v106, s0
	v_add_co_ci_u32_e64 v105, null, s1, v107, vcc_lo
	v_fma_f64 v[26:27], s[14:15], v[66:67], -v[26:27]
	v_fma_f64 v[28:29], s[16:17], v[66:67], v[28:29]
	v_fma_f64 v[78:79], s[14:15], v[56:57], -v[78:79]
	v_fma_f64 v[80:81], s[16:17], v[56:57], v[80:81]
	;; [unrolled: 2-line block ×6, first 2 shown]
	v_add_co_u32 v106, vcc_lo, v104, s0
	v_fma_f64 v[102:103], s[14:15], v[74:75], -v[2:3]
	v_fma_f64 v[2:3], s[16:17], v[74:75], v[4:5]
	v_fma_f64 v[98:99], s[14:15], v[10:11], -v[98:99]
	v_fma_f64 v[100:101], s[16:17], v[10:11], v[100:101]
	v_add_co_ci_u32_e64 v107, null, s1, v105, vcc_lo
	v_add_co_u32 v4, vcc_lo, v104, v8
	v_add_co_ci_u32_e64 v5, null, v105, v9, vcc_lo
	v_add_co_u32 v8, vcc_lo, v106, v8
	v_add_co_ci_u32_e64 v9, null, v107, v9, vcc_lo
	global_store_dwordx4 v[4:5], v[26:29], off
	global_store_dwordx4 v[4:5], v[78:81], off offset:256
	global_store_dwordx4 v[4:5], v[82:85], off offset:512
	;; [unrolled: 1-line block ×3, first 2 shown]
	global_store_dwordx4 v[8:9], v[90:93], off
	v_add_co_u32 v4, vcc_lo, 0x300, v8
	v_add_co_ci_u32_e64 v5, null, 0, v9, vcc_lo
	global_store_dwordx4 v[8:9], v[94:97], off offset:256
	global_store_dwordx4 v[8:9], v[98:101], off offset:512
	global_store_dwordx2 v[8:9], v[102:103], off offset:768
	s_cbranch_execz .LBB532_7
	s_branch .LBB532_8
.LBB532_6:
                                        ; implicit-def: $vgpr2_vgpr3
                                        ; implicit-def: $vgpr4_vgpr5
.LBB532_7:
	v_mul_lo_u32 v4, v7, s44
	v_mul_lo_u32 v5, v6, s45
	v_mad_u64_u32 v[2:3], null, v6, s44, 0
	s_mul_i32 s1, s47, s8
	s_mul_hi_u32 s4, s46, s8
	s_mul_i32 s0, s46, s8
	s_add_i32 s1, s4, s1
	v_mul_f64 v[26:27], s[16:17], v[52:53]
	s_lshl_b64 s[0:1], s[0:1], 4
	v_add3_u32 v3, v3, v5, v4
	s_add_u32 s0, s42, s0
	v_lshlrev_b64 v[4:5], 4, v[0:1]
	s_addc_u32 s1, s43, s1
	v_mul_f64 v[28:29], s[14:15], v[52:53]
	v_lshlrev_b64 v[2:3], 4, v[2:3]
	v_add_co_u32 v78, vcc_lo, s0, v2
	v_add_co_ci_u32_e64 v79, null, s1, v3, vcc_lo
	s_lshl_b64 s[0:1], s[44:45], 8
	v_add_co_u32 v8, vcc_lo, v78, v4
	v_add_co_ci_u32_e64 v9, null, v79, v5, vcc_lo
	v_fma_f64 v[26:27], s[14:15], v[48:49], -v[26:27]
	global_load_dwordx4 v[0:3], v[8:9], off
	v_fma_f64 v[28:29], s[16:17], v[48:49], v[28:29]
	s_waitcnt vmcnt(0)
	v_mul_f64 v[52:53], s[40:41], v[2:3]
	v_mul_f64 v[2:3], s[38:39], v[2:3]
	v_fma_f64 v[48:49], s[38:39], v[0:1], -v[52:53]
	v_fma_f64 v[2:3], s[40:41], v[0:1], v[2:3]
	v_mul_lo_u32 v0, v7, s50
	v_mul_lo_u32 v1, v6, s51
	v_mad_u64_u32 v[6:7], null, v6, s50, 0
	v_add3_u32 v7, v7, v1, v0
	v_lshlrev_b64 v[6:7], 4, v[6:7]
	v_add_f64 v[0:1], v[26:27], v[48:49]
	v_add_f64 v[2:3], v[28:29], v[2:3]
	v_add_co_u32 v48, vcc_lo, s2, v6
	v_add_co_ci_u32_e64 v49, null, s3, v7, vcc_lo
	v_mul_f64 v[26:27], s[16:17], v[36:37]
	v_add_co_u32 v6, vcc_lo, v48, v4
	v_add_co_ci_u32_e64 v7, null, v49, v5, vcc_lo
	v_mul_f64 v[28:29], s[14:15], v[36:37]
	s_lshl_b64 s[2:3], s[50:51], 8
	global_store_dwordx4 v[6:7], v[0:3], off
	global_load_dwordx4 v[0:3], v[8:9], off offset:256
	v_fma_f64 v[26:27], s[14:15], v[34:35], -v[26:27]
	v_fma_f64 v[28:29], s[16:17], v[34:35], v[28:29]
	s_waitcnt vmcnt(0)
	v_mul_f64 v[36:37], s[40:41], v[2:3]
	v_mul_f64 v[2:3], s[38:39], v[2:3]
	v_fma_f64 v[34:35], s[38:39], v[0:1], -v[36:37]
	v_fma_f64 v[2:3], s[40:41], v[0:1], v[2:3]
	v_add_f64 v[0:1], v[26:27], v[34:35]
	v_add_f64 v[2:3], v[28:29], v[2:3]
	v_mul_f64 v[26:27], s[16:17], v[32:33]
	v_mul_f64 v[28:29], s[14:15], v[32:33]
	global_store_dwordx4 v[6:7], v[0:3], off offset:256
	global_load_dwordx4 v[0:3], v[8:9], off offset:512
	v_fma_f64 v[26:27], s[14:15], v[30:31], -v[26:27]
	v_fma_f64 v[28:29], s[16:17], v[30:31], v[28:29]
	s_waitcnt vmcnt(0)
	v_mul_f64 v[32:33], s[40:41], v[2:3]
	v_mul_f64 v[2:3], s[38:39], v[2:3]
	v_fma_f64 v[30:31], s[38:39], v[0:1], -v[32:33]
	v_fma_f64 v[2:3], s[40:41], v[0:1], v[2:3]
	v_add_f64 v[0:1], v[26:27], v[30:31]
	v_add_f64 v[2:3], v[28:29], v[2:3]
	v_add_co_u32 v28, vcc_lo, v78, s0
	v_add_co_ci_u32_e64 v29, null, s1, v79, vcc_lo
	global_store_dwordx4 v[6:7], v[0:3], off offset:512
	global_load_dwordx4 v[0:3], v[8:9], off offset:768
	v_mul_f64 v[8:9], s[16:17], v[24:25]
	v_mul_f64 v[24:25], s[14:15], v[24:25]
	v_fma_f64 v[8:9], s[14:15], v[22:23], -v[8:9]
	v_fma_f64 v[22:23], s[16:17], v[22:23], v[24:25]
	s_waitcnt vmcnt(0)
	v_mul_f64 v[26:27], s[40:41], v[2:3]
	v_mul_f64 v[2:3], s[38:39], v[2:3]
	v_fma_f64 v[24:25], s[38:39], v[0:1], -v[26:27]
	v_fma_f64 v[2:3], s[40:41], v[0:1], v[2:3]
	v_add_f64 v[0:1], v[8:9], v[24:25]
	v_add_f64 v[2:3], v[22:23], v[2:3]
	v_add_co_u32 v8, vcc_lo, v28, v4
	v_add_co_ci_u32_e64 v9, null, v29, v5, vcc_lo
	v_mul_f64 v[22:23], s[14:15], v[72:73]
	v_add_co_u32 v30, vcc_lo, v48, s2
	v_add_co_ci_u32_e64 v31, null, s3, v49, vcc_lo
	global_store_dwordx4 v[6:7], v[0:3], off offset:768
	global_load_dwordx4 v[0:3], v[8:9], off
	v_mul_f64 v[6:7], s[16:17], v[72:73]
	v_fma_f64 v[22:23], s[16:17], v[70:71], v[22:23]
	v_fma_f64 v[6:7], s[14:15], v[70:71], -v[6:7]
	s_waitcnt vmcnt(0)
	v_mul_f64 v[24:25], s[40:41], v[2:3]
	v_mul_f64 v[2:3], s[38:39], v[2:3]
	v_fma_f64 v[24:25], s[38:39], v[0:1], -v[24:25]
	v_fma_f64 v[2:3], s[40:41], v[0:1], v[2:3]
	v_add_f64 v[0:1], v[6:7], v[24:25]
	v_add_f64 v[2:3], v[22:23], v[2:3]
	v_add_co_u32 v6, vcc_lo, v30, v4
	v_add_co_ci_u32_e64 v7, null, v31, v5, vcc_lo
	v_mul_f64 v[22:23], s[16:17], v[64:65]
	v_mul_f64 v[24:25], s[14:15], v[64:65]
	v_add_co_u32 v28, vcc_lo, v28, s0
	v_add_co_ci_u32_e64 v29, null, s1, v29, vcc_lo
	global_store_dwordx4 v[6:7], v[0:3], off
	global_load_dwordx4 v[0:3], v[8:9], off offset:256
	v_fma_f64 v[22:23], s[14:15], v[62:63], -v[22:23]
	v_fma_f64 v[24:25], s[16:17], v[62:63], v[24:25]
	s_waitcnt vmcnt(0)
	v_mul_f64 v[26:27], s[40:41], v[2:3]
	v_mul_f64 v[2:3], s[38:39], v[2:3]
	v_fma_f64 v[26:27], s[38:39], v[0:1], -v[26:27]
	v_fma_f64 v[2:3], s[40:41], v[0:1], v[2:3]
	v_add_f64 v[0:1], v[22:23], v[26:27]
	v_add_f64 v[2:3], v[24:25], v[2:3]
	v_mul_f64 v[22:23], s[16:17], v[58:59]
	v_mul_f64 v[24:25], s[14:15], v[58:59]
	global_store_dwordx4 v[6:7], v[0:3], off offset:256
	global_load_dwordx4 v[0:3], v[8:9], off offset:512
	v_fma_f64 v[22:23], s[14:15], v[54:55], -v[22:23]
	v_fma_f64 v[24:25], s[16:17], v[54:55], v[24:25]
	s_waitcnt vmcnt(0)
	v_mul_f64 v[26:27], s[40:41], v[2:3]
	v_mul_f64 v[2:3], s[38:39], v[2:3]
	v_fma_f64 v[26:27], s[38:39], v[0:1], -v[26:27]
	v_fma_f64 v[2:3], s[40:41], v[0:1], v[2:3]
	v_add_f64 v[0:1], v[22:23], v[26:27]
	v_add_f64 v[2:3], v[24:25], v[2:3]
	v_mul_f64 v[22:23], s[14:15], v[46:47]
	global_store_dwordx4 v[6:7], v[0:3], off offset:512
	global_load_dwordx4 v[0:3], v[8:9], off offset:768
	v_mul_f64 v[8:9], s[16:17], v[46:47]
	v_fma_f64 v[22:23], s[16:17], v[42:43], v[22:23]
	v_fma_f64 v[8:9], s[14:15], v[42:43], -v[8:9]
	s_waitcnt vmcnt(0)
	v_mul_f64 v[24:25], s[40:41], v[2:3]
	v_mul_f64 v[2:3], s[38:39], v[2:3]
	v_fma_f64 v[24:25], s[38:39], v[0:1], -v[24:25]
	v_fma_f64 v[2:3], s[40:41], v[0:1], v[2:3]
	v_add_f64 v[0:1], v[8:9], v[24:25]
	v_add_f64 v[2:3], v[22:23], v[2:3]
	v_add_co_u32 v8, vcc_lo, v28, v4
	v_add_co_ci_u32_e64 v9, null, v29, v5, vcc_lo
	v_mul_f64 v[22:23], s[14:15], v[68:69]
	v_add_co_u32 v30, vcc_lo, v30, s2
	v_add_co_ci_u32_e64 v31, null, s3, v31, vcc_lo
	global_store_dwordx4 v[6:7], v[0:3], off offset:768
	global_load_dwordx4 v[0:3], v[8:9], off
	v_mul_f64 v[6:7], s[16:17], v[68:69]
	v_fma_f64 v[22:23], s[16:17], v[66:67], v[22:23]
	v_fma_f64 v[6:7], s[14:15], v[66:67], -v[6:7]
	s_waitcnt vmcnt(0)
	v_mul_f64 v[24:25], s[40:41], v[2:3]
	v_mul_f64 v[2:3], s[38:39], v[2:3]
	v_fma_f64 v[24:25], s[38:39], v[0:1], -v[24:25]
	v_fma_f64 v[2:3], s[40:41], v[0:1], v[2:3]
	v_add_f64 v[0:1], v[6:7], v[24:25]
	v_add_f64 v[2:3], v[22:23], v[2:3]
	v_add_co_u32 v6, vcc_lo, v30, v4
	v_add_co_ci_u32_e64 v7, null, v31, v5, vcc_lo
	v_mul_f64 v[22:23], s[16:17], v[60:61]
	v_mul_f64 v[24:25], s[14:15], v[60:61]
	global_store_dwordx4 v[6:7], v[0:3], off
	global_load_dwordx4 v[0:3], v[8:9], off offset:256
	v_fma_f64 v[22:23], s[14:15], v[56:57], -v[22:23]
	v_fma_f64 v[24:25], s[16:17], v[56:57], v[24:25]
	s_waitcnt vmcnt(0)
	v_mul_f64 v[26:27], s[40:41], v[2:3]
	v_mul_f64 v[2:3], s[38:39], v[2:3]
	v_fma_f64 v[26:27], s[38:39], v[0:1], -v[26:27]
	v_fma_f64 v[2:3], s[40:41], v[0:1], v[2:3]
	v_add_f64 v[0:1], v[22:23], v[26:27]
	v_add_f64 v[2:3], v[24:25], v[2:3]
	v_mul_f64 v[22:23], s[16:17], v[50:51]
	v_mul_f64 v[24:25], s[14:15], v[50:51]
	global_store_dwordx4 v[6:7], v[0:3], off offset:256
	global_load_dwordx4 v[0:3], v[8:9], off offset:512
	v_fma_f64 v[22:23], s[14:15], v[44:45], -v[22:23]
	v_fma_f64 v[24:25], s[16:17], v[44:45], v[24:25]
	s_waitcnt vmcnt(0)
	v_mul_f64 v[26:27], s[40:41], v[2:3]
	v_mul_f64 v[2:3], s[38:39], v[2:3]
	v_fma_f64 v[26:27], s[38:39], v[0:1], -v[26:27]
	v_fma_f64 v[2:3], s[40:41], v[0:1], v[2:3]
	v_add_f64 v[0:1], v[22:23], v[26:27]
	v_add_f64 v[2:3], v[24:25], v[2:3]
	v_mul_f64 v[22:23], s[14:15], v[40:41]
	global_store_dwordx4 v[6:7], v[0:3], off offset:512
	global_load_dwordx4 v[0:3], v[8:9], off offset:768
	v_mul_f64 v[8:9], s[16:17], v[40:41]
	v_fma_f64 v[22:23], s[16:17], v[38:39], v[22:23]
	v_fma_f64 v[8:9], s[14:15], v[38:39], -v[8:9]
	s_waitcnt vmcnt(0)
	v_mul_f64 v[24:25], s[40:41], v[2:3]
	v_mul_f64 v[2:3], s[38:39], v[2:3]
	v_fma_f64 v[24:25], s[38:39], v[0:1], -v[24:25]
	v_fma_f64 v[2:3], s[40:41], v[0:1], v[2:3]
	v_add_f64 v[0:1], v[8:9], v[24:25]
	v_add_f64 v[2:3], v[22:23], v[2:3]
	v_add_co_u32 v8, vcc_lo, v28, s0
	v_add_co_ci_u32_e64 v9, null, s1, v29, vcc_lo
	v_add_co_u32 v8, vcc_lo, v8, v4
	v_add_co_ci_u32_e64 v9, null, v9, v5, vcc_lo
	global_store_dwordx4 v[6:7], v[0:3], off offset:768
	global_load_dwordx4 v[0:3], v[8:9], off
	v_mul_f64 v[6:7], s[16:17], v[20:21]
	v_mul_f64 v[20:21], s[14:15], v[20:21]
	v_fma_f64 v[6:7], s[14:15], v[18:19], -v[6:7]
	v_fma_f64 v[18:19], s[16:17], v[18:19], v[20:21]
	s_waitcnt vmcnt(0)
	v_mul_f64 v[22:23], s[40:41], v[2:3]
	v_mul_f64 v[2:3], s[38:39], v[2:3]
	v_fma_f64 v[20:21], s[38:39], v[0:1], -v[22:23]
	v_fma_f64 v[2:3], s[40:41], v[0:1], v[2:3]
	v_add_f64 v[0:1], v[6:7], v[20:21]
	v_add_f64 v[2:3], v[18:19], v[2:3]
	v_add_co_u32 v6, vcc_lo, v30, s2
	v_add_co_ci_u32_e64 v7, null, s3, v31, vcc_lo
	v_add_co_u32 v6, vcc_lo, v6, v4
	v_add_co_ci_u32_e64 v7, null, v7, v5, vcc_lo
	v_mul_f64 v[4:5], s[16:17], v[16:17]
	v_mul_f64 v[16:17], s[14:15], v[16:17]
	global_store_dwordx4 v[6:7], v[0:3], off
	global_load_dwordx4 v[0:3], v[8:9], off offset:256
	v_fma_f64 v[4:5], s[14:15], v[14:15], -v[4:5]
	v_fma_f64 v[14:15], s[16:17], v[14:15], v[16:17]
	s_waitcnt vmcnt(0)
	v_mul_f64 v[18:19], s[40:41], v[2:3]
	v_mul_f64 v[2:3], s[38:39], v[2:3]
	v_fma_f64 v[16:17], s[38:39], v[0:1], -v[18:19]
	v_fma_f64 v[2:3], s[40:41], v[0:1], v[2:3]
	v_add_f64 v[0:1], v[4:5], v[16:17]
	v_add_f64 v[2:3], v[14:15], v[2:3]
	v_mul_f64 v[4:5], s[16:17], v[12:13]
	v_mul_f64 v[12:13], s[14:15], v[12:13]
	global_store_dwordx4 v[6:7], v[0:3], off offset:256
	global_load_dwordx4 v[0:3], v[8:9], off offset:512
	v_fma_f64 v[4:5], s[14:15], v[10:11], -v[4:5]
	v_fma_f64 v[10:11], s[16:17], v[10:11], v[12:13]
	s_waitcnt vmcnt(0)
	v_mul_f64 v[14:15], s[40:41], v[2:3]
	v_mul_f64 v[2:3], s[38:39], v[2:3]
	v_fma_f64 v[12:13], s[38:39], v[0:1], -v[14:15]
	v_fma_f64 v[2:3], s[40:41], v[0:1], v[2:3]
	v_add_f64 v[0:1], v[4:5], v[12:13]
	v_add_f64 v[2:3], v[10:11], v[2:3]
	v_mul_f64 v[4:5], s[16:17], v[76:77]
	global_store_dwordx4 v[6:7], v[0:3], off offset:512
	global_load_dwordx4 v[0:3], v[8:9], off offset:768
	v_mul_f64 v[8:9], s[14:15], v[76:77]
	v_fma_f64 v[4:5], s[14:15], v[74:75], -v[4:5]
	v_fma_f64 v[8:9], s[16:17], v[74:75], v[8:9]
	s_waitcnt vmcnt(0)
	v_mul_f64 v[10:11], s[40:41], v[2:3]
	v_mul_f64 v[2:3], s[38:39], v[2:3]
	v_fma_f64 v[10:11], s[38:39], v[0:1], -v[10:11]
	v_fma_f64 v[0:1], s[40:41], v[0:1], v[2:3]
	v_add_f64 v[10:11], v[4:5], v[10:11]
	v_add_f64 v[2:3], v[8:9], v[0:1]
	v_add_co_u32 v4, vcc_lo, 0x300, v6
	v_add_co_ci_u32_e64 v5, null, 0, v7, vcc_lo
	global_store_dwordx2 v[6:7], v[10:11], off offset:768
.LBB532_8:
	global_store_dwordx2 v[4:5], v[2:3], off offset:8
	s_endpgm
	.section	.rodata,"a",@progbits
	.p2align	6, 0x0
	.amdhsa_kernel _ZN12_GLOBAL__N_127rocblas_gemm_batched_kernelI19rocblas_complex_numIdELi16ELi16ELi64ELi64ELi4ELi64ELi4ELi4ELi64ELc84ELc84EKS2_S3_S2_EEvlllT_PT11_llS6_llS4_PT12_llPT13_lli
		.amdhsa_group_segment_fixed_size 8192
		.amdhsa_private_segment_fixed_size 0
		.amdhsa_kernarg_size 156
		.amdhsa_user_sgpr_count 6
		.amdhsa_user_sgpr_private_segment_buffer 1
		.amdhsa_user_sgpr_dispatch_ptr 0
		.amdhsa_user_sgpr_queue_ptr 0
		.amdhsa_user_sgpr_kernarg_segment_ptr 1
		.amdhsa_user_sgpr_dispatch_id 0
		.amdhsa_user_sgpr_flat_scratch_init 0
		.amdhsa_user_sgpr_private_segment_size 0
		.amdhsa_wavefront_size32 1
		.amdhsa_uses_dynamic_stack 0
		.amdhsa_system_sgpr_private_segment_wavefront_offset 0
		.amdhsa_system_sgpr_workgroup_id_x 1
		.amdhsa_system_sgpr_workgroup_id_y 1
		.amdhsa_system_sgpr_workgroup_id_z 1
		.amdhsa_system_sgpr_workgroup_info 0
		.amdhsa_system_vgpr_workitem_id 1
		.amdhsa_next_free_vgpr 138
		.amdhsa_next_free_sgpr 52
		.amdhsa_reserve_vcc 1
		.amdhsa_reserve_flat_scratch 0
		.amdhsa_float_round_mode_32 0
		.amdhsa_float_round_mode_16_64 0
		.amdhsa_float_denorm_mode_32 3
		.amdhsa_float_denorm_mode_16_64 3
		.amdhsa_dx10_clamp 1
		.amdhsa_ieee_mode 1
		.amdhsa_fp16_overflow 0
		.amdhsa_workgroup_processor_mode 1
		.amdhsa_memory_ordered 1
		.amdhsa_forward_progress 1
		.amdhsa_shared_vgpr_count 0
		.amdhsa_exception_fp_ieee_invalid_op 0
		.amdhsa_exception_fp_denorm_src 0
		.amdhsa_exception_fp_ieee_div_zero 0
		.amdhsa_exception_fp_ieee_overflow 0
		.amdhsa_exception_fp_ieee_underflow 0
		.amdhsa_exception_fp_ieee_inexact 0
		.amdhsa_exception_int_div_zero 0
	.end_amdhsa_kernel
	.section	.text._ZN12_GLOBAL__N_127rocblas_gemm_batched_kernelI19rocblas_complex_numIdELi16ELi16ELi64ELi64ELi4ELi64ELi4ELi4ELi64ELc84ELc84EKS2_S3_S2_EEvlllT_PT11_llS6_llS4_PT12_llPT13_lli,"axG",@progbits,_ZN12_GLOBAL__N_127rocblas_gemm_batched_kernelI19rocblas_complex_numIdELi16ELi16ELi64ELi64ELi4ELi64ELi4ELi4ELi64ELc84ELc84EKS2_S3_S2_EEvlllT_PT11_llS6_llS4_PT12_llPT13_lli,comdat
.Lfunc_end532:
	.size	_ZN12_GLOBAL__N_127rocblas_gemm_batched_kernelI19rocblas_complex_numIdELi16ELi16ELi64ELi64ELi4ELi64ELi4ELi4ELi64ELc84ELc84EKS2_S3_S2_EEvlllT_PT11_llS6_llS4_PT12_llPT13_lli, .Lfunc_end532-_ZN12_GLOBAL__N_127rocblas_gemm_batched_kernelI19rocblas_complex_numIdELi16ELi16ELi64ELi64ELi4ELi64ELi4ELi4ELi64ELc84ELc84EKS2_S3_S2_EEvlllT_PT11_llS6_llS4_PT12_llPT13_lli
                                        ; -- End function
	.set _ZN12_GLOBAL__N_127rocblas_gemm_batched_kernelI19rocblas_complex_numIdELi16ELi16ELi64ELi64ELi4ELi64ELi4ELi4ELi64ELc84ELc84EKS2_S3_S2_EEvlllT_PT11_llS6_llS4_PT12_llPT13_lli.num_vgpr, 138
	.set _ZN12_GLOBAL__N_127rocblas_gemm_batched_kernelI19rocblas_complex_numIdELi16ELi16ELi64ELi64ELi4ELi64ELi4ELi4ELi64ELc84ELc84EKS2_S3_S2_EEvlllT_PT11_llS6_llS4_PT12_llPT13_lli.num_agpr, 0
	.set _ZN12_GLOBAL__N_127rocblas_gemm_batched_kernelI19rocblas_complex_numIdELi16ELi16ELi64ELi64ELi4ELi64ELi4ELi4ELi64ELc84ELc84EKS2_S3_S2_EEvlllT_PT11_llS6_llS4_PT12_llPT13_lli.numbered_sgpr, 52
	.set _ZN12_GLOBAL__N_127rocblas_gemm_batched_kernelI19rocblas_complex_numIdELi16ELi16ELi64ELi64ELi4ELi64ELi4ELi4ELi64ELc84ELc84EKS2_S3_S2_EEvlllT_PT11_llS6_llS4_PT12_llPT13_lli.num_named_barrier, 0
	.set _ZN12_GLOBAL__N_127rocblas_gemm_batched_kernelI19rocblas_complex_numIdELi16ELi16ELi64ELi64ELi4ELi64ELi4ELi4ELi64ELc84ELc84EKS2_S3_S2_EEvlllT_PT11_llS6_llS4_PT12_llPT13_lli.private_seg_size, 0
	.set _ZN12_GLOBAL__N_127rocblas_gemm_batched_kernelI19rocblas_complex_numIdELi16ELi16ELi64ELi64ELi4ELi64ELi4ELi4ELi64ELc84ELc84EKS2_S3_S2_EEvlllT_PT11_llS6_llS4_PT12_llPT13_lli.uses_vcc, 1
	.set _ZN12_GLOBAL__N_127rocblas_gemm_batched_kernelI19rocblas_complex_numIdELi16ELi16ELi64ELi64ELi4ELi64ELi4ELi4ELi64ELc84ELc84EKS2_S3_S2_EEvlllT_PT11_llS6_llS4_PT12_llPT13_lli.uses_flat_scratch, 0
	.set _ZN12_GLOBAL__N_127rocblas_gemm_batched_kernelI19rocblas_complex_numIdELi16ELi16ELi64ELi64ELi4ELi64ELi4ELi4ELi64ELc84ELc84EKS2_S3_S2_EEvlllT_PT11_llS6_llS4_PT12_llPT13_lli.has_dyn_sized_stack, 0
	.set _ZN12_GLOBAL__N_127rocblas_gemm_batched_kernelI19rocblas_complex_numIdELi16ELi16ELi64ELi64ELi4ELi64ELi4ELi4ELi64ELc84ELc84EKS2_S3_S2_EEvlllT_PT11_llS6_llS4_PT12_llPT13_lli.has_recursion, 0
	.set _ZN12_GLOBAL__N_127rocblas_gemm_batched_kernelI19rocblas_complex_numIdELi16ELi16ELi64ELi64ELi4ELi64ELi4ELi4ELi64ELc84ELc84EKS2_S3_S2_EEvlllT_PT11_llS6_llS4_PT12_llPT13_lli.has_indirect_call, 0
	.section	.AMDGPU.csdata,"",@progbits
; Kernel info:
; codeLenInByte = 7384
; TotalNumSgprs: 54
; NumVgprs: 138
; ScratchSize: 0
; MemoryBound: 0
; FloatMode: 240
; IeeeMode: 1
; LDSByteSize: 8192 bytes/workgroup (compile time only)
; SGPRBlocks: 0
; VGPRBlocks: 17
; NumSGPRsForWavesPerEU: 54
; NumVGPRsForWavesPerEU: 138
; Occupancy: 7
; WaveLimiterHint : 1
; COMPUTE_PGM_RSRC2:SCRATCH_EN: 0
; COMPUTE_PGM_RSRC2:USER_SGPR: 6
; COMPUTE_PGM_RSRC2:TRAP_HANDLER: 0
; COMPUTE_PGM_RSRC2:TGID_X_EN: 1
; COMPUTE_PGM_RSRC2:TGID_Y_EN: 1
; COMPUTE_PGM_RSRC2:TGID_Z_EN: 1
; COMPUTE_PGM_RSRC2:TIDIG_COMP_CNT: 1
	.section	.text._ZN12_GLOBAL__N_127rocblas_gemm_batched_kernelI19rocblas_complex_numIdELi16ELi16ELi64ELi64ELi4ELi64ELi4ELi4ELi64ELc67ELc67EKS2_S3_S2_EEvlllT_PT11_llS6_llS4_PT12_llPT13_lli,"axG",@progbits,_ZN12_GLOBAL__N_127rocblas_gemm_batched_kernelI19rocblas_complex_numIdELi16ELi16ELi64ELi64ELi4ELi64ELi4ELi4ELi64ELc67ELc67EKS2_S3_S2_EEvlllT_PT11_llS6_llS4_PT12_llPT13_lli,comdat
	.globl	_ZN12_GLOBAL__N_127rocblas_gemm_batched_kernelI19rocblas_complex_numIdELi16ELi16ELi64ELi64ELi4ELi64ELi4ELi4ELi64ELc67ELc67EKS2_S3_S2_EEvlllT_PT11_llS6_llS4_PT12_llPT13_lli ; -- Begin function _ZN12_GLOBAL__N_127rocblas_gemm_batched_kernelI19rocblas_complex_numIdELi16ELi16ELi64ELi64ELi4ELi64ELi4ELi4ELi64ELc67ELc67EKS2_S3_S2_EEvlllT_PT11_llS6_llS4_PT12_llPT13_lli
	.p2align	8
	.type	_ZN12_GLOBAL__N_127rocblas_gemm_batched_kernelI19rocblas_complex_numIdELi16ELi16ELi64ELi64ELi4ELi64ELi4ELi4ELi64ELc67ELc67EKS2_S3_S2_EEvlllT_PT11_llS6_llS4_PT12_llPT13_lli,@function
_ZN12_GLOBAL__N_127rocblas_gemm_batched_kernelI19rocblas_complex_numIdELi16ELi16ELi64ELi64ELi4ELi64ELi4ELi4ELi64ELc67ELc67EKS2_S3_S2_EEvlllT_PT11_llS6_llS4_PT12_llPT13_lli: ; @_ZN12_GLOBAL__N_127rocblas_gemm_batched_kernelI19rocblas_complex_numIdELi16ELi16ELi64ELi64ELi4ELi64ELi4ELi4ELi64ELc67ELc67EKS2_S3_S2_EEvlllT_PT11_llS6_llS4_PT12_llPT13_lli
; %bb.0:
	s_clause 0x1
	s_load_dwordx16 s[12:27], s[4:5], 0x10
	s_load_dwordx16 s[36:51], s[4:5], 0x50
	s_mov_b32 s2, s7
	s_ashr_i32 s7, s6, 31
	s_ashr_i32 s3, s2, 31
	s_lshl_b64 s[0:1], s[6:7], 6
	s_lshl_b64 s[2:3], s[2:3], 6
	s_waitcnt lgkmcnt(0)
	v_cmp_lt_i64_e64 s9, s[12:13], 1
	s_and_b32 vcc_lo, exec_lo, s9
	s_cbranch_vccnz .LBB533_3
; %bb.1:
	v_lshl_add_u32 v6, v1, 4, v0
	v_and_b32_e32 v7, 3, v0
	s_mul_i32 s7, s23, s8
	s_mul_hi_u32 s9, s22, s8
	v_mov_b32_e32 v76, 0
	v_lshrrev_b32_e32 v8, 2, v6
	v_and_b32_e32 v9, 63, v6
	v_lshrrev_b32_e32 v12, 6, v6
	v_lshlrev_b32_e32 v13, 4, v7
	s_add_i32 s7, s9, s7
	v_add_co_u32 v2, s6, v8, s2
	v_add_co_ci_u32_e64 v3, null, 0, s3, s6
	v_add_co_u32 v4, s6, s0, v9
	v_add_co_ci_u32_e64 v5, null, s1, 0, s6
	v_mad_u64_u32 v[2:3], null, s26, v7, v[2:3]
	v_mul_lo_u32 v10, s21, v4
	v_mul_lo_u32 v11, s20, v5
	v_mad_u64_u32 v[4:5], null, s20, v4, 0
	s_mul_i32 s6, s22, s8
	v_mov_b32_e32 v74, 0
	s_lshl_b64 s[6:7], s[6:7], 4
	v_mov_b32_e32 v16, 0
	v_mov_b32_e32 v14, 0
	;; [unrolled: 1-line block ×3, first 2 shown]
	v_add3_u32 v5, v5, v11, v10
	v_mad_u64_u32 v[6:7], null, s27, v7, v[3:4]
	v_lshlrev_b32_e32 v3, 4, v9
	v_lshl_or_b32 v7, v8, 6, v13
	v_lshlrev_b64 v[4:5], 4, v[4:5]
	v_mov_b32_e32 v10, 0
	v_mov_b32_e32 v18, 0
	v_lshl_or_b32 v92, v12, 10, v3
	v_mov_b32_e32 v3, v6
	v_lshlrev_b32_e32 v6, 4, v12
	v_add_co_u32 v4, vcc_lo, v4, s6
	v_add_co_ci_u32_e64 v5, null, s7, v5, vcc_lo
	s_mul_i32 s6, s37, s8
	v_add_co_u32 v4, vcc_lo, v4, v6
	v_add_co_ci_u32_e64 v5, null, 0, v5, vcc_lo
	s_mul_hi_u32 s7, s36, s8
	v_add_co_u32 v4, vcc_lo, s18, v4
	s_add_i32 s7, s7, s6
	s_mul_i32 s6, s36, s8
	v_lshlrev_b64 v[2:3], 4, v[2:3]
	v_add_co_ci_u32_e64 v5, null, s19, v5, vcc_lo
	s_lshl_b64 s[6:7], s[6:7], 4
	v_add_co_u32 v26, vcc_lo, v4, 8
	s_add_u32 s6, s24, s6
	v_add_co_ci_u32_e64 v27, null, 0, v5, vcc_lo
	s_addc_u32 s7, s25, s7
	v_add_co_u32 v2, vcc_lo, s6, v2
	v_add_co_ci_u32_e64 v3, null, s7, v3, vcc_lo
	v_mov_b32_e32 v12, 0
	v_add_co_u32 v28, vcc_lo, v2, 8
	v_mov_b32_e32 v40, 0
	v_mov_b32_e32 v38, 0
	;; [unrolled: 1-line block ×24, first 2 shown]
	v_lshlrev_b32_e32 v90, 4, v0
	v_lshl_add_u32 v91, v1, 6, 0x1000
	v_add_nc_u32_e32 v93, 0x1000, v7
	v_mov_b32_e32 v77, 0
	v_mov_b32_e32 v75, 0
	;; [unrolled: 1-line block ×32, first 2 shown]
	v_add_co_ci_u32_e64 v29, null, 0, v3, vcc_lo
	s_lshl_b64 s[6:7], s[26:27], 6
	s_mov_b64 s[10:11], 0
.LBB533_2:                              ; =>This Inner Loop Header: Depth=1
	global_load_dwordx4 v[2:5], v[26:27], off offset:-8
	s_add_u32 s10, s10, 4
	s_addc_u32 s11, s11, 0
	v_add_co_u32 v26, vcc_lo, v26, 64
	v_cmp_lt_i64_e64 s9, s[10:11], s[12:13]
	v_add_co_ci_u32_e64 v27, null, 0, v27, vcc_lo
	s_waitcnt vmcnt(0)
	v_xor_b32_e32 v5, 0x80000000, v5
	ds_write_b128 v92, v[2:5]
	global_load_dwordx4 v[2:5], v[28:29], off offset:-8
	v_add_co_u32 v28, vcc_lo, v28, s6
	v_add_co_ci_u32_e64 v29, null, s7, v29, vcc_lo
	s_and_b32 vcc_lo, exec_lo, s9
	s_waitcnt vmcnt(0)
	v_xor_b32_e32 v5, 0x80000000, v5
	ds_write_b128 v93, v[2:5]
	s_waitcnt lgkmcnt(0)
	s_barrier
	buffer_gl0_inv
	ds_read_b128 v[78:81], v91
	ds_read_b128 v[82:85], v91 offset:16
	ds_read_b128 v[6:9], v91 offset:32
	;; [unrolled: 1-line block ×3, first 2 shown]
	ds_read_b128 v[86:89], v90
	s_waitcnt lgkmcnt(0)
	v_mul_f64 v[94:95], v[80:81], v[88:89]
	v_mul_f64 v[96:97], v[78:79], v[88:89]
	v_fma_f64 v[94:95], v[78:79], v[86:87], -v[94:95]
	v_fma_f64 v[96:97], v[80:81], v[86:87], v[96:97]
	v_add_f64 v[98:99], v[48:49], v[94:95]
	v_add_f64 v[100:101], v[96:97], v[52:53]
	ds_read_b128 v[94:97], v90 offset:256
	s_waitcnt lgkmcnt(0)
	v_mul_f64 v[48:49], v[80:81], v[96:97]
	v_mul_f64 v[52:53], v[78:79], v[96:97]
	v_fma_f64 v[48:49], v[78:79], v[94:95], -v[48:49]
	v_fma_f64 v[52:53], v[80:81], v[94:95], v[52:53]
	v_add_f64 v[102:103], v[34:35], v[48:49]
	v_add_f64 v[104:105], v[52:53], v[36:37]
	ds_read_b128 v[34:37], v90 offset:512
	;; [unrolled: 8-line block ×4, first 2 shown]
	s_waitcnt lgkmcnt(0)
	v_mul_f64 v[48:49], v[24:25], v[88:89]
	v_mul_f64 v[52:53], v[22:23], v[88:89]
	v_fma_f64 v[48:49], v[22:23], v[86:87], -v[48:49]
	v_fma_f64 v[52:53], v[24:25], v[86:87], v[52:53]
	v_add_f64 v[70:71], v[70:71], v[48:49]
	v_mul_f64 v[48:49], v[24:25], v[96:97]
	v_add_f64 v[72:73], v[52:53], v[72:73]
	v_mul_f64 v[52:53], v[22:23], v[96:97]
	v_fma_f64 v[48:49], v[22:23], v[94:95], -v[48:49]
	v_fma_f64 v[52:53], v[24:25], v[94:95], v[52:53]
	v_add_f64 v[110:111], v[62:63], v[48:49]
	v_mul_f64 v[48:49], v[24:25], v[36:37]
	v_add_f64 v[112:113], v[52:53], v[64:65]
	;; [unrolled: 6-line block ×3, first 2 shown]
	v_fma_f64 v[48:49], v[22:23], v[30:31], -v[48:49]
	v_mul_f64 v[22:23], v[22:23], v[32:33]
	v_add_f64 v[118:119], v[42:43], v[48:49]
	v_fma_f64 v[22:23], v[24:25], v[30:31], v[22:23]
	v_add_f64 v[120:121], v[22:23], v[46:47]
	ds_read_b128 v[22:25], v91 offset:2048
	s_waitcnt lgkmcnt(0)
	v_mul_f64 v[42:43], v[24:25], v[88:89]
	v_mul_f64 v[46:47], v[22:23], v[88:89]
	v_fma_f64 v[42:43], v[22:23], v[86:87], -v[42:43]
	v_fma_f64 v[46:47], v[24:25], v[86:87], v[46:47]
	v_add_f64 v[122:123], v[66:67], v[42:43]
	v_mul_f64 v[42:43], v[24:25], v[96:97]
	v_add_f64 v[124:125], v[46:47], v[68:69]
	v_mul_f64 v[46:47], v[22:23], v[96:97]
	v_fma_f64 v[42:43], v[22:23], v[94:95], -v[42:43]
	v_fma_f64 v[46:47], v[24:25], v[94:95], v[46:47]
	v_add_f64 v[126:127], v[56:57], v[42:43]
	v_mul_f64 v[42:43], v[24:25], v[36:37]
	v_add_f64 v[128:129], v[46:47], v[60:61]
	;; [unrolled: 6-line block ×3, first 2 shown]
	v_fma_f64 v[42:43], v[22:23], v[30:31], -v[42:43]
	v_mul_f64 v[22:23], v[22:23], v[32:33]
	v_add_f64 v[134:135], v[38:39], v[42:43]
	v_fma_f64 v[22:23], v[24:25], v[30:31], v[22:23]
	v_add_f64 v[136:137], v[22:23], v[40:41]
	ds_read_b128 v[22:25], v91 offset:3072
	s_waitcnt lgkmcnt(0)
	v_mul_f64 v[38:39], v[24:25], v[88:89]
	v_mul_f64 v[40:41], v[22:23], v[88:89]
	v_fma_f64 v[38:39], v[22:23], v[86:87], -v[38:39]
	v_fma_f64 v[40:41], v[24:25], v[86:87], v[40:41]
	v_add_f64 v[58:59], v[18:19], v[38:39]
	v_add_f64 v[60:61], v[40:41], v[20:21]
	v_mul_f64 v[18:19], v[24:25], v[96:97]
	v_mul_f64 v[20:21], v[22:23], v[96:97]
	v_fma_f64 v[18:19], v[22:23], v[94:95], -v[18:19]
	v_fma_f64 v[20:21], v[24:25], v[94:95], v[20:21]
	v_add_f64 v[54:55], v[14:15], v[18:19]
	v_add_f64 v[56:57], v[20:21], v[16:17]
	v_mul_f64 v[14:15], v[24:25], v[36:37]
	v_mul_f64 v[16:17], v[22:23], v[36:37]
	ds_read_b128 v[18:21], v90 offset:1280
	v_fma_f64 v[14:15], v[22:23], v[34:35], -v[14:15]
	v_fma_f64 v[16:17], v[24:25], v[34:35], v[16:17]
	v_add_f64 v[50:51], v[10:11], v[14:15]
	v_add_f64 v[52:53], v[16:17], v[12:13]
	v_mul_f64 v[10:11], v[24:25], v[32:33]
	v_mul_f64 v[12:13], v[22:23], v[32:33]
	ds_read_b128 v[14:17], v90 offset:1536
	v_fma_f64 v[10:11], v[22:23], v[30:31], -v[10:11]
	v_fma_f64 v[12:13], v[24:25], v[30:31], v[12:13]
	ds_read_b128 v[22:25], v90 offset:1024
	v_add_f64 v[46:47], v[74:75], v[10:11]
	v_add_f64 v[48:49], v[12:13], v[76:77]
	s_waitcnt lgkmcnt(0)
	v_mul_f64 v[10:11], v[84:85], v[24:25]
	v_mul_f64 v[12:13], v[82:83], v[24:25]
	ds_read_b128 v[74:77], v91 offset:1040
	v_fma_f64 v[10:11], v[82:83], v[22:23], -v[10:11]
	v_fma_f64 v[12:13], v[84:85], v[22:23], v[12:13]
	s_waitcnt lgkmcnt(0)
	v_mul_f64 v[62:63], v[76:77], v[24:25]
	v_mul_f64 v[64:65], v[74:75], v[24:25]
	;; [unrolled: 1-line block ×4, first 2 shown]
	v_add_f64 v[42:43], v[98:99], v[10:11]
	v_add_f64 v[44:45], v[12:13], v[100:101]
	v_mul_f64 v[10:11], v[84:85], v[20:21]
	v_mul_f64 v[12:13], v[82:83], v[20:21]
	v_fma_f64 v[62:63], v[74:75], v[22:23], -v[62:63]
	v_fma_f64 v[64:65], v[76:77], v[22:23], v[64:65]
	v_fma_f64 v[66:67], v[74:75], v[18:19], -v[66:67]
	v_fma_f64 v[68:69], v[76:77], v[18:19], v[68:69]
	;; [unrolled: 2-line block ×3, first 2 shown]
	v_add_f64 v[62:63], v[70:71], v[62:63]
	v_mul_f64 v[70:71], v[76:77], v[16:17]
	v_add_f64 v[64:65], v[64:65], v[72:73]
	v_mul_f64 v[72:73], v[74:75], v[16:17]
	v_add_f64 v[66:67], v[110:111], v[66:67]
	v_add_f64 v[68:69], v[68:69], v[112:113]
	;; [unrolled: 1-line block ×4, first 2 shown]
	v_mul_f64 v[10:11], v[84:85], v[16:17]
	v_mul_f64 v[12:13], v[82:83], v[16:17]
	v_fma_f64 v[70:71], v[74:75], v[14:15], -v[70:71]
	v_fma_f64 v[72:73], v[76:77], v[14:15], v[72:73]
	v_fma_f64 v[10:11], v[82:83], v[14:15], -v[10:11]
	v_fma_f64 v[12:13], v[84:85], v[14:15], v[12:13]
	v_add_f64 v[70:71], v[114:115], v[70:71]
	v_add_f64 v[72:73], v[72:73], v[116:117]
	;; [unrolled: 1-line block ×4, first 2 shown]
	ds_read_b128 v[10:13], v90 offset:1792
	s_waitcnt lgkmcnt(0)
	v_mul_f64 v[30:31], v[84:85], v[12:13]
	v_mul_f64 v[32:33], v[82:83], v[12:13]
	v_fma_f64 v[30:31], v[82:83], v[10:11], -v[30:31]
	v_fma_f64 v[32:33], v[84:85], v[10:11], v[32:33]
	v_add_f64 v[30:31], v[78:79], v[30:31]
	v_mul_f64 v[78:79], v[76:77], v[12:13]
	v_add_f64 v[32:33], v[32:33], v[80:81]
	v_fma_f64 v[78:79], v[74:75], v[10:11], -v[78:79]
	v_mul_f64 v[74:75], v[74:75], v[12:13]
	v_fma_f64 v[76:77], v[76:77], v[10:11], v[74:75]
	v_add_f64 v[74:75], v[118:119], v[78:79]
	ds_read_b128 v[78:81], v91 offset:2064
	s_waitcnt lgkmcnt(0)
	v_mul_f64 v[82:83], v[80:81], v[24:25]
	v_mul_f64 v[86:87], v[80:81], v[20:21]
	;; [unrolled: 1-line block ×7, first 2 shown]
	v_add_f64 v[76:77], v[76:77], v[120:121]
	v_fma_f64 v[82:83], v[78:79], v[22:23], -v[82:83]
	v_fma_f64 v[86:87], v[78:79], v[18:19], -v[86:87]
	;; [unrolled: 1-line block ×4, first 2 shown]
	v_mul_f64 v[78:79], v[78:79], v[12:13]
	v_fma_f64 v[84:85], v[80:81], v[22:23], v[84:85]
	v_fma_f64 v[88:89], v[80:81], v[18:19], v[88:89]
	;; [unrolled: 1-line block ×3, first 2 shown]
	v_add_f64 v[82:83], v[122:123], v[82:83]
	v_add_f64 v[86:87], v[126:127], v[86:87]
	;; [unrolled: 1-line block ×4, first 2 shown]
	v_fma_f64 v[78:79], v[80:81], v[10:11], v[78:79]
	v_add_f64 v[84:85], v[84:85], v[124:125]
	v_add_f64 v[88:89], v[88:89], v[128:129]
	;; [unrolled: 1-line block ×4, first 2 shown]
	ds_read_b128 v[78:81], v91 offset:3088
	s_waitcnt lgkmcnt(0)
	v_mul_f64 v[102:103], v[80:81], v[24:25]
	v_mul_f64 v[24:25], v[78:79], v[24:25]
	v_fma_f64 v[102:103], v[78:79], v[22:23], -v[102:103]
	v_fma_f64 v[22:23], v[80:81], v[22:23], v[24:25]
	v_add_f64 v[58:59], v[58:59], v[102:103]
	v_add_f64 v[60:61], v[22:23], v[60:61]
	v_mul_f64 v[22:23], v[80:81], v[20:21]
	v_mul_f64 v[20:21], v[78:79], v[20:21]
	v_fma_f64 v[22:23], v[78:79], v[18:19], -v[22:23]
	v_fma_f64 v[18:19], v[80:81], v[18:19], v[20:21]
	v_add_f64 v[54:55], v[54:55], v[22:23]
	v_add_f64 v[56:57], v[18:19], v[56:57]
	;; [unrolled: 6-line block ×4, first 2 shown]
	ds_read_b128 v[10:13], v90 offset:2048
	s_waitcnt lgkmcnt(0)
	v_mul_f64 v[14:15], v[8:9], v[12:13]
	v_mul_f64 v[16:17], v[6:7], v[12:13]
	v_fma_f64 v[14:15], v[6:7], v[10:11], -v[14:15]
	v_fma_f64 v[16:17], v[8:9], v[10:11], v[16:17]
	v_add_f64 v[42:43], v[42:43], v[14:15]
	v_add_f64 v[44:45], v[16:17], v[44:45]
	ds_read_b128 v[14:17], v90 offset:2304
	s_waitcnt lgkmcnt(0)
	v_mul_f64 v[18:19], v[8:9], v[16:17]
	v_mul_f64 v[20:21], v[6:7], v[16:17]
	v_fma_f64 v[18:19], v[6:7], v[14:15], -v[18:19]
	v_fma_f64 v[20:21], v[8:9], v[14:15], v[20:21]
	v_add_f64 v[38:39], v[38:39], v[18:19]
	v_add_f64 v[40:41], v[20:21], v[40:41]
	;; [unrolled: 8-line block ×3, first 2 shown]
	ds_read_b128 v[22:25], v90 offset:2816
	s_waitcnt lgkmcnt(0)
	v_mul_f64 v[34:35], v[8:9], v[24:25]
	v_fma_f64 v[34:35], v[6:7], v[22:23], -v[34:35]
	v_mul_f64 v[6:7], v[6:7], v[24:25]
	v_add_f64 v[106:107], v[30:31], v[34:35]
	v_fma_f64 v[6:7], v[8:9], v[22:23], v[6:7]
	v_add_f64 v[108:109], v[6:7], v[32:33]
	ds_read_b128 v[6:9], v91 offset:1056
	s_waitcnt lgkmcnt(0)
	v_mul_f64 v[30:31], v[8:9], v[12:13]
	v_mul_f64 v[32:33], v[6:7], v[12:13]
	v_fma_f64 v[30:31], v[6:7], v[10:11], -v[30:31]
	v_fma_f64 v[32:33], v[8:9], v[10:11], v[32:33]
	v_add_f64 v[62:63], v[62:63], v[30:31]
	v_mul_f64 v[30:31], v[8:9], v[16:17]
	v_add_f64 v[64:65], v[32:33], v[64:65]
	v_mul_f64 v[32:33], v[6:7], v[16:17]
	v_fma_f64 v[30:31], v[6:7], v[14:15], -v[30:31]
	v_fma_f64 v[32:33], v[8:9], v[14:15], v[32:33]
	v_add_f64 v[66:67], v[66:67], v[30:31]
	v_mul_f64 v[30:31], v[8:9], v[20:21]
	v_add_f64 v[68:69], v[32:33], v[68:69]
	;; [unrolled: 6-line block ×3, first 2 shown]
	v_fma_f64 v[30:31], v[6:7], v[22:23], -v[30:31]
	v_mul_f64 v[6:7], v[6:7], v[24:25]
	v_add_f64 v[114:115], v[74:75], v[30:31]
	v_fma_f64 v[6:7], v[8:9], v[22:23], v[6:7]
	v_add_f64 v[116:117], v[6:7], v[76:77]
	ds_read_b128 v[6:9], v91 offset:2080
	s_waitcnt lgkmcnt(0)
	v_mul_f64 v[30:31], v[8:9], v[12:13]
	v_mul_f64 v[32:33], v[6:7], v[12:13]
	v_fma_f64 v[30:31], v[6:7], v[10:11], -v[30:31]
	v_fma_f64 v[32:33], v[8:9], v[10:11], v[32:33]
	v_add_f64 v[118:119], v[82:83], v[30:31]
	v_mul_f64 v[30:31], v[8:9], v[16:17]
	v_add_f64 v[120:121], v[32:33], v[84:85]
	v_mul_f64 v[32:33], v[6:7], v[16:17]
	v_fma_f64 v[30:31], v[6:7], v[14:15], -v[30:31]
	v_fma_f64 v[32:33], v[8:9], v[14:15], v[32:33]
	v_add_f64 v[122:123], v[86:87], v[30:31]
	v_mul_f64 v[30:31], v[8:9], v[20:21]
	v_add_f64 v[124:125], v[32:33], v[88:89]
	;; [unrolled: 6-line block ×3, first 2 shown]
	v_fma_f64 v[30:31], v[6:7], v[22:23], -v[30:31]
	v_mul_f64 v[6:7], v[6:7], v[24:25]
	v_add_f64 v[98:99], v[98:99], v[30:31]
	v_fma_f64 v[6:7], v[8:9], v[22:23], v[6:7]
	v_add_f64 v[100:101], v[6:7], v[100:101]
	ds_read_b128 v[6:9], v91 offset:3104
	s_waitcnt lgkmcnt(0)
	v_mul_f64 v[30:31], v[8:9], v[12:13]
	v_mul_f64 v[12:13], v[6:7], v[12:13]
	v_fma_f64 v[30:31], v[6:7], v[10:11], -v[30:31]
	v_fma_f64 v[10:11], v[8:9], v[10:11], v[12:13]
	v_mul_f64 v[12:13], v[6:7], v[16:17]
	v_add_f64 v[86:87], v[58:59], v[30:31]
	v_add_f64 v[88:89], v[10:11], v[60:61]
	v_mul_f64 v[10:11], v[8:9], v[16:17]
	v_fma_f64 v[12:13], v[8:9], v[14:15], v[12:13]
	v_fma_f64 v[10:11], v[6:7], v[14:15], -v[10:11]
	v_add_f64 v[84:85], v[12:13], v[56:57]
	v_mul_f64 v[12:13], v[6:7], v[20:21]
	ds_read_b128 v[14:17], v90 offset:3328
	v_add_f64 v[82:83], v[54:55], v[10:11]
	v_mul_f64 v[10:11], v[8:9], v[20:21]
	v_fma_f64 v[12:13], v[8:9], v[18:19], v[12:13]
	v_fma_f64 v[10:11], v[6:7], v[18:19], -v[10:11]
	ds_read_b128 v[18:21], v90 offset:3072
	v_add_f64 v[80:81], v[12:13], v[52:53]
	v_add_f64 v[78:79], v[50:51], v[10:11]
	v_mul_f64 v[10:11], v[8:9], v[24:25]
	v_fma_f64 v[10:11], v[6:7], v[22:23], -v[10:11]
	v_mul_f64 v[6:7], v[6:7], v[24:25]
	v_add_f64 v[74:75], v[46:47], v[10:11]
	v_fma_f64 v[6:7], v[8:9], v[22:23], v[6:7]
	s_waitcnt lgkmcnt(0)
	v_mul_f64 v[8:9], v[2:3], v[20:21]
	ds_read_b128 v[10:13], v90 offset:3584
	v_add_f64 v[76:77], v[6:7], v[48:49]
	v_mul_f64 v[6:7], v[4:5], v[20:21]
	v_fma_f64 v[8:9], v[4:5], v[18:19], v[8:9]
	v_fma_f64 v[6:7], v[2:3], v[18:19], -v[6:7]
	v_add_f64 v[52:53], v[8:9], v[44:45]
	v_mul_f64 v[8:9], v[2:3], v[16:17]
	v_add_f64 v[48:49], v[42:43], v[6:7]
	v_mul_f64 v[6:7], v[4:5], v[16:17]
	v_fma_f64 v[8:9], v[4:5], v[14:15], v[8:9]
	v_fma_f64 v[6:7], v[2:3], v[14:15], -v[6:7]
	v_add_f64 v[36:37], v[8:9], v[40:41]
	s_waitcnt lgkmcnt(0)
	v_mul_f64 v[8:9], v[2:3], v[12:13]
	v_add_f64 v[34:35], v[38:39], v[6:7]
	v_mul_f64 v[6:7], v[4:5], v[12:13]
	v_fma_f64 v[8:9], v[4:5], v[10:11], v[8:9]
	v_fma_f64 v[6:7], v[2:3], v[10:11], -v[6:7]
	v_add_f64 v[32:33], v[8:9], v[104:105]
	v_add_f64 v[30:31], v[102:103], v[6:7]
	ds_read_b128 v[6:9], v90 offset:3840
	s_waitcnt lgkmcnt(0)
	v_mul_f64 v[22:23], v[4:5], v[8:9]
	v_fma_f64 v[22:23], v[2:3], v[6:7], -v[22:23]
	v_mul_f64 v[2:3], v[2:3], v[8:9]
	v_add_f64 v[22:23], v[106:107], v[22:23]
	v_fma_f64 v[2:3], v[4:5], v[6:7], v[2:3]
	v_add_f64 v[24:25], v[2:3], v[108:109]
	ds_read_b128 v[2:5], v91 offset:1072
	s_waitcnt lgkmcnt(0)
	v_mul_f64 v[38:39], v[4:5], v[20:21]
	v_mul_f64 v[40:41], v[2:3], v[20:21]
	v_fma_f64 v[38:39], v[2:3], v[18:19], -v[38:39]
	v_fma_f64 v[40:41], v[4:5], v[18:19], v[40:41]
	v_add_f64 v[70:71], v[62:63], v[38:39]
	v_mul_f64 v[38:39], v[4:5], v[16:17]
	v_add_f64 v[72:73], v[40:41], v[64:65]
	v_mul_f64 v[40:41], v[2:3], v[16:17]
	v_fma_f64 v[38:39], v[2:3], v[14:15], -v[38:39]
	v_fma_f64 v[40:41], v[4:5], v[14:15], v[40:41]
	v_add_f64 v[62:63], v[66:67], v[38:39]
	v_mul_f64 v[38:39], v[4:5], v[12:13]
	v_add_f64 v[64:65], v[40:41], v[68:69]
	;; [unrolled: 6-line block ×3, first 2 shown]
	v_fma_f64 v[38:39], v[2:3], v[6:7], -v[38:39]
	v_mul_f64 v[2:3], v[2:3], v[8:9]
	v_add_f64 v[42:43], v[114:115], v[38:39]
	v_fma_f64 v[2:3], v[4:5], v[6:7], v[2:3]
	v_add_f64 v[46:47], v[2:3], v[116:117]
	ds_read_b128 v[2:5], v91 offset:2096
	s_waitcnt lgkmcnt(0)
	v_mul_f64 v[38:39], v[4:5], v[20:21]
	v_mul_f64 v[40:41], v[2:3], v[20:21]
	v_fma_f64 v[38:39], v[2:3], v[18:19], -v[38:39]
	v_fma_f64 v[40:41], v[4:5], v[18:19], v[40:41]
	v_add_f64 v[66:67], v[118:119], v[38:39]
	v_mul_f64 v[38:39], v[4:5], v[16:17]
	v_add_f64 v[68:69], v[40:41], v[120:121]
	v_mul_f64 v[40:41], v[2:3], v[16:17]
	v_fma_f64 v[38:39], v[2:3], v[14:15], -v[38:39]
	v_fma_f64 v[40:41], v[4:5], v[14:15], v[40:41]
	v_add_f64 v[56:57], v[122:123], v[38:39]
	v_mul_f64 v[38:39], v[4:5], v[12:13]
	v_add_f64 v[60:61], v[40:41], v[124:125]
	;; [unrolled: 6-line block ×3, first 2 shown]
	v_fma_f64 v[38:39], v[2:3], v[6:7], -v[38:39]
	v_mul_f64 v[2:3], v[2:3], v[8:9]
	v_add_f64 v[38:39], v[98:99], v[38:39]
	v_fma_f64 v[2:3], v[4:5], v[6:7], v[2:3]
	v_add_f64 v[40:41], v[2:3], v[100:101]
	ds_read_b128 v[2:5], v91 offset:3120
	s_waitcnt lgkmcnt(0)
	s_barrier
	buffer_gl0_inv
	v_mul_f64 v[94:95], v[4:5], v[20:21]
	v_mul_f64 v[20:21], v[2:3], v[20:21]
	v_fma_f64 v[94:95], v[2:3], v[18:19], -v[94:95]
	v_fma_f64 v[20:21], v[4:5], v[18:19], v[20:21]
	v_add_f64 v[18:19], v[86:87], v[94:95]
	v_mul_f64 v[86:87], v[4:5], v[16:17]
	v_mul_f64 v[16:17], v[2:3], v[16:17]
	v_add_f64 v[20:21], v[20:21], v[88:89]
	v_fma_f64 v[86:87], v[2:3], v[14:15], -v[86:87]
	v_fma_f64 v[16:17], v[4:5], v[14:15], v[16:17]
	v_add_f64 v[14:15], v[82:83], v[86:87]
	v_mul_f64 v[82:83], v[4:5], v[12:13]
	v_mul_f64 v[12:13], v[2:3], v[12:13]
	v_add_f64 v[16:17], v[16:17], v[84:85]
	v_fma_f64 v[82:83], v[2:3], v[10:11], -v[82:83]
	v_fma_f64 v[12:13], v[4:5], v[10:11], v[12:13]
	v_add_f64 v[10:11], v[78:79], v[82:83]
	v_mul_f64 v[78:79], v[4:5], v[8:9]
	v_add_f64 v[12:13], v[12:13], v[80:81]
	v_fma_f64 v[78:79], v[2:3], v[6:7], -v[78:79]
	v_mul_f64 v[2:3], v[2:3], v[8:9]
	v_add_f64 v[74:75], v[74:75], v[78:79]
	v_fma_f64 v[2:3], v[4:5], v[6:7], v[2:3]
	v_add_f64 v[76:77], v[2:3], v[76:77]
	s_cbranch_vccnz .LBB533_2
	s_branch .LBB533_4
.LBB533_3:
	v_mov_b32_e32 v48, 0
	v_mov_b32_e32 v52, 0
	;; [unrolled: 1-line block ×64, first 2 shown]
.LBB533_4:
	s_load_dwordx2 s[4:5], s[4:5], 0x90
	v_cmp_neq_f64_e64 s6, s[38:39], 0
	v_cmp_neq_f64_e64 s7, s[40:41], 0
	v_add_co_u32 v6, s2, s2, v1
	v_add_co_u32 v0, s0, s0, v0
	v_add_co_ci_u32_e64 v7, null, s3, 0, s2
	v_add_co_ci_u32_e64 v1, null, s1, 0, s0
	s_waitcnt lgkmcnt(0)
	s_mul_i32 s5, s5, s8
	s_mul_hi_u32 s9, s4, s8
	s_mul_i32 s4, s4, s8
	s_add_i32 s5, s9, s5
	s_lshl_b64 s[4:5], s[4:5], 4
	s_add_u32 s2, s48, s4
	s_addc_u32 s3, s49, s5
	s_or_b32 s4, s6, s7
	s_and_b32 vcc_lo, exec_lo, s4
	s_cbranch_vccnz .LBB533_6
; %bb.5:
	v_mul_f64 v[4:5], s[16:17], v[52:53]
	v_mul_f64 v[8:9], s[14:15], v[52:53]
	v_mul_lo_u32 v78, v7, s50
	v_mul_lo_u32 v79, v6, s51
	v_mad_u64_u32 v[2:3], null, v6, s50, 0
	v_mul_f64 v[26:27], s[16:17], v[36:37]
	v_mul_f64 v[28:29], s[14:15], v[36:37]
	;; [unrolled: 1-line block ×6, first 2 shown]
	v_add3_u32 v3, v3, v79, v78
	v_mul_f64 v[78:79], s[16:17], v[32:33]
	v_mul_f64 v[88:89], s[14:15], v[72:73]
	;; [unrolled: 1-line block ×4, first 2 shown]
	v_lshlrev_b64 v[2:3], 4, v[2:3]
	v_mul_f64 v[94:95], s[16:17], v[58:59]
	v_mul_f64 v[96:97], s[14:15], v[58:59]
	;; [unrolled: 1-line block ×4, first 2 shown]
	s_lshl_b64 s[0:1], s[50:51], 8
	v_add_co_u32 v104, vcc_lo, s2, v2
	v_add_co_ci_u32_e64 v105, null, s3, v3, vcc_lo
	v_fma_f64 v[2:3], s[14:15], v[48:49], -v[4:5]
	v_fma_f64 v[4:5], s[16:17], v[48:49], v[8:9]
	v_lshlrev_b64 v[8:9], 4, v[0:1]
	v_fma_f64 v[26:27], s[14:15], v[34:35], -v[26:27]
	v_fma_f64 v[28:29], s[16:17], v[34:35], v[28:29]
	v_fma_f64 v[80:81], s[16:17], v[30:31], v[80:81]
	v_fma_f64 v[82:83], s[14:15], v[22:23], -v[82:83]
	v_fma_f64 v[84:85], s[16:17], v[22:23], v[84:85]
	v_add_co_u32 v102, vcc_lo, v104, v8
	v_fma_f64 v[78:79], s[14:15], v[30:31], -v[78:79]
	v_add_co_ci_u32_e64 v103, null, v105, v9, vcc_lo
	v_fma_f64 v[86:87], s[14:15], v[70:71], -v[86:87]
	v_fma_f64 v[88:89], s[16:17], v[70:71], v[88:89]
	v_fma_f64 v[90:91], s[14:15], v[62:63], -v[90:91]
	v_fma_f64 v[92:93], s[16:17], v[62:63], v[92:93]
	;; [unrolled: 2-line block ×3, first 2 shown]
	v_add_co_u32 v106, vcc_lo, v104, s0
	v_add_co_ci_u32_e64 v107, null, s1, v105, vcc_lo
	global_store_dwordx4 v[102:103], v[2:5], off
	v_fma_f64 v[2:3], s[14:15], v[42:43], -v[98:99]
	v_fma_f64 v[4:5], s[16:17], v[42:43], v[100:101]
	v_add_co_u32 v104, vcc_lo, v106, v8
	v_add_co_ci_u32_e64 v105, null, v107, v9, vcc_lo
	global_store_dwordx4 v[102:103], v[26:29], off offset:256
	global_store_dwordx4 v[102:103], v[78:81], off offset:512
	global_store_dwordx4 v[102:103], v[82:85], off offset:768
	global_store_dwordx4 v[104:105], v[86:89], off
	global_store_dwordx4 v[104:105], v[90:93], off offset:256
	global_store_dwordx4 v[104:105], v[94:97], off offset:512
	v_mul_f64 v[26:27], s[16:17], v[68:69]
	v_mul_f64 v[28:29], s[14:15], v[68:69]
	;; [unrolled: 1-line block ×12, first 2 shown]
	global_store_dwordx4 v[104:105], v[2:5], off offset:768
	v_mul_f64 v[2:3], s[16:17], v[76:77]
	v_mul_f64 v[4:5], s[14:15], v[76:77]
	;; [unrolled: 1-line block ×4, first 2 shown]
	v_add_co_u32 v104, vcc_lo, v106, s0
	v_add_co_ci_u32_e64 v105, null, s1, v107, vcc_lo
	v_fma_f64 v[26:27], s[14:15], v[66:67], -v[26:27]
	v_fma_f64 v[28:29], s[16:17], v[66:67], v[28:29]
	v_fma_f64 v[78:79], s[14:15], v[56:57], -v[78:79]
	v_fma_f64 v[80:81], s[16:17], v[56:57], v[80:81]
	;; [unrolled: 2-line block ×6, first 2 shown]
	v_add_co_u32 v106, vcc_lo, v104, s0
	v_fma_f64 v[102:103], s[14:15], v[74:75], -v[2:3]
	v_fma_f64 v[2:3], s[16:17], v[74:75], v[4:5]
	v_fma_f64 v[98:99], s[14:15], v[10:11], -v[98:99]
	v_fma_f64 v[100:101], s[16:17], v[10:11], v[100:101]
	v_add_co_ci_u32_e64 v107, null, s1, v105, vcc_lo
	v_add_co_u32 v4, vcc_lo, v104, v8
	v_add_co_ci_u32_e64 v5, null, v105, v9, vcc_lo
	v_add_co_u32 v8, vcc_lo, v106, v8
	v_add_co_ci_u32_e64 v9, null, v107, v9, vcc_lo
	global_store_dwordx4 v[4:5], v[26:29], off
	global_store_dwordx4 v[4:5], v[78:81], off offset:256
	global_store_dwordx4 v[4:5], v[82:85], off offset:512
	global_store_dwordx4 v[4:5], v[86:89], off offset:768
	global_store_dwordx4 v[8:9], v[90:93], off
	v_add_co_u32 v4, vcc_lo, 0x300, v8
	v_add_co_ci_u32_e64 v5, null, 0, v9, vcc_lo
	global_store_dwordx4 v[8:9], v[94:97], off offset:256
	global_store_dwordx4 v[8:9], v[98:101], off offset:512
	global_store_dwordx2 v[8:9], v[102:103], off offset:768
	s_cbranch_execz .LBB533_7
	s_branch .LBB533_8
.LBB533_6:
                                        ; implicit-def: $vgpr2_vgpr3
                                        ; implicit-def: $vgpr4_vgpr5
.LBB533_7:
	v_mul_lo_u32 v4, v7, s44
	v_mul_lo_u32 v5, v6, s45
	v_mad_u64_u32 v[2:3], null, v6, s44, 0
	s_mul_i32 s1, s47, s8
	s_mul_hi_u32 s4, s46, s8
	s_mul_i32 s0, s46, s8
	s_add_i32 s1, s4, s1
	v_mul_f64 v[26:27], s[16:17], v[52:53]
	s_lshl_b64 s[0:1], s[0:1], 4
	v_add3_u32 v3, v3, v5, v4
	s_add_u32 s0, s42, s0
	v_lshlrev_b64 v[4:5], 4, v[0:1]
	s_addc_u32 s1, s43, s1
	v_mul_f64 v[28:29], s[14:15], v[52:53]
	v_lshlrev_b64 v[2:3], 4, v[2:3]
	v_add_co_u32 v78, vcc_lo, s0, v2
	v_add_co_ci_u32_e64 v79, null, s1, v3, vcc_lo
	s_lshl_b64 s[0:1], s[44:45], 8
	v_add_co_u32 v8, vcc_lo, v78, v4
	v_add_co_ci_u32_e64 v9, null, v79, v5, vcc_lo
	v_fma_f64 v[26:27], s[14:15], v[48:49], -v[26:27]
	global_load_dwordx4 v[0:3], v[8:9], off
	v_fma_f64 v[28:29], s[16:17], v[48:49], v[28:29]
	s_waitcnt vmcnt(0)
	v_mul_f64 v[52:53], s[40:41], v[2:3]
	v_mul_f64 v[2:3], s[38:39], v[2:3]
	v_fma_f64 v[48:49], s[38:39], v[0:1], -v[52:53]
	v_fma_f64 v[2:3], s[40:41], v[0:1], v[2:3]
	v_mul_lo_u32 v0, v7, s50
	v_mul_lo_u32 v1, v6, s51
	v_mad_u64_u32 v[6:7], null, v6, s50, 0
	v_add3_u32 v7, v7, v1, v0
	v_lshlrev_b64 v[6:7], 4, v[6:7]
	v_add_f64 v[0:1], v[26:27], v[48:49]
	v_add_f64 v[2:3], v[28:29], v[2:3]
	v_add_co_u32 v48, vcc_lo, s2, v6
	v_add_co_ci_u32_e64 v49, null, s3, v7, vcc_lo
	v_mul_f64 v[26:27], s[16:17], v[36:37]
	v_add_co_u32 v6, vcc_lo, v48, v4
	v_add_co_ci_u32_e64 v7, null, v49, v5, vcc_lo
	v_mul_f64 v[28:29], s[14:15], v[36:37]
	s_lshl_b64 s[2:3], s[50:51], 8
	global_store_dwordx4 v[6:7], v[0:3], off
	global_load_dwordx4 v[0:3], v[8:9], off offset:256
	v_fma_f64 v[26:27], s[14:15], v[34:35], -v[26:27]
	v_fma_f64 v[28:29], s[16:17], v[34:35], v[28:29]
	s_waitcnt vmcnt(0)
	v_mul_f64 v[36:37], s[40:41], v[2:3]
	v_mul_f64 v[2:3], s[38:39], v[2:3]
	v_fma_f64 v[34:35], s[38:39], v[0:1], -v[36:37]
	v_fma_f64 v[2:3], s[40:41], v[0:1], v[2:3]
	v_add_f64 v[0:1], v[26:27], v[34:35]
	v_add_f64 v[2:3], v[28:29], v[2:3]
	v_mul_f64 v[26:27], s[16:17], v[32:33]
	v_mul_f64 v[28:29], s[14:15], v[32:33]
	global_store_dwordx4 v[6:7], v[0:3], off offset:256
	global_load_dwordx4 v[0:3], v[8:9], off offset:512
	v_fma_f64 v[26:27], s[14:15], v[30:31], -v[26:27]
	v_fma_f64 v[28:29], s[16:17], v[30:31], v[28:29]
	s_waitcnt vmcnt(0)
	v_mul_f64 v[32:33], s[40:41], v[2:3]
	v_mul_f64 v[2:3], s[38:39], v[2:3]
	v_fma_f64 v[30:31], s[38:39], v[0:1], -v[32:33]
	v_fma_f64 v[2:3], s[40:41], v[0:1], v[2:3]
	v_add_f64 v[0:1], v[26:27], v[30:31]
	v_add_f64 v[2:3], v[28:29], v[2:3]
	v_add_co_u32 v28, vcc_lo, v78, s0
	v_add_co_ci_u32_e64 v29, null, s1, v79, vcc_lo
	global_store_dwordx4 v[6:7], v[0:3], off offset:512
	global_load_dwordx4 v[0:3], v[8:9], off offset:768
	v_mul_f64 v[8:9], s[16:17], v[24:25]
	v_mul_f64 v[24:25], s[14:15], v[24:25]
	v_fma_f64 v[8:9], s[14:15], v[22:23], -v[8:9]
	v_fma_f64 v[22:23], s[16:17], v[22:23], v[24:25]
	s_waitcnt vmcnt(0)
	v_mul_f64 v[26:27], s[40:41], v[2:3]
	v_mul_f64 v[2:3], s[38:39], v[2:3]
	v_fma_f64 v[24:25], s[38:39], v[0:1], -v[26:27]
	v_fma_f64 v[2:3], s[40:41], v[0:1], v[2:3]
	v_add_f64 v[0:1], v[8:9], v[24:25]
	v_add_f64 v[2:3], v[22:23], v[2:3]
	v_add_co_u32 v8, vcc_lo, v28, v4
	v_add_co_ci_u32_e64 v9, null, v29, v5, vcc_lo
	v_mul_f64 v[22:23], s[14:15], v[72:73]
	v_add_co_u32 v30, vcc_lo, v48, s2
	v_add_co_ci_u32_e64 v31, null, s3, v49, vcc_lo
	global_store_dwordx4 v[6:7], v[0:3], off offset:768
	global_load_dwordx4 v[0:3], v[8:9], off
	v_mul_f64 v[6:7], s[16:17], v[72:73]
	v_fma_f64 v[22:23], s[16:17], v[70:71], v[22:23]
	v_fma_f64 v[6:7], s[14:15], v[70:71], -v[6:7]
	s_waitcnt vmcnt(0)
	v_mul_f64 v[24:25], s[40:41], v[2:3]
	v_mul_f64 v[2:3], s[38:39], v[2:3]
	v_fma_f64 v[24:25], s[38:39], v[0:1], -v[24:25]
	v_fma_f64 v[2:3], s[40:41], v[0:1], v[2:3]
	v_add_f64 v[0:1], v[6:7], v[24:25]
	v_add_f64 v[2:3], v[22:23], v[2:3]
	v_add_co_u32 v6, vcc_lo, v30, v4
	v_add_co_ci_u32_e64 v7, null, v31, v5, vcc_lo
	v_mul_f64 v[22:23], s[16:17], v[64:65]
	v_mul_f64 v[24:25], s[14:15], v[64:65]
	v_add_co_u32 v28, vcc_lo, v28, s0
	v_add_co_ci_u32_e64 v29, null, s1, v29, vcc_lo
	global_store_dwordx4 v[6:7], v[0:3], off
	global_load_dwordx4 v[0:3], v[8:9], off offset:256
	v_fma_f64 v[22:23], s[14:15], v[62:63], -v[22:23]
	v_fma_f64 v[24:25], s[16:17], v[62:63], v[24:25]
	s_waitcnt vmcnt(0)
	v_mul_f64 v[26:27], s[40:41], v[2:3]
	v_mul_f64 v[2:3], s[38:39], v[2:3]
	v_fma_f64 v[26:27], s[38:39], v[0:1], -v[26:27]
	v_fma_f64 v[2:3], s[40:41], v[0:1], v[2:3]
	v_add_f64 v[0:1], v[22:23], v[26:27]
	v_add_f64 v[2:3], v[24:25], v[2:3]
	v_mul_f64 v[22:23], s[16:17], v[58:59]
	v_mul_f64 v[24:25], s[14:15], v[58:59]
	global_store_dwordx4 v[6:7], v[0:3], off offset:256
	global_load_dwordx4 v[0:3], v[8:9], off offset:512
	v_fma_f64 v[22:23], s[14:15], v[54:55], -v[22:23]
	v_fma_f64 v[24:25], s[16:17], v[54:55], v[24:25]
	s_waitcnt vmcnt(0)
	v_mul_f64 v[26:27], s[40:41], v[2:3]
	v_mul_f64 v[2:3], s[38:39], v[2:3]
	v_fma_f64 v[26:27], s[38:39], v[0:1], -v[26:27]
	v_fma_f64 v[2:3], s[40:41], v[0:1], v[2:3]
	v_add_f64 v[0:1], v[22:23], v[26:27]
	v_add_f64 v[2:3], v[24:25], v[2:3]
	v_mul_f64 v[22:23], s[14:15], v[46:47]
	global_store_dwordx4 v[6:7], v[0:3], off offset:512
	global_load_dwordx4 v[0:3], v[8:9], off offset:768
	v_mul_f64 v[8:9], s[16:17], v[46:47]
	v_fma_f64 v[22:23], s[16:17], v[42:43], v[22:23]
	v_fma_f64 v[8:9], s[14:15], v[42:43], -v[8:9]
	s_waitcnt vmcnt(0)
	v_mul_f64 v[24:25], s[40:41], v[2:3]
	v_mul_f64 v[2:3], s[38:39], v[2:3]
	v_fma_f64 v[24:25], s[38:39], v[0:1], -v[24:25]
	v_fma_f64 v[2:3], s[40:41], v[0:1], v[2:3]
	v_add_f64 v[0:1], v[8:9], v[24:25]
	v_add_f64 v[2:3], v[22:23], v[2:3]
	v_add_co_u32 v8, vcc_lo, v28, v4
	v_add_co_ci_u32_e64 v9, null, v29, v5, vcc_lo
	v_mul_f64 v[22:23], s[14:15], v[68:69]
	v_add_co_u32 v30, vcc_lo, v30, s2
	v_add_co_ci_u32_e64 v31, null, s3, v31, vcc_lo
	global_store_dwordx4 v[6:7], v[0:3], off offset:768
	global_load_dwordx4 v[0:3], v[8:9], off
	v_mul_f64 v[6:7], s[16:17], v[68:69]
	v_fma_f64 v[22:23], s[16:17], v[66:67], v[22:23]
	v_fma_f64 v[6:7], s[14:15], v[66:67], -v[6:7]
	s_waitcnt vmcnt(0)
	v_mul_f64 v[24:25], s[40:41], v[2:3]
	v_mul_f64 v[2:3], s[38:39], v[2:3]
	v_fma_f64 v[24:25], s[38:39], v[0:1], -v[24:25]
	v_fma_f64 v[2:3], s[40:41], v[0:1], v[2:3]
	v_add_f64 v[0:1], v[6:7], v[24:25]
	v_add_f64 v[2:3], v[22:23], v[2:3]
	v_add_co_u32 v6, vcc_lo, v30, v4
	v_add_co_ci_u32_e64 v7, null, v31, v5, vcc_lo
	v_mul_f64 v[22:23], s[16:17], v[60:61]
	v_mul_f64 v[24:25], s[14:15], v[60:61]
	global_store_dwordx4 v[6:7], v[0:3], off
	global_load_dwordx4 v[0:3], v[8:9], off offset:256
	v_fma_f64 v[22:23], s[14:15], v[56:57], -v[22:23]
	v_fma_f64 v[24:25], s[16:17], v[56:57], v[24:25]
	s_waitcnt vmcnt(0)
	v_mul_f64 v[26:27], s[40:41], v[2:3]
	v_mul_f64 v[2:3], s[38:39], v[2:3]
	v_fma_f64 v[26:27], s[38:39], v[0:1], -v[26:27]
	v_fma_f64 v[2:3], s[40:41], v[0:1], v[2:3]
	v_add_f64 v[0:1], v[22:23], v[26:27]
	v_add_f64 v[2:3], v[24:25], v[2:3]
	v_mul_f64 v[22:23], s[16:17], v[50:51]
	v_mul_f64 v[24:25], s[14:15], v[50:51]
	global_store_dwordx4 v[6:7], v[0:3], off offset:256
	global_load_dwordx4 v[0:3], v[8:9], off offset:512
	v_fma_f64 v[22:23], s[14:15], v[44:45], -v[22:23]
	v_fma_f64 v[24:25], s[16:17], v[44:45], v[24:25]
	s_waitcnt vmcnt(0)
	v_mul_f64 v[26:27], s[40:41], v[2:3]
	v_mul_f64 v[2:3], s[38:39], v[2:3]
	v_fma_f64 v[26:27], s[38:39], v[0:1], -v[26:27]
	v_fma_f64 v[2:3], s[40:41], v[0:1], v[2:3]
	v_add_f64 v[0:1], v[22:23], v[26:27]
	v_add_f64 v[2:3], v[24:25], v[2:3]
	v_mul_f64 v[22:23], s[14:15], v[40:41]
	global_store_dwordx4 v[6:7], v[0:3], off offset:512
	global_load_dwordx4 v[0:3], v[8:9], off offset:768
	v_mul_f64 v[8:9], s[16:17], v[40:41]
	v_fma_f64 v[22:23], s[16:17], v[38:39], v[22:23]
	v_fma_f64 v[8:9], s[14:15], v[38:39], -v[8:9]
	s_waitcnt vmcnt(0)
	v_mul_f64 v[24:25], s[40:41], v[2:3]
	v_mul_f64 v[2:3], s[38:39], v[2:3]
	v_fma_f64 v[24:25], s[38:39], v[0:1], -v[24:25]
	v_fma_f64 v[2:3], s[40:41], v[0:1], v[2:3]
	v_add_f64 v[0:1], v[8:9], v[24:25]
	v_add_f64 v[2:3], v[22:23], v[2:3]
	v_add_co_u32 v8, vcc_lo, v28, s0
	v_add_co_ci_u32_e64 v9, null, s1, v29, vcc_lo
	v_add_co_u32 v8, vcc_lo, v8, v4
	v_add_co_ci_u32_e64 v9, null, v9, v5, vcc_lo
	global_store_dwordx4 v[6:7], v[0:3], off offset:768
	global_load_dwordx4 v[0:3], v[8:9], off
	v_mul_f64 v[6:7], s[16:17], v[20:21]
	v_mul_f64 v[20:21], s[14:15], v[20:21]
	v_fma_f64 v[6:7], s[14:15], v[18:19], -v[6:7]
	v_fma_f64 v[18:19], s[16:17], v[18:19], v[20:21]
	s_waitcnt vmcnt(0)
	v_mul_f64 v[22:23], s[40:41], v[2:3]
	v_mul_f64 v[2:3], s[38:39], v[2:3]
	v_fma_f64 v[20:21], s[38:39], v[0:1], -v[22:23]
	v_fma_f64 v[2:3], s[40:41], v[0:1], v[2:3]
	v_add_f64 v[0:1], v[6:7], v[20:21]
	v_add_f64 v[2:3], v[18:19], v[2:3]
	v_add_co_u32 v6, vcc_lo, v30, s2
	v_add_co_ci_u32_e64 v7, null, s3, v31, vcc_lo
	v_add_co_u32 v6, vcc_lo, v6, v4
	v_add_co_ci_u32_e64 v7, null, v7, v5, vcc_lo
	v_mul_f64 v[4:5], s[16:17], v[16:17]
	v_mul_f64 v[16:17], s[14:15], v[16:17]
	global_store_dwordx4 v[6:7], v[0:3], off
	global_load_dwordx4 v[0:3], v[8:9], off offset:256
	v_fma_f64 v[4:5], s[14:15], v[14:15], -v[4:5]
	v_fma_f64 v[14:15], s[16:17], v[14:15], v[16:17]
	s_waitcnt vmcnt(0)
	v_mul_f64 v[18:19], s[40:41], v[2:3]
	v_mul_f64 v[2:3], s[38:39], v[2:3]
	v_fma_f64 v[16:17], s[38:39], v[0:1], -v[18:19]
	v_fma_f64 v[2:3], s[40:41], v[0:1], v[2:3]
	v_add_f64 v[0:1], v[4:5], v[16:17]
	v_add_f64 v[2:3], v[14:15], v[2:3]
	v_mul_f64 v[4:5], s[16:17], v[12:13]
	v_mul_f64 v[12:13], s[14:15], v[12:13]
	global_store_dwordx4 v[6:7], v[0:3], off offset:256
	global_load_dwordx4 v[0:3], v[8:9], off offset:512
	v_fma_f64 v[4:5], s[14:15], v[10:11], -v[4:5]
	v_fma_f64 v[10:11], s[16:17], v[10:11], v[12:13]
	s_waitcnt vmcnt(0)
	v_mul_f64 v[14:15], s[40:41], v[2:3]
	v_mul_f64 v[2:3], s[38:39], v[2:3]
	v_fma_f64 v[12:13], s[38:39], v[0:1], -v[14:15]
	v_fma_f64 v[2:3], s[40:41], v[0:1], v[2:3]
	v_add_f64 v[0:1], v[4:5], v[12:13]
	v_add_f64 v[2:3], v[10:11], v[2:3]
	v_mul_f64 v[4:5], s[16:17], v[76:77]
	global_store_dwordx4 v[6:7], v[0:3], off offset:512
	global_load_dwordx4 v[0:3], v[8:9], off offset:768
	v_mul_f64 v[8:9], s[14:15], v[76:77]
	v_fma_f64 v[4:5], s[14:15], v[74:75], -v[4:5]
	v_fma_f64 v[8:9], s[16:17], v[74:75], v[8:9]
	s_waitcnt vmcnt(0)
	v_mul_f64 v[10:11], s[40:41], v[2:3]
	v_mul_f64 v[2:3], s[38:39], v[2:3]
	v_fma_f64 v[10:11], s[38:39], v[0:1], -v[10:11]
	v_fma_f64 v[0:1], s[40:41], v[0:1], v[2:3]
	v_add_f64 v[10:11], v[4:5], v[10:11]
	v_add_f64 v[2:3], v[8:9], v[0:1]
	v_add_co_u32 v4, vcc_lo, 0x300, v6
	v_add_co_ci_u32_e64 v5, null, 0, v7, vcc_lo
	global_store_dwordx2 v[6:7], v[10:11], off offset:768
.LBB533_8:
	global_store_dwordx2 v[4:5], v[2:3], off offset:8
	s_endpgm
	.section	.rodata,"a",@progbits
	.p2align	6, 0x0
	.amdhsa_kernel _ZN12_GLOBAL__N_127rocblas_gemm_batched_kernelI19rocblas_complex_numIdELi16ELi16ELi64ELi64ELi4ELi64ELi4ELi4ELi64ELc67ELc67EKS2_S3_S2_EEvlllT_PT11_llS6_llS4_PT12_llPT13_lli
		.amdhsa_group_segment_fixed_size 8192
		.amdhsa_private_segment_fixed_size 0
		.amdhsa_kernarg_size 156
		.amdhsa_user_sgpr_count 6
		.amdhsa_user_sgpr_private_segment_buffer 1
		.amdhsa_user_sgpr_dispatch_ptr 0
		.amdhsa_user_sgpr_queue_ptr 0
		.amdhsa_user_sgpr_kernarg_segment_ptr 1
		.amdhsa_user_sgpr_dispatch_id 0
		.amdhsa_user_sgpr_flat_scratch_init 0
		.amdhsa_user_sgpr_private_segment_size 0
		.amdhsa_wavefront_size32 1
		.amdhsa_uses_dynamic_stack 0
		.amdhsa_system_sgpr_private_segment_wavefront_offset 0
		.amdhsa_system_sgpr_workgroup_id_x 1
		.amdhsa_system_sgpr_workgroup_id_y 1
		.amdhsa_system_sgpr_workgroup_id_z 1
		.amdhsa_system_sgpr_workgroup_info 0
		.amdhsa_system_vgpr_workitem_id 1
		.amdhsa_next_free_vgpr 138
		.amdhsa_next_free_sgpr 52
		.amdhsa_reserve_vcc 1
		.amdhsa_reserve_flat_scratch 0
		.amdhsa_float_round_mode_32 0
		.amdhsa_float_round_mode_16_64 0
		.amdhsa_float_denorm_mode_32 3
		.amdhsa_float_denorm_mode_16_64 3
		.amdhsa_dx10_clamp 1
		.amdhsa_ieee_mode 1
		.amdhsa_fp16_overflow 0
		.amdhsa_workgroup_processor_mode 1
		.amdhsa_memory_ordered 1
		.amdhsa_forward_progress 1
		.amdhsa_shared_vgpr_count 0
		.amdhsa_exception_fp_ieee_invalid_op 0
		.amdhsa_exception_fp_denorm_src 0
		.amdhsa_exception_fp_ieee_div_zero 0
		.amdhsa_exception_fp_ieee_overflow 0
		.amdhsa_exception_fp_ieee_underflow 0
		.amdhsa_exception_fp_ieee_inexact 0
		.amdhsa_exception_int_div_zero 0
	.end_amdhsa_kernel
	.section	.text._ZN12_GLOBAL__N_127rocblas_gemm_batched_kernelI19rocblas_complex_numIdELi16ELi16ELi64ELi64ELi4ELi64ELi4ELi4ELi64ELc67ELc67EKS2_S3_S2_EEvlllT_PT11_llS6_llS4_PT12_llPT13_lli,"axG",@progbits,_ZN12_GLOBAL__N_127rocblas_gemm_batched_kernelI19rocblas_complex_numIdELi16ELi16ELi64ELi64ELi4ELi64ELi4ELi4ELi64ELc67ELc67EKS2_S3_S2_EEvlllT_PT11_llS6_llS4_PT12_llPT13_lli,comdat
.Lfunc_end533:
	.size	_ZN12_GLOBAL__N_127rocblas_gemm_batched_kernelI19rocblas_complex_numIdELi16ELi16ELi64ELi64ELi4ELi64ELi4ELi4ELi64ELc67ELc67EKS2_S3_S2_EEvlllT_PT11_llS6_llS4_PT12_llPT13_lli, .Lfunc_end533-_ZN12_GLOBAL__N_127rocblas_gemm_batched_kernelI19rocblas_complex_numIdELi16ELi16ELi64ELi64ELi4ELi64ELi4ELi4ELi64ELc67ELc67EKS2_S3_S2_EEvlllT_PT11_llS6_llS4_PT12_llPT13_lli
                                        ; -- End function
	.set _ZN12_GLOBAL__N_127rocblas_gemm_batched_kernelI19rocblas_complex_numIdELi16ELi16ELi64ELi64ELi4ELi64ELi4ELi4ELi64ELc67ELc67EKS2_S3_S2_EEvlllT_PT11_llS6_llS4_PT12_llPT13_lli.num_vgpr, 138
	.set _ZN12_GLOBAL__N_127rocblas_gemm_batched_kernelI19rocblas_complex_numIdELi16ELi16ELi64ELi64ELi4ELi64ELi4ELi4ELi64ELc67ELc67EKS2_S3_S2_EEvlllT_PT11_llS6_llS4_PT12_llPT13_lli.num_agpr, 0
	.set _ZN12_GLOBAL__N_127rocblas_gemm_batched_kernelI19rocblas_complex_numIdELi16ELi16ELi64ELi64ELi4ELi64ELi4ELi4ELi64ELc67ELc67EKS2_S3_S2_EEvlllT_PT11_llS6_llS4_PT12_llPT13_lli.numbered_sgpr, 52
	.set _ZN12_GLOBAL__N_127rocblas_gemm_batched_kernelI19rocblas_complex_numIdELi16ELi16ELi64ELi64ELi4ELi64ELi4ELi4ELi64ELc67ELc67EKS2_S3_S2_EEvlllT_PT11_llS6_llS4_PT12_llPT13_lli.num_named_barrier, 0
	.set _ZN12_GLOBAL__N_127rocblas_gemm_batched_kernelI19rocblas_complex_numIdELi16ELi16ELi64ELi64ELi4ELi64ELi4ELi4ELi64ELc67ELc67EKS2_S3_S2_EEvlllT_PT11_llS6_llS4_PT12_llPT13_lli.private_seg_size, 0
	.set _ZN12_GLOBAL__N_127rocblas_gemm_batched_kernelI19rocblas_complex_numIdELi16ELi16ELi64ELi64ELi4ELi64ELi4ELi4ELi64ELc67ELc67EKS2_S3_S2_EEvlllT_PT11_llS6_llS4_PT12_llPT13_lli.uses_vcc, 1
	.set _ZN12_GLOBAL__N_127rocblas_gemm_batched_kernelI19rocblas_complex_numIdELi16ELi16ELi64ELi64ELi4ELi64ELi4ELi4ELi64ELc67ELc67EKS2_S3_S2_EEvlllT_PT11_llS6_llS4_PT12_llPT13_lli.uses_flat_scratch, 0
	.set _ZN12_GLOBAL__N_127rocblas_gemm_batched_kernelI19rocblas_complex_numIdELi16ELi16ELi64ELi64ELi4ELi64ELi4ELi4ELi64ELc67ELc67EKS2_S3_S2_EEvlllT_PT11_llS6_llS4_PT12_llPT13_lli.has_dyn_sized_stack, 0
	.set _ZN12_GLOBAL__N_127rocblas_gemm_batched_kernelI19rocblas_complex_numIdELi16ELi16ELi64ELi64ELi4ELi64ELi4ELi4ELi64ELc67ELc67EKS2_S3_S2_EEvlllT_PT11_llS6_llS4_PT12_llPT13_lli.has_recursion, 0
	.set _ZN12_GLOBAL__N_127rocblas_gemm_batched_kernelI19rocblas_complex_numIdELi16ELi16ELi64ELi64ELi4ELi64ELi4ELi4ELi64ELc67ELc67EKS2_S3_S2_EEvlllT_PT11_llS6_llS4_PT12_llPT13_lli.has_indirect_call, 0
	.section	.AMDGPU.csdata,"",@progbits
; Kernel info:
; codeLenInByte = 7432
; TotalNumSgprs: 54
; NumVgprs: 138
; ScratchSize: 0
; MemoryBound: 0
; FloatMode: 240
; IeeeMode: 1
; LDSByteSize: 8192 bytes/workgroup (compile time only)
; SGPRBlocks: 0
; VGPRBlocks: 17
; NumSGPRsForWavesPerEU: 54
; NumVGPRsForWavesPerEU: 138
; Occupancy: 7
; WaveLimiterHint : 1
; COMPUTE_PGM_RSRC2:SCRATCH_EN: 0
; COMPUTE_PGM_RSRC2:USER_SGPR: 6
; COMPUTE_PGM_RSRC2:TRAP_HANDLER: 0
; COMPUTE_PGM_RSRC2:TGID_X_EN: 1
; COMPUTE_PGM_RSRC2:TGID_Y_EN: 1
; COMPUTE_PGM_RSRC2:TGID_Z_EN: 1
; COMPUTE_PGM_RSRC2:TIDIG_COMP_CNT: 1
	.section	.text._ZN12_GLOBAL__N_127rocblas_gemm_batched_kernelI19rocblas_complex_numIdELi16ELi16ELi64ELi64ELi4ELi64ELi4ELi4ELi64ELc67ELc78EKS2_S3_S2_EEvlllT_PT11_llS6_llS4_PT12_llPT13_lli,"axG",@progbits,_ZN12_GLOBAL__N_127rocblas_gemm_batched_kernelI19rocblas_complex_numIdELi16ELi16ELi64ELi64ELi4ELi64ELi4ELi4ELi64ELc67ELc78EKS2_S3_S2_EEvlllT_PT11_llS6_llS4_PT12_llPT13_lli,comdat
	.globl	_ZN12_GLOBAL__N_127rocblas_gemm_batched_kernelI19rocblas_complex_numIdELi16ELi16ELi64ELi64ELi4ELi64ELi4ELi4ELi64ELc67ELc78EKS2_S3_S2_EEvlllT_PT11_llS6_llS4_PT12_llPT13_lli ; -- Begin function _ZN12_GLOBAL__N_127rocblas_gemm_batched_kernelI19rocblas_complex_numIdELi16ELi16ELi64ELi64ELi4ELi64ELi4ELi4ELi64ELc67ELc78EKS2_S3_S2_EEvlllT_PT11_llS6_llS4_PT12_llPT13_lli
	.p2align	8
	.type	_ZN12_GLOBAL__N_127rocblas_gemm_batched_kernelI19rocblas_complex_numIdELi16ELi16ELi64ELi64ELi4ELi64ELi4ELi4ELi64ELc67ELc78EKS2_S3_S2_EEvlllT_PT11_llS6_llS4_PT12_llPT13_lli,@function
_ZN12_GLOBAL__N_127rocblas_gemm_batched_kernelI19rocblas_complex_numIdELi16ELi16ELi64ELi64ELi4ELi64ELi4ELi4ELi64ELc67ELc78EKS2_S3_S2_EEvlllT_PT11_llS6_llS4_PT12_llPT13_lli: ; @_ZN12_GLOBAL__N_127rocblas_gemm_batched_kernelI19rocblas_complex_numIdELi16ELi16ELi64ELi64ELi4ELi64ELi4ELi4ELi64ELc67ELc78EKS2_S3_S2_EEvlllT_PT11_llS6_llS4_PT12_llPT13_lli
; %bb.0:
	s_clause 0x1
	s_load_dwordx16 s[12:27], s[4:5], 0x10
	s_load_dwordx16 s[36:51], s[4:5], 0x50
	s_mov_b32 s2, s7
	s_ashr_i32 s7, s6, 31
	s_ashr_i32 s3, s2, 31
	s_lshl_b64 s[0:1], s[6:7], 6
	s_lshl_b64 s[2:3], s[2:3], 6
	s_waitcnt lgkmcnt(0)
	v_cmp_lt_i64_e64 s9, s[12:13], 1
	s_and_b32 vcc_lo, exec_lo, s9
	s_cbranch_vccnz .LBB534_3
; %bb.1:
	v_lshl_add_u32 v4, v1, 4, v0
	v_and_b32_e32 v6, 3, v0
	s_mul_i32 s7, s23, s8
	s_mul_hi_u32 s9, s22, s8
	v_mov_b32_e32 v76, 0
	v_and_b32_e32 v5, 63, v4
	v_lshrrev_b32_e32 v9, 2, v4
	v_lshlrev_b32_e32 v6, 4, v6
	s_add_i32 s7, s9, s7
	v_lshrrev_b32_e32 v10, 6, v4
	v_add_co_u32 v2, s6, s0, v5
	v_add_co_ci_u32_e64 v3, null, s1, 0, s6
	v_lshlrev_b32_e32 v4, 4, v5
	v_mul_lo_u32 v7, s21, v2
	v_lshl_or_b32 v5, v9, 6, v6
	v_mul_lo_u32 v8, s20, v3
	v_mad_u64_u32 v[2:3], null, s20, v2, 0
	v_lshl_or_b32 v91, v10, 10, v4
	v_add_nc_u32_e32 v92, 0x1000, v5
	s_mul_i32 s6, s22, s8
	v_mov_b32_e32 v74, 0
	s_lshl_b64 s[6:7], s[6:7], 4
	v_mov_b32_e32 v12, 0
	v_add3_u32 v3, v3, v8, v7
	v_add_co_u32 v7, s9, v9, s2
	v_add_co_ci_u32_e64 v8, null, 0, s3, s9
	v_lshlrev_b64 v[2:3], 4, v[2:3]
	v_mul_lo_u32 v9, s27, v7
	v_mad_u64_u32 v[4:5], null, s26, v7, 0
	v_mul_lo_u32 v8, s26, v8
	v_lshlrev_b32_e32 v7, 4, v10
	v_add_co_u32 v2, vcc_lo, v2, s6
	v_add_co_ci_u32_e64 v3, null, s7, v3, vcc_lo
	s_mul_i32 s6, s37, s8
	v_add_co_u32 v7, vcc_lo, v2, v7
	v_add3_u32 v5, v5, v8, v9
	v_add_co_ci_u32_e64 v8, null, 0, v3, vcc_lo
	s_mul_hi_u32 s7, s36, s8
	v_mov_b32_e32 v10, 0
	v_lshlrev_b64 v[2:3], 4, v[4:5]
	s_add_i32 s7, s7, s6
	s_mul_i32 s6, s36, s8
	v_add_co_u32 v4, vcc_lo, s18, v7
	s_lshl_b64 s[6:7], s[6:7], 4
	v_add_co_ci_u32_e64 v5, null, s19, v8, vcc_lo
	v_add_co_u32 v2, vcc_lo, v2, s6
	v_add_co_ci_u32_e64 v3, null, s7, v3, vcc_lo
	v_add_co_u32 v26, vcc_lo, v4, 8
	;; [unrolled: 2-line block ×3, first 2 shown]
	v_add_co_ci_u32_e64 v3, null, 0, v3, vcc_lo
	v_mov_b32_e32 v16, 0
	v_add_co_u32 v28, vcc_lo, s24, v2
	v_mov_b32_e32 v14, 0
	v_mov_b32_e32 v20, 0
	;; [unrolled: 1-line block ×27, first 2 shown]
	v_lshlrev_b32_e32 v90, 4, v0
	v_lshl_add_u32 v93, v1, 6, 0x1000
	v_mov_b32_e32 v77, 0
	v_mov_b32_e32 v75, 0
	;; [unrolled: 1-line block ×32, first 2 shown]
	v_add_co_ci_u32_e64 v29, null, s25, v3, vcc_lo
	s_mov_b64 s[6:7], 0
.LBB534_2:                              ; =>This Inner Loop Header: Depth=1
	global_load_dwordx4 v[2:5], v[26:27], off offset:-8
	s_add_u32 s6, s6, 4
	s_addc_u32 s7, s7, 0
	v_add_co_u32 v26, vcc_lo, v26, 64
	v_cmp_lt_i64_e64 s9, s[6:7], s[12:13]
	v_add_co_ci_u32_e64 v27, null, 0, v27, vcc_lo
	s_waitcnt vmcnt(0)
	v_xor_b32_e32 v5, 0x80000000, v5
	ds_write_b128 v91, v[2:5]
	global_load_dwordx4 v[2:5], v[28:29], off
	v_add_co_u32 v28, vcc_lo, v28, 64
	v_add_co_ci_u32_e64 v29, null, 0, v29, vcc_lo
	s_and_b32 vcc_lo, exec_lo, s9
	s_waitcnt vmcnt(0)
	ds_write2_b64 v92, v[2:3], v[4:5] offset1:1
	s_waitcnt lgkmcnt(0)
	s_barrier
	buffer_gl0_inv
	ds_read_b128 v[78:81], v93
	ds_read_b128 v[82:85], v93 offset:16
	ds_read_b128 v[6:9], v93 offset:32
	;; [unrolled: 1-line block ×3, first 2 shown]
	ds_read_b128 v[86:89], v90
	s_waitcnt lgkmcnt(0)
	v_mul_f64 v[94:95], v[80:81], v[88:89]
	v_mul_f64 v[96:97], v[78:79], v[88:89]
	v_fma_f64 v[94:95], v[78:79], v[86:87], -v[94:95]
	v_fma_f64 v[96:97], v[80:81], v[86:87], v[96:97]
	v_add_f64 v[98:99], v[48:49], v[94:95]
	v_add_f64 v[100:101], v[96:97], v[52:53]
	ds_read_b128 v[94:97], v90 offset:256
	s_waitcnt lgkmcnt(0)
	v_mul_f64 v[48:49], v[80:81], v[96:97]
	v_mul_f64 v[52:53], v[78:79], v[96:97]
	v_fma_f64 v[48:49], v[78:79], v[94:95], -v[48:49]
	v_fma_f64 v[52:53], v[80:81], v[94:95], v[52:53]
	v_add_f64 v[102:103], v[34:35], v[48:49]
	v_add_f64 v[104:105], v[52:53], v[36:37]
	ds_read_b128 v[34:37], v90 offset:512
	s_waitcnt lgkmcnt(0)
	v_mul_f64 v[48:49], v[80:81], v[36:37]
	v_mul_f64 v[52:53], v[78:79], v[36:37]
	v_fma_f64 v[48:49], v[78:79], v[34:35], -v[48:49]
	v_fma_f64 v[52:53], v[80:81], v[34:35], v[52:53]
	v_add_f64 v[106:107], v[30:31], v[48:49]
	v_add_f64 v[108:109], v[52:53], v[32:33]
	ds_read_b128 v[30:33], v90 offset:768
	s_waitcnt lgkmcnt(0)
	v_mul_f64 v[48:49], v[80:81], v[32:33]
	v_mul_f64 v[52:53], v[78:79], v[32:33]
	v_fma_f64 v[48:49], v[78:79], v[30:31], -v[48:49]
	v_fma_f64 v[52:53], v[80:81], v[30:31], v[52:53]
	v_add_f64 v[78:79], v[22:23], v[48:49]
	v_add_f64 v[80:81], v[52:53], v[24:25]
	ds_read_b128 v[22:25], v93 offset:1024
	s_waitcnt lgkmcnt(0)
	v_mul_f64 v[48:49], v[24:25], v[88:89]
	v_mul_f64 v[52:53], v[22:23], v[88:89]
	v_fma_f64 v[48:49], v[22:23], v[86:87], -v[48:49]
	v_fma_f64 v[52:53], v[24:25], v[86:87], v[52:53]
	v_add_f64 v[70:71], v[70:71], v[48:49]
	v_mul_f64 v[48:49], v[24:25], v[96:97]
	v_add_f64 v[72:73], v[52:53], v[72:73]
	v_mul_f64 v[52:53], v[22:23], v[96:97]
	v_fma_f64 v[48:49], v[22:23], v[94:95], -v[48:49]
	v_fma_f64 v[52:53], v[24:25], v[94:95], v[52:53]
	v_add_f64 v[110:111], v[62:63], v[48:49]
	v_mul_f64 v[48:49], v[24:25], v[36:37]
	v_add_f64 v[112:113], v[52:53], v[64:65]
	v_mul_f64 v[52:53], v[22:23], v[36:37]
	v_fma_f64 v[48:49], v[22:23], v[34:35], -v[48:49]
	v_fma_f64 v[52:53], v[24:25], v[34:35], v[52:53]
	v_add_f64 v[114:115], v[54:55], v[48:49]
	v_mul_f64 v[48:49], v[24:25], v[32:33]
	v_add_f64 v[116:117], v[52:53], v[58:59]
	v_fma_f64 v[48:49], v[22:23], v[30:31], -v[48:49]
	v_mul_f64 v[22:23], v[22:23], v[32:33]
	v_add_f64 v[118:119], v[42:43], v[48:49]
	v_fma_f64 v[22:23], v[24:25], v[30:31], v[22:23]
	v_add_f64 v[120:121], v[22:23], v[46:47]
	ds_read_b128 v[22:25], v93 offset:2048
	s_waitcnt lgkmcnt(0)
	v_mul_f64 v[42:43], v[24:25], v[88:89]
	v_mul_f64 v[46:47], v[22:23], v[88:89]
	v_fma_f64 v[42:43], v[22:23], v[86:87], -v[42:43]
	v_fma_f64 v[46:47], v[24:25], v[86:87], v[46:47]
	v_add_f64 v[122:123], v[66:67], v[42:43]
	v_mul_f64 v[42:43], v[24:25], v[96:97]
	v_add_f64 v[124:125], v[46:47], v[68:69]
	v_mul_f64 v[46:47], v[22:23], v[96:97]
	v_fma_f64 v[42:43], v[22:23], v[94:95], -v[42:43]
	v_fma_f64 v[46:47], v[24:25], v[94:95], v[46:47]
	v_add_f64 v[126:127], v[56:57], v[42:43]
	v_mul_f64 v[42:43], v[24:25], v[36:37]
	v_add_f64 v[128:129], v[46:47], v[60:61]
	v_mul_f64 v[46:47], v[22:23], v[36:37]
	v_fma_f64 v[42:43], v[22:23], v[34:35], -v[42:43]
	v_fma_f64 v[46:47], v[24:25], v[34:35], v[46:47]
	v_add_f64 v[130:131], v[44:45], v[42:43]
	v_mul_f64 v[42:43], v[24:25], v[32:33]
	v_add_f64 v[132:133], v[46:47], v[50:51]
	v_fma_f64 v[42:43], v[22:23], v[30:31], -v[42:43]
	v_mul_f64 v[22:23], v[22:23], v[32:33]
	v_add_f64 v[134:135], v[38:39], v[42:43]
	v_fma_f64 v[22:23], v[24:25], v[30:31], v[22:23]
	v_add_f64 v[136:137], v[22:23], v[40:41]
	ds_read_b128 v[22:25], v93 offset:3072
	s_waitcnt lgkmcnt(0)
	v_mul_f64 v[38:39], v[24:25], v[88:89]
	v_mul_f64 v[40:41], v[22:23], v[88:89]
	v_fma_f64 v[38:39], v[22:23], v[86:87], -v[38:39]
	v_fma_f64 v[40:41], v[24:25], v[86:87], v[40:41]
	v_add_f64 v[58:59], v[18:19], v[38:39]
	v_add_f64 v[60:61], v[40:41], v[20:21]
	v_mul_f64 v[18:19], v[24:25], v[96:97]
	v_mul_f64 v[20:21], v[22:23], v[96:97]
	v_fma_f64 v[18:19], v[22:23], v[94:95], -v[18:19]
	v_fma_f64 v[20:21], v[24:25], v[94:95], v[20:21]
	v_add_f64 v[54:55], v[14:15], v[18:19]
	v_add_f64 v[56:57], v[20:21], v[16:17]
	v_mul_f64 v[14:15], v[24:25], v[36:37]
	v_mul_f64 v[16:17], v[22:23], v[36:37]
	ds_read_b128 v[18:21], v90 offset:1280
	v_fma_f64 v[14:15], v[22:23], v[34:35], -v[14:15]
	v_fma_f64 v[16:17], v[24:25], v[34:35], v[16:17]
	v_add_f64 v[50:51], v[10:11], v[14:15]
	v_add_f64 v[52:53], v[16:17], v[12:13]
	v_mul_f64 v[10:11], v[24:25], v[32:33]
	v_mul_f64 v[12:13], v[22:23], v[32:33]
	ds_read_b128 v[14:17], v90 offset:1536
	v_fma_f64 v[10:11], v[22:23], v[30:31], -v[10:11]
	v_fma_f64 v[12:13], v[24:25], v[30:31], v[12:13]
	ds_read_b128 v[22:25], v90 offset:1024
	v_add_f64 v[46:47], v[74:75], v[10:11]
	v_add_f64 v[48:49], v[12:13], v[76:77]
	s_waitcnt lgkmcnt(0)
	v_mul_f64 v[10:11], v[84:85], v[24:25]
	v_mul_f64 v[12:13], v[82:83], v[24:25]
	ds_read_b128 v[74:77], v93 offset:1040
	v_fma_f64 v[10:11], v[82:83], v[22:23], -v[10:11]
	v_fma_f64 v[12:13], v[84:85], v[22:23], v[12:13]
	s_waitcnt lgkmcnt(0)
	v_mul_f64 v[62:63], v[76:77], v[24:25]
	v_mul_f64 v[64:65], v[74:75], v[24:25]
	;; [unrolled: 1-line block ×4, first 2 shown]
	v_add_f64 v[42:43], v[98:99], v[10:11]
	v_add_f64 v[44:45], v[12:13], v[100:101]
	v_mul_f64 v[10:11], v[84:85], v[20:21]
	v_mul_f64 v[12:13], v[82:83], v[20:21]
	v_fma_f64 v[62:63], v[74:75], v[22:23], -v[62:63]
	v_fma_f64 v[64:65], v[76:77], v[22:23], v[64:65]
	v_fma_f64 v[66:67], v[74:75], v[18:19], -v[66:67]
	v_fma_f64 v[68:69], v[76:77], v[18:19], v[68:69]
	;; [unrolled: 2-line block ×3, first 2 shown]
	v_add_f64 v[62:63], v[70:71], v[62:63]
	v_mul_f64 v[70:71], v[76:77], v[16:17]
	v_add_f64 v[64:65], v[64:65], v[72:73]
	v_mul_f64 v[72:73], v[74:75], v[16:17]
	v_add_f64 v[66:67], v[110:111], v[66:67]
	v_add_f64 v[68:69], v[68:69], v[112:113]
	;; [unrolled: 1-line block ×4, first 2 shown]
	v_mul_f64 v[10:11], v[84:85], v[16:17]
	v_mul_f64 v[12:13], v[82:83], v[16:17]
	v_fma_f64 v[70:71], v[74:75], v[14:15], -v[70:71]
	v_fma_f64 v[72:73], v[76:77], v[14:15], v[72:73]
	v_fma_f64 v[10:11], v[82:83], v[14:15], -v[10:11]
	v_fma_f64 v[12:13], v[84:85], v[14:15], v[12:13]
	v_add_f64 v[70:71], v[114:115], v[70:71]
	v_add_f64 v[72:73], v[72:73], v[116:117]
	v_add_f64 v[34:35], v[106:107], v[10:11]
	v_add_f64 v[36:37], v[12:13], v[108:109]
	ds_read_b128 v[10:13], v90 offset:1792
	s_waitcnt lgkmcnt(0)
	v_mul_f64 v[30:31], v[84:85], v[12:13]
	v_mul_f64 v[32:33], v[82:83], v[12:13]
	v_fma_f64 v[30:31], v[82:83], v[10:11], -v[30:31]
	v_fma_f64 v[32:33], v[84:85], v[10:11], v[32:33]
	v_add_f64 v[30:31], v[78:79], v[30:31]
	v_mul_f64 v[78:79], v[76:77], v[12:13]
	v_add_f64 v[32:33], v[32:33], v[80:81]
	v_fma_f64 v[78:79], v[74:75], v[10:11], -v[78:79]
	v_mul_f64 v[74:75], v[74:75], v[12:13]
	v_fma_f64 v[76:77], v[76:77], v[10:11], v[74:75]
	v_add_f64 v[74:75], v[118:119], v[78:79]
	ds_read_b128 v[78:81], v93 offset:2064
	s_waitcnt lgkmcnt(0)
	v_mul_f64 v[82:83], v[80:81], v[24:25]
	v_mul_f64 v[86:87], v[80:81], v[20:21]
	;; [unrolled: 1-line block ×7, first 2 shown]
	v_add_f64 v[76:77], v[76:77], v[120:121]
	v_fma_f64 v[82:83], v[78:79], v[22:23], -v[82:83]
	v_fma_f64 v[86:87], v[78:79], v[18:19], -v[86:87]
	;; [unrolled: 1-line block ×4, first 2 shown]
	v_mul_f64 v[78:79], v[78:79], v[12:13]
	v_fma_f64 v[84:85], v[80:81], v[22:23], v[84:85]
	v_fma_f64 v[88:89], v[80:81], v[18:19], v[88:89]
	;; [unrolled: 1-line block ×3, first 2 shown]
	v_add_f64 v[82:83], v[122:123], v[82:83]
	v_add_f64 v[86:87], v[126:127], v[86:87]
	;; [unrolled: 1-line block ×4, first 2 shown]
	v_fma_f64 v[78:79], v[80:81], v[10:11], v[78:79]
	v_add_f64 v[84:85], v[84:85], v[124:125]
	v_add_f64 v[88:89], v[88:89], v[128:129]
	;; [unrolled: 1-line block ×4, first 2 shown]
	ds_read_b128 v[78:81], v93 offset:3088
	s_waitcnt lgkmcnt(0)
	v_mul_f64 v[102:103], v[80:81], v[24:25]
	v_mul_f64 v[24:25], v[78:79], v[24:25]
	v_fma_f64 v[102:103], v[78:79], v[22:23], -v[102:103]
	v_fma_f64 v[22:23], v[80:81], v[22:23], v[24:25]
	v_add_f64 v[58:59], v[58:59], v[102:103]
	v_add_f64 v[60:61], v[22:23], v[60:61]
	v_mul_f64 v[22:23], v[80:81], v[20:21]
	v_mul_f64 v[20:21], v[78:79], v[20:21]
	v_fma_f64 v[22:23], v[78:79], v[18:19], -v[22:23]
	v_fma_f64 v[18:19], v[80:81], v[18:19], v[20:21]
	v_add_f64 v[54:55], v[54:55], v[22:23]
	v_add_f64 v[56:57], v[18:19], v[56:57]
	;; [unrolled: 6-line block ×4, first 2 shown]
	ds_read_b128 v[10:13], v90 offset:2048
	s_waitcnt lgkmcnt(0)
	v_mul_f64 v[14:15], v[8:9], v[12:13]
	v_mul_f64 v[16:17], v[6:7], v[12:13]
	v_fma_f64 v[14:15], v[6:7], v[10:11], -v[14:15]
	v_fma_f64 v[16:17], v[8:9], v[10:11], v[16:17]
	v_add_f64 v[42:43], v[42:43], v[14:15]
	v_add_f64 v[44:45], v[16:17], v[44:45]
	ds_read_b128 v[14:17], v90 offset:2304
	s_waitcnt lgkmcnt(0)
	v_mul_f64 v[18:19], v[8:9], v[16:17]
	v_mul_f64 v[20:21], v[6:7], v[16:17]
	v_fma_f64 v[18:19], v[6:7], v[14:15], -v[18:19]
	v_fma_f64 v[20:21], v[8:9], v[14:15], v[20:21]
	v_add_f64 v[38:39], v[38:39], v[18:19]
	v_add_f64 v[40:41], v[20:21], v[40:41]
	;; [unrolled: 8-line block ×3, first 2 shown]
	ds_read_b128 v[22:25], v90 offset:2816
	s_waitcnt lgkmcnt(0)
	v_mul_f64 v[34:35], v[8:9], v[24:25]
	v_fma_f64 v[34:35], v[6:7], v[22:23], -v[34:35]
	v_mul_f64 v[6:7], v[6:7], v[24:25]
	v_add_f64 v[106:107], v[30:31], v[34:35]
	v_fma_f64 v[6:7], v[8:9], v[22:23], v[6:7]
	v_add_f64 v[108:109], v[6:7], v[32:33]
	ds_read_b128 v[6:9], v93 offset:1056
	s_waitcnt lgkmcnt(0)
	v_mul_f64 v[30:31], v[8:9], v[12:13]
	v_mul_f64 v[32:33], v[6:7], v[12:13]
	v_fma_f64 v[30:31], v[6:7], v[10:11], -v[30:31]
	v_fma_f64 v[32:33], v[8:9], v[10:11], v[32:33]
	v_add_f64 v[62:63], v[62:63], v[30:31]
	v_mul_f64 v[30:31], v[8:9], v[16:17]
	v_add_f64 v[64:65], v[32:33], v[64:65]
	v_mul_f64 v[32:33], v[6:7], v[16:17]
	v_fma_f64 v[30:31], v[6:7], v[14:15], -v[30:31]
	v_fma_f64 v[32:33], v[8:9], v[14:15], v[32:33]
	v_add_f64 v[66:67], v[66:67], v[30:31]
	v_mul_f64 v[30:31], v[8:9], v[20:21]
	v_add_f64 v[68:69], v[32:33], v[68:69]
	;; [unrolled: 6-line block ×3, first 2 shown]
	v_fma_f64 v[30:31], v[6:7], v[22:23], -v[30:31]
	v_mul_f64 v[6:7], v[6:7], v[24:25]
	v_add_f64 v[114:115], v[74:75], v[30:31]
	v_fma_f64 v[6:7], v[8:9], v[22:23], v[6:7]
	v_add_f64 v[116:117], v[6:7], v[76:77]
	ds_read_b128 v[6:9], v93 offset:2080
	s_waitcnt lgkmcnt(0)
	v_mul_f64 v[30:31], v[8:9], v[12:13]
	v_mul_f64 v[32:33], v[6:7], v[12:13]
	v_fma_f64 v[30:31], v[6:7], v[10:11], -v[30:31]
	v_fma_f64 v[32:33], v[8:9], v[10:11], v[32:33]
	v_add_f64 v[118:119], v[82:83], v[30:31]
	v_mul_f64 v[30:31], v[8:9], v[16:17]
	v_add_f64 v[120:121], v[32:33], v[84:85]
	v_mul_f64 v[32:33], v[6:7], v[16:17]
	v_fma_f64 v[30:31], v[6:7], v[14:15], -v[30:31]
	v_fma_f64 v[32:33], v[8:9], v[14:15], v[32:33]
	v_add_f64 v[122:123], v[86:87], v[30:31]
	v_mul_f64 v[30:31], v[8:9], v[20:21]
	v_add_f64 v[124:125], v[32:33], v[88:89]
	;; [unrolled: 6-line block ×3, first 2 shown]
	v_fma_f64 v[30:31], v[6:7], v[22:23], -v[30:31]
	v_mul_f64 v[6:7], v[6:7], v[24:25]
	v_add_f64 v[98:99], v[98:99], v[30:31]
	v_fma_f64 v[6:7], v[8:9], v[22:23], v[6:7]
	v_add_f64 v[100:101], v[6:7], v[100:101]
	ds_read_b128 v[6:9], v93 offset:3104
	s_waitcnt lgkmcnt(0)
	v_mul_f64 v[30:31], v[8:9], v[12:13]
	v_mul_f64 v[12:13], v[6:7], v[12:13]
	v_fma_f64 v[30:31], v[6:7], v[10:11], -v[30:31]
	v_fma_f64 v[10:11], v[8:9], v[10:11], v[12:13]
	v_mul_f64 v[12:13], v[6:7], v[16:17]
	v_add_f64 v[86:87], v[58:59], v[30:31]
	v_add_f64 v[88:89], v[10:11], v[60:61]
	v_mul_f64 v[10:11], v[8:9], v[16:17]
	v_fma_f64 v[12:13], v[8:9], v[14:15], v[12:13]
	v_fma_f64 v[10:11], v[6:7], v[14:15], -v[10:11]
	v_add_f64 v[84:85], v[12:13], v[56:57]
	v_mul_f64 v[12:13], v[6:7], v[20:21]
	ds_read_b128 v[14:17], v90 offset:3328
	v_add_f64 v[82:83], v[54:55], v[10:11]
	v_mul_f64 v[10:11], v[8:9], v[20:21]
	v_fma_f64 v[12:13], v[8:9], v[18:19], v[12:13]
	v_fma_f64 v[10:11], v[6:7], v[18:19], -v[10:11]
	ds_read_b128 v[18:21], v90 offset:3072
	v_add_f64 v[80:81], v[12:13], v[52:53]
	v_add_f64 v[78:79], v[50:51], v[10:11]
	v_mul_f64 v[10:11], v[8:9], v[24:25]
	v_fma_f64 v[10:11], v[6:7], v[22:23], -v[10:11]
	v_mul_f64 v[6:7], v[6:7], v[24:25]
	v_add_f64 v[74:75], v[46:47], v[10:11]
	v_fma_f64 v[6:7], v[8:9], v[22:23], v[6:7]
	s_waitcnt lgkmcnt(0)
	v_mul_f64 v[8:9], v[2:3], v[20:21]
	ds_read_b128 v[10:13], v90 offset:3584
	v_add_f64 v[76:77], v[6:7], v[48:49]
	v_mul_f64 v[6:7], v[4:5], v[20:21]
	v_fma_f64 v[8:9], v[4:5], v[18:19], v[8:9]
	v_fma_f64 v[6:7], v[2:3], v[18:19], -v[6:7]
	v_add_f64 v[52:53], v[8:9], v[44:45]
	v_mul_f64 v[8:9], v[2:3], v[16:17]
	v_add_f64 v[48:49], v[42:43], v[6:7]
	v_mul_f64 v[6:7], v[4:5], v[16:17]
	v_fma_f64 v[8:9], v[4:5], v[14:15], v[8:9]
	v_fma_f64 v[6:7], v[2:3], v[14:15], -v[6:7]
	v_add_f64 v[36:37], v[8:9], v[40:41]
	s_waitcnt lgkmcnt(0)
	v_mul_f64 v[8:9], v[2:3], v[12:13]
	v_add_f64 v[34:35], v[38:39], v[6:7]
	v_mul_f64 v[6:7], v[4:5], v[12:13]
	v_fma_f64 v[8:9], v[4:5], v[10:11], v[8:9]
	v_fma_f64 v[6:7], v[2:3], v[10:11], -v[6:7]
	v_add_f64 v[32:33], v[8:9], v[104:105]
	v_add_f64 v[30:31], v[102:103], v[6:7]
	ds_read_b128 v[6:9], v90 offset:3840
	s_waitcnt lgkmcnt(0)
	v_mul_f64 v[22:23], v[4:5], v[8:9]
	v_fma_f64 v[22:23], v[2:3], v[6:7], -v[22:23]
	v_mul_f64 v[2:3], v[2:3], v[8:9]
	v_add_f64 v[22:23], v[106:107], v[22:23]
	v_fma_f64 v[2:3], v[4:5], v[6:7], v[2:3]
	v_add_f64 v[24:25], v[2:3], v[108:109]
	ds_read_b128 v[2:5], v93 offset:1072
	s_waitcnt lgkmcnt(0)
	v_mul_f64 v[38:39], v[4:5], v[20:21]
	v_mul_f64 v[40:41], v[2:3], v[20:21]
	v_fma_f64 v[38:39], v[2:3], v[18:19], -v[38:39]
	v_fma_f64 v[40:41], v[4:5], v[18:19], v[40:41]
	v_add_f64 v[70:71], v[62:63], v[38:39]
	v_mul_f64 v[38:39], v[4:5], v[16:17]
	v_add_f64 v[72:73], v[40:41], v[64:65]
	v_mul_f64 v[40:41], v[2:3], v[16:17]
	v_fma_f64 v[38:39], v[2:3], v[14:15], -v[38:39]
	v_fma_f64 v[40:41], v[4:5], v[14:15], v[40:41]
	v_add_f64 v[62:63], v[66:67], v[38:39]
	v_mul_f64 v[38:39], v[4:5], v[12:13]
	v_add_f64 v[64:65], v[40:41], v[68:69]
	;; [unrolled: 6-line block ×3, first 2 shown]
	v_fma_f64 v[38:39], v[2:3], v[6:7], -v[38:39]
	v_mul_f64 v[2:3], v[2:3], v[8:9]
	v_add_f64 v[42:43], v[114:115], v[38:39]
	v_fma_f64 v[2:3], v[4:5], v[6:7], v[2:3]
	v_add_f64 v[46:47], v[2:3], v[116:117]
	ds_read_b128 v[2:5], v93 offset:2096
	s_waitcnt lgkmcnt(0)
	v_mul_f64 v[38:39], v[4:5], v[20:21]
	v_mul_f64 v[40:41], v[2:3], v[20:21]
	v_fma_f64 v[38:39], v[2:3], v[18:19], -v[38:39]
	v_fma_f64 v[40:41], v[4:5], v[18:19], v[40:41]
	v_add_f64 v[66:67], v[118:119], v[38:39]
	v_mul_f64 v[38:39], v[4:5], v[16:17]
	v_add_f64 v[68:69], v[40:41], v[120:121]
	v_mul_f64 v[40:41], v[2:3], v[16:17]
	v_fma_f64 v[38:39], v[2:3], v[14:15], -v[38:39]
	v_fma_f64 v[40:41], v[4:5], v[14:15], v[40:41]
	v_add_f64 v[56:57], v[122:123], v[38:39]
	v_mul_f64 v[38:39], v[4:5], v[12:13]
	v_add_f64 v[60:61], v[40:41], v[124:125]
	;; [unrolled: 6-line block ×3, first 2 shown]
	v_fma_f64 v[38:39], v[2:3], v[6:7], -v[38:39]
	v_mul_f64 v[2:3], v[2:3], v[8:9]
	v_add_f64 v[38:39], v[98:99], v[38:39]
	v_fma_f64 v[2:3], v[4:5], v[6:7], v[2:3]
	v_add_f64 v[40:41], v[2:3], v[100:101]
	ds_read_b128 v[2:5], v93 offset:3120
	s_waitcnt lgkmcnt(0)
	s_barrier
	buffer_gl0_inv
	v_mul_f64 v[94:95], v[4:5], v[20:21]
	v_mul_f64 v[20:21], v[2:3], v[20:21]
	v_fma_f64 v[94:95], v[2:3], v[18:19], -v[94:95]
	v_fma_f64 v[20:21], v[4:5], v[18:19], v[20:21]
	v_add_f64 v[18:19], v[86:87], v[94:95]
	v_mul_f64 v[86:87], v[4:5], v[16:17]
	v_mul_f64 v[16:17], v[2:3], v[16:17]
	v_add_f64 v[20:21], v[20:21], v[88:89]
	v_fma_f64 v[86:87], v[2:3], v[14:15], -v[86:87]
	v_fma_f64 v[16:17], v[4:5], v[14:15], v[16:17]
	v_add_f64 v[14:15], v[82:83], v[86:87]
	v_mul_f64 v[82:83], v[4:5], v[12:13]
	v_mul_f64 v[12:13], v[2:3], v[12:13]
	v_add_f64 v[16:17], v[16:17], v[84:85]
	v_fma_f64 v[82:83], v[2:3], v[10:11], -v[82:83]
	v_fma_f64 v[12:13], v[4:5], v[10:11], v[12:13]
	v_add_f64 v[10:11], v[78:79], v[82:83]
	v_mul_f64 v[78:79], v[4:5], v[8:9]
	v_add_f64 v[12:13], v[12:13], v[80:81]
	v_fma_f64 v[78:79], v[2:3], v[6:7], -v[78:79]
	v_mul_f64 v[2:3], v[2:3], v[8:9]
	v_add_f64 v[74:75], v[74:75], v[78:79]
	v_fma_f64 v[2:3], v[4:5], v[6:7], v[2:3]
	v_add_f64 v[76:77], v[2:3], v[76:77]
	s_cbranch_vccnz .LBB534_2
	s_branch .LBB534_4
.LBB534_3:
	v_mov_b32_e32 v48, 0
	v_mov_b32_e32 v52, 0
	;; [unrolled: 1-line block ×64, first 2 shown]
.LBB534_4:
	s_load_dwordx2 s[4:5], s[4:5], 0x90
	v_cmp_neq_f64_e64 s6, s[38:39], 0
	v_cmp_neq_f64_e64 s7, s[40:41], 0
	v_add_co_u32 v6, s2, s2, v1
	v_add_co_u32 v0, s0, s0, v0
	v_add_co_ci_u32_e64 v7, null, s3, 0, s2
	v_add_co_ci_u32_e64 v1, null, s1, 0, s0
	s_waitcnt lgkmcnt(0)
	s_mul_i32 s5, s5, s8
	s_mul_hi_u32 s9, s4, s8
	s_mul_i32 s4, s4, s8
	s_add_i32 s5, s9, s5
	s_lshl_b64 s[4:5], s[4:5], 4
	s_add_u32 s2, s48, s4
	s_addc_u32 s3, s49, s5
	s_or_b32 s4, s6, s7
	s_and_b32 vcc_lo, exec_lo, s4
	s_cbranch_vccnz .LBB534_6
; %bb.5:
	v_mul_f64 v[4:5], s[16:17], v[52:53]
	v_mul_f64 v[8:9], s[14:15], v[52:53]
	v_mul_lo_u32 v78, v7, s50
	v_mul_lo_u32 v79, v6, s51
	v_mad_u64_u32 v[2:3], null, v6, s50, 0
	v_mul_f64 v[26:27], s[16:17], v[36:37]
	v_mul_f64 v[28:29], s[14:15], v[36:37]
	;; [unrolled: 1-line block ×6, first 2 shown]
	v_add3_u32 v3, v3, v79, v78
	v_mul_f64 v[78:79], s[16:17], v[32:33]
	v_mul_f64 v[88:89], s[14:15], v[72:73]
	;; [unrolled: 1-line block ×4, first 2 shown]
	v_lshlrev_b64 v[2:3], 4, v[2:3]
	v_mul_f64 v[94:95], s[16:17], v[58:59]
	v_mul_f64 v[96:97], s[14:15], v[58:59]
	;; [unrolled: 1-line block ×4, first 2 shown]
	s_lshl_b64 s[0:1], s[50:51], 8
	v_add_co_u32 v104, vcc_lo, s2, v2
	v_add_co_ci_u32_e64 v105, null, s3, v3, vcc_lo
	v_fma_f64 v[2:3], s[14:15], v[48:49], -v[4:5]
	v_fma_f64 v[4:5], s[16:17], v[48:49], v[8:9]
	v_lshlrev_b64 v[8:9], 4, v[0:1]
	v_fma_f64 v[26:27], s[14:15], v[34:35], -v[26:27]
	v_fma_f64 v[28:29], s[16:17], v[34:35], v[28:29]
	v_fma_f64 v[80:81], s[16:17], v[30:31], v[80:81]
	v_fma_f64 v[82:83], s[14:15], v[22:23], -v[82:83]
	v_fma_f64 v[84:85], s[16:17], v[22:23], v[84:85]
	v_add_co_u32 v102, vcc_lo, v104, v8
	v_fma_f64 v[78:79], s[14:15], v[30:31], -v[78:79]
	v_add_co_ci_u32_e64 v103, null, v105, v9, vcc_lo
	v_fma_f64 v[86:87], s[14:15], v[70:71], -v[86:87]
	v_fma_f64 v[88:89], s[16:17], v[70:71], v[88:89]
	v_fma_f64 v[90:91], s[14:15], v[62:63], -v[90:91]
	v_fma_f64 v[92:93], s[16:17], v[62:63], v[92:93]
	;; [unrolled: 2-line block ×3, first 2 shown]
	v_add_co_u32 v106, vcc_lo, v104, s0
	v_add_co_ci_u32_e64 v107, null, s1, v105, vcc_lo
	global_store_dwordx4 v[102:103], v[2:5], off
	v_fma_f64 v[2:3], s[14:15], v[42:43], -v[98:99]
	v_fma_f64 v[4:5], s[16:17], v[42:43], v[100:101]
	v_add_co_u32 v104, vcc_lo, v106, v8
	v_add_co_ci_u32_e64 v105, null, v107, v9, vcc_lo
	global_store_dwordx4 v[102:103], v[26:29], off offset:256
	global_store_dwordx4 v[102:103], v[78:81], off offset:512
	;; [unrolled: 1-line block ×3, first 2 shown]
	global_store_dwordx4 v[104:105], v[86:89], off
	global_store_dwordx4 v[104:105], v[90:93], off offset:256
	global_store_dwordx4 v[104:105], v[94:97], off offset:512
	v_mul_f64 v[26:27], s[16:17], v[68:69]
	v_mul_f64 v[28:29], s[14:15], v[68:69]
	;; [unrolled: 1-line block ×12, first 2 shown]
	global_store_dwordx4 v[104:105], v[2:5], off offset:768
	v_mul_f64 v[2:3], s[16:17], v[76:77]
	v_mul_f64 v[4:5], s[14:15], v[76:77]
	;; [unrolled: 1-line block ×4, first 2 shown]
	v_add_co_u32 v104, vcc_lo, v106, s0
	v_add_co_ci_u32_e64 v105, null, s1, v107, vcc_lo
	v_fma_f64 v[26:27], s[14:15], v[66:67], -v[26:27]
	v_fma_f64 v[28:29], s[16:17], v[66:67], v[28:29]
	v_fma_f64 v[78:79], s[14:15], v[56:57], -v[78:79]
	v_fma_f64 v[80:81], s[16:17], v[56:57], v[80:81]
	;; [unrolled: 2-line block ×6, first 2 shown]
	v_add_co_u32 v106, vcc_lo, v104, s0
	v_fma_f64 v[102:103], s[14:15], v[74:75], -v[2:3]
	v_fma_f64 v[2:3], s[16:17], v[74:75], v[4:5]
	v_fma_f64 v[98:99], s[14:15], v[10:11], -v[98:99]
	v_fma_f64 v[100:101], s[16:17], v[10:11], v[100:101]
	v_add_co_ci_u32_e64 v107, null, s1, v105, vcc_lo
	v_add_co_u32 v4, vcc_lo, v104, v8
	v_add_co_ci_u32_e64 v5, null, v105, v9, vcc_lo
	v_add_co_u32 v8, vcc_lo, v106, v8
	v_add_co_ci_u32_e64 v9, null, v107, v9, vcc_lo
	global_store_dwordx4 v[4:5], v[26:29], off
	global_store_dwordx4 v[4:5], v[78:81], off offset:256
	global_store_dwordx4 v[4:5], v[82:85], off offset:512
	;; [unrolled: 1-line block ×3, first 2 shown]
	global_store_dwordx4 v[8:9], v[90:93], off
	v_add_co_u32 v4, vcc_lo, 0x300, v8
	v_add_co_ci_u32_e64 v5, null, 0, v9, vcc_lo
	global_store_dwordx4 v[8:9], v[94:97], off offset:256
	global_store_dwordx4 v[8:9], v[98:101], off offset:512
	global_store_dwordx2 v[8:9], v[102:103], off offset:768
	s_cbranch_execz .LBB534_7
	s_branch .LBB534_8
.LBB534_6:
                                        ; implicit-def: $vgpr2_vgpr3
                                        ; implicit-def: $vgpr4_vgpr5
.LBB534_7:
	v_mul_lo_u32 v4, v7, s44
	v_mul_lo_u32 v5, v6, s45
	v_mad_u64_u32 v[2:3], null, v6, s44, 0
	s_mul_i32 s1, s47, s8
	s_mul_hi_u32 s4, s46, s8
	s_mul_i32 s0, s46, s8
	s_add_i32 s1, s4, s1
	v_mul_f64 v[26:27], s[16:17], v[52:53]
	s_lshl_b64 s[0:1], s[0:1], 4
	v_add3_u32 v3, v3, v5, v4
	s_add_u32 s0, s42, s0
	v_lshlrev_b64 v[4:5], 4, v[0:1]
	s_addc_u32 s1, s43, s1
	v_mul_f64 v[28:29], s[14:15], v[52:53]
	v_lshlrev_b64 v[2:3], 4, v[2:3]
	v_add_co_u32 v78, vcc_lo, s0, v2
	v_add_co_ci_u32_e64 v79, null, s1, v3, vcc_lo
	s_lshl_b64 s[0:1], s[44:45], 8
	v_add_co_u32 v8, vcc_lo, v78, v4
	v_add_co_ci_u32_e64 v9, null, v79, v5, vcc_lo
	v_fma_f64 v[26:27], s[14:15], v[48:49], -v[26:27]
	global_load_dwordx4 v[0:3], v[8:9], off
	v_fma_f64 v[28:29], s[16:17], v[48:49], v[28:29]
	s_waitcnt vmcnt(0)
	v_mul_f64 v[52:53], s[40:41], v[2:3]
	v_mul_f64 v[2:3], s[38:39], v[2:3]
	v_fma_f64 v[48:49], s[38:39], v[0:1], -v[52:53]
	v_fma_f64 v[2:3], s[40:41], v[0:1], v[2:3]
	v_mul_lo_u32 v0, v7, s50
	v_mul_lo_u32 v1, v6, s51
	v_mad_u64_u32 v[6:7], null, v6, s50, 0
	v_add3_u32 v7, v7, v1, v0
	v_lshlrev_b64 v[6:7], 4, v[6:7]
	v_add_f64 v[0:1], v[26:27], v[48:49]
	v_add_f64 v[2:3], v[28:29], v[2:3]
	v_add_co_u32 v48, vcc_lo, s2, v6
	v_add_co_ci_u32_e64 v49, null, s3, v7, vcc_lo
	v_mul_f64 v[26:27], s[16:17], v[36:37]
	v_add_co_u32 v6, vcc_lo, v48, v4
	v_add_co_ci_u32_e64 v7, null, v49, v5, vcc_lo
	v_mul_f64 v[28:29], s[14:15], v[36:37]
	s_lshl_b64 s[2:3], s[50:51], 8
	global_store_dwordx4 v[6:7], v[0:3], off
	global_load_dwordx4 v[0:3], v[8:9], off offset:256
	v_fma_f64 v[26:27], s[14:15], v[34:35], -v[26:27]
	v_fma_f64 v[28:29], s[16:17], v[34:35], v[28:29]
	s_waitcnt vmcnt(0)
	v_mul_f64 v[36:37], s[40:41], v[2:3]
	v_mul_f64 v[2:3], s[38:39], v[2:3]
	v_fma_f64 v[34:35], s[38:39], v[0:1], -v[36:37]
	v_fma_f64 v[2:3], s[40:41], v[0:1], v[2:3]
	v_add_f64 v[0:1], v[26:27], v[34:35]
	v_add_f64 v[2:3], v[28:29], v[2:3]
	v_mul_f64 v[26:27], s[16:17], v[32:33]
	v_mul_f64 v[28:29], s[14:15], v[32:33]
	global_store_dwordx4 v[6:7], v[0:3], off offset:256
	global_load_dwordx4 v[0:3], v[8:9], off offset:512
	v_fma_f64 v[26:27], s[14:15], v[30:31], -v[26:27]
	v_fma_f64 v[28:29], s[16:17], v[30:31], v[28:29]
	s_waitcnt vmcnt(0)
	v_mul_f64 v[32:33], s[40:41], v[2:3]
	v_mul_f64 v[2:3], s[38:39], v[2:3]
	v_fma_f64 v[30:31], s[38:39], v[0:1], -v[32:33]
	v_fma_f64 v[2:3], s[40:41], v[0:1], v[2:3]
	v_add_f64 v[0:1], v[26:27], v[30:31]
	v_add_f64 v[2:3], v[28:29], v[2:3]
	v_add_co_u32 v28, vcc_lo, v78, s0
	v_add_co_ci_u32_e64 v29, null, s1, v79, vcc_lo
	global_store_dwordx4 v[6:7], v[0:3], off offset:512
	global_load_dwordx4 v[0:3], v[8:9], off offset:768
	v_mul_f64 v[8:9], s[16:17], v[24:25]
	v_mul_f64 v[24:25], s[14:15], v[24:25]
	v_fma_f64 v[8:9], s[14:15], v[22:23], -v[8:9]
	v_fma_f64 v[22:23], s[16:17], v[22:23], v[24:25]
	s_waitcnt vmcnt(0)
	v_mul_f64 v[26:27], s[40:41], v[2:3]
	v_mul_f64 v[2:3], s[38:39], v[2:3]
	v_fma_f64 v[24:25], s[38:39], v[0:1], -v[26:27]
	v_fma_f64 v[2:3], s[40:41], v[0:1], v[2:3]
	v_add_f64 v[0:1], v[8:9], v[24:25]
	v_add_f64 v[2:3], v[22:23], v[2:3]
	v_add_co_u32 v8, vcc_lo, v28, v4
	v_add_co_ci_u32_e64 v9, null, v29, v5, vcc_lo
	v_mul_f64 v[22:23], s[14:15], v[72:73]
	v_add_co_u32 v30, vcc_lo, v48, s2
	v_add_co_ci_u32_e64 v31, null, s3, v49, vcc_lo
	global_store_dwordx4 v[6:7], v[0:3], off offset:768
	global_load_dwordx4 v[0:3], v[8:9], off
	v_mul_f64 v[6:7], s[16:17], v[72:73]
	v_fma_f64 v[22:23], s[16:17], v[70:71], v[22:23]
	v_fma_f64 v[6:7], s[14:15], v[70:71], -v[6:7]
	s_waitcnt vmcnt(0)
	v_mul_f64 v[24:25], s[40:41], v[2:3]
	v_mul_f64 v[2:3], s[38:39], v[2:3]
	v_fma_f64 v[24:25], s[38:39], v[0:1], -v[24:25]
	v_fma_f64 v[2:3], s[40:41], v[0:1], v[2:3]
	v_add_f64 v[0:1], v[6:7], v[24:25]
	v_add_f64 v[2:3], v[22:23], v[2:3]
	v_add_co_u32 v6, vcc_lo, v30, v4
	v_add_co_ci_u32_e64 v7, null, v31, v5, vcc_lo
	v_mul_f64 v[22:23], s[16:17], v[64:65]
	v_mul_f64 v[24:25], s[14:15], v[64:65]
	v_add_co_u32 v28, vcc_lo, v28, s0
	v_add_co_ci_u32_e64 v29, null, s1, v29, vcc_lo
	global_store_dwordx4 v[6:7], v[0:3], off
	global_load_dwordx4 v[0:3], v[8:9], off offset:256
	v_fma_f64 v[22:23], s[14:15], v[62:63], -v[22:23]
	v_fma_f64 v[24:25], s[16:17], v[62:63], v[24:25]
	s_waitcnt vmcnt(0)
	v_mul_f64 v[26:27], s[40:41], v[2:3]
	v_mul_f64 v[2:3], s[38:39], v[2:3]
	v_fma_f64 v[26:27], s[38:39], v[0:1], -v[26:27]
	v_fma_f64 v[2:3], s[40:41], v[0:1], v[2:3]
	v_add_f64 v[0:1], v[22:23], v[26:27]
	v_add_f64 v[2:3], v[24:25], v[2:3]
	v_mul_f64 v[22:23], s[16:17], v[58:59]
	v_mul_f64 v[24:25], s[14:15], v[58:59]
	global_store_dwordx4 v[6:7], v[0:3], off offset:256
	global_load_dwordx4 v[0:3], v[8:9], off offset:512
	v_fma_f64 v[22:23], s[14:15], v[54:55], -v[22:23]
	v_fma_f64 v[24:25], s[16:17], v[54:55], v[24:25]
	s_waitcnt vmcnt(0)
	v_mul_f64 v[26:27], s[40:41], v[2:3]
	v_mul_f64 v[2:3], s[38:39], v[2:3]
	v_fma_f64 v[26:27], s[38:39], v[0:1], -v[26:27]
	v_fma_f64 v[2:3], s[40:41], v[0:1], v[2:3]
	v_add_f64 v[0:1], v[22:23], v[26:27]
	v_add_f64 v[2:3], v[24:25], v[2:3]
	v_mul_f64 v[22:23], s[14:15], v[46:47]
	global_store_dwordx4 v[6:7], v[0:3], off offset:512
	global_load_dwordx4 v[0:3], v[8:9], off offset:768
	v_mul_f64 v[8:9], s[16:17], v[46:47]
	v_fma_f64 v[22:23], s[16:17], v[42:43], v[22:23]
	v_fma_f64 v[8:9], s[14:15], v[42:43], -v[8:9]
	s_waitcnt vmcnt(0)
	v_mul_f64 v[24:25], s[40:41], v[2:3]
	v_mul_f64 v[2:3], s[38:39], v[2:3]
	v_fma_f64 v[24:25], s[38:39], v[0:1], -v[24:25]
	v_fma_f64 v[2:3], s[40:41], v[0:1], v[2:3]
	v_add_f64 v[0:1], v[8:9], v[24:25]
	v_add_f64 v[2:3], v[22:23], v[2:3]
	v_add_co_u32 v8, vcc_lo, v28, v4
	v_add_co_ci_u32_e64 v9, null, v29, v5, vcc_lo
	v_mul_f64 v[22:23], s[14:15], v[68:69]
	v_add_co_u32 v30, vcc_lo, v30, s2
	v_add_co_ci_u32_e64 v31, null, s3, v31, vcc_lo
	global_store_dwordx4 v[6:7], v[0:3], off offset:768
	global_load_dwordx4 v[0:3], v[8:9], off
	v_mul_f64 v[6:7], s[16:17], v[68:69]
	v_fma_f64 v[22:23], s[16:17], v[66:67], v[22:23]
	v_fma_f64 v[6:7], s[14:15], v[66:67], -v[6:7]
	s_waitcnt vmcnt(0)
	v_mul_f64 v[24:25], s[40:41], v[2:3]
	v_mul_f64 v[2:3], s[38:39], v[2:3]
	v_fma_f64 v[24:25], s[38:39], v[0:1], -v[24:25]
	v_fma_f64 v[2:3], s[40:41], v[0:1], v[2:3]
	v_add_f64 v[0:1], v[6:7], v[24:25]
	v_add_f64 v[2:3], v[22:23], v[2:3]
	v_add_co_u32 v6, vcc_lo, v30, v4
	v_add_co_ci_u32_e64 v7, null, v31, v5, vcc_lo
	v_mul_f64 v[22:23], s[16:17], v[60:61]
	v_mul_f64 v[24:25], s[14:15], v[60:61]
	global_store_dwordx4 v[6:7], v[0:3], off
	global_load_dwordx4 v[0:3], v[8:9], off offset:256
	v_fma_f64 v[22:23], s[14:15], v[56:57], -v[22:23]
	v_fma_f64 v[24:25], s[16:17], v[56:57], v[24:25]
	s_waitcnt vmcnt(0)
	v_mul_f64 v[26:27], s[40:41], v[2:3]
	v_mul_f64 v[2:3], s[38:39], v[2:3]
	v_fma_f64 v[26:27], s[38:39], v[0:1], -v[26:27]
	v_fma_f64 v[2:3], s[40:41], v[0:1], v[2:3]
	v_add_f64 v[0:1], v[22:23], v[26:27]
	v_add_f64 v[2:3], v[24:25], v[2:3]
	v_mul_f64 v[22:23], s[16:17], v[50:51]
	v_mul_f64 v[24:25], s[14:15], v[50:51]
	global_store_dwordx4 v[6:7], v[0:3], off offset:256
	global_load_dwordx4 v[0:3], v[8:9], off offset:512
	v_fma_f64 v[22:23], s[14:15], v[44:45], -v[22:23]
	v_fma_f64 v[24:25], s[16:17], v[44:45], v[24:25]
	s_waitcnt vmcnt(0)
	v_mul_f64 v[26:27], s[40:41], v[2:3]
	v_mul_f64 v[2:3], s[38:39], v[2:3]
	v_fma_f64 v[26:27], s[38:39], v[0:1], -v[26:27]
	v_fma_f64 v[2:3], s[40:41], v[0:1], v[2:3]
	v_add_f64 v[0:1], v[22:23], v[26:27]
	v_add_f64 v[2:3], v[24:25], v[2:3]
	v_mul_f64 v[22:23], s[14:15], v[40:41]
	global_store_dwordx4 v[6:7], v[0:3], off offset:512
	global_load_dwordx4 v[0:3], v[8:9], off offset:768
	v_mul_f64 v[8:9], s[16:17], v[40:41]
	v_fma_f64 v[22:23], s[16:17], v[38:39], v[22:23]
	v_fma_f64 v[8:9], s[14:15], v[38:39], -v[8:9]
	s_waitcnt vmcnt(0)
	v_mul_f64 v[24:25], s[40:41], v[2:3]
	v_mul_f64 v[2:3], s[38:39], v[2:3]
	v_fma_f64 v[24:25], s[38:39], v[0:1], -v[24:25]
	v_fma_f64 v[2:3], s[40:41], v[0:1], v[2:3]
	v_add_f64 v[0:1], v[8:9], v[24:25]
	v_add_f64 v[2:3], v[22:23], v[2:3]
	v_add_co_u32 v8, vcc_lo, v28, s0
	v_add_co_ci_u32_e64 v9, null, s1, v29, vcc_lo
	v_add_co_u32 v8, vcc_lo, v8, v4
	v_add_co_ci_u32_e64 v9, null, v9, v5, vcc_lo
	global_store_dwordx4 v[6:7], v[0:3], off offset:768
	global_load_dwordx4 v[0:3], v[8:9], off
	v_mul_f64 v[6:7], s[16:17], v[20:21]
	v_mul_f64 v[20:21], s[14:15], v[20:21]
	v_fma_f64 v[6:7], s[14:15], v[18:19], -v[6:7]
	v_fma_f64 v[18:19], s[16:17], v[18:19], v[20:21]
	s_waitcnt vmcnt(0)
	v_mul_f64 v[22:23], s[40:41], v[2:3]
	v_mul_f64 v[2:3], s[38:39], v[2:3]
	v_fma_f64 v[20:21], s[38:39], v[0:1], -v[22:23]
	v_fma_f64 v[2:3], s[40:41], v[0:1], v[2:3]
	v_add_f64 v[0:1], v[6:7], v[20:21]
	v_add_f64 v[2:3], v[18:19], v[2:3]
	v_add_co_u32 v6, vcc_lo, v30, s2
	v_add_co_ci_u32_e64 v7, null, s3, v31, vcc_lo
	v_add_co_u32 v6, vcc_lo, v6, v4
	v_add_co_ci_u32_e64 v7, null, v7, v5, vcc_lo
	v_mul_f64 v[4:5], s[16:17], v[16:17]
	v_mul_f64 v[16:17], s[14:15], v[16:17]
	global_store_dwordx4 v[6:7], v[0:3], off
	global_load_dwordx4 v[0:3], v[8:9], off offset:256
	v_fma_f64 v[4:5], s[14:15], v[14:15], -v[4:5]
	v_fma_f64 v[14:15], s[16:17], v[14:15], v[16:17]
	s_waitcnt vmcnt(0)
	v_mul_f64 v[18:19], s[40:41], v[2:3]
	v_mul_f64 v[2:3], s[38:39], v[2:3]
	v_fma_f64 v[16:17], s[38:39], v[0:1], -v[18:19]
	v_fma_f64 v[2:3], s[40:41], v[0:1], v[2:3]
	v_add_f64 v[0:1], v[4:5], v[16:17]
	v_add_f64 v[2:3], v[14:15], v[2:3]
	v_mul_f64 v[4:5], s[16:17], v[12:13]
	v_mul_f64 v[12:13], s[14:15], v[12:13]
	global_store_dwordx4 v[6:7], v[0:3], off offset:256
	global_load_dwordx4 v[0:3], v[8:9], off offset:512
	v_fma_f64 v[4:5], s[14:15], v[10:11], -v[4:5]
	v_fma_f64 v[10:11], s[16:17], v[10:11], v[12:13]
	s_waitcnt vmcnt(0)
	v_mul_f64 v[14:15], s[40:41], v[2:3]
	v_mul_f64 v[2:3], s[38:39], v[2:3]
	v_fma_f64 v[12:13], s[38:39], v[0:1], -v[14:15]
	v_fma_f64 v[2:3], s[40:41], v[0:1], v[2:3]
	v_add_f64 v[0:1], v[4:5], v[12:13]
	v_add_f64 v[2:3], v[10:11], v[2:3]
	v_mul_f64 v[4:5], s[16:17], v[76:77]
	global_store_dwordx4 v[6:7], v[0:3], off offset:512
	global_load_dwordx4 v[0:3], v[8:9], off offset:768
	v_mul_f64 v[8:9], s[14:15], v[76:77]
	v_fma_f64 v[4:5], s[14:15], v[74:75], -v[4:5]
	v_fma_f64 v[8:9], s[16:17], v[74:75], v[8:9]
	s_waitcnt vmcnt(0)
	v_mul_f64 v[10:11], s[40:41], v[2:3]
	v_mul_f64 v[2:3], s[38:39], v[2:3]
	v_fma_f64 v[10:11], s[38:39], v[0:1], -v[10:11]
	v_fma_f64 v[0:1], s[40:41], v[0:1], v[2:3]
	v_add_f64 v[10:11], v[4:5], v[10:11]
	v_add_f64 v[2:3], v[8:9], v[0:1]
	v_add_co_u32 v4, vcc_lo, 0x300, v6
	v_add_co_ci_u32_e64 v5, null, 0, v7, vcc_lo
	global_store_dwordx2 v[6:7], v[10:11], off offset:768
.LBB534_8:
	global_store_dwordx2 v[4:5], v[2:3], off offset:8
	s_endpgm
	.section	.rodata,"a",@progbits
	.p2align	6, 0x0
	.amdhsa_kernel _ZN12_GLOBAL__N_127rocblas_gemm_batched_kernelI19rocblas_complex_numIdELi16ELi16ELi64ELi64ELi4ELi64ELi4ELi4ELi64ELc67ELc78EKS2_S3_S2_EEvlllT_PT11_llS6_llS4_PT12_llPT13_lli
		.amdhsa_group_segment_fixed_size 8192
		.amdhsa_private_segment_fixed_size 0
		.amdhsa_kernarg_size 156
		.amdhsa_user_sgpr_count 6
		.amdhsa_user_sgpr_private_segment_buffer 1
		.amdhsa_user_sgpr_dispatch_ptr 0
		.amdhsa_user_sgpr_queue_ptr 0
		.amdhsa_user_sgpr_kernarg_segment_ptr 1
		.amdhsa_user_sgpr_dispatch_id 0
		.amdhsa_user_sgpr_flat_scratch_init 0
		.amdhsa_user_sgpr_private_segment_size 0
		.amdhsa_wavefront_size32 1
		.amdhsa_uses_dynamic_stack 0
		.amdhsa_system_sgpr_private_segment_wavefront_offset 0
		.amdhsa_system_sgpr_workgroup_id_x 1
		.amdhsa_system_sgpr_workgroup_id_y 1
		.amdhsa_system_sgpr_workgroup_id_z 1
		.amdhsa_system_sgpr_workgroup_info 0
		.amdhsa_system_vgpr_workitem_id 1
		.amdhsa_next_free_vgpr 138
		.amdhsa_next_free_sgpr 52
		.amdhsa_reserve_vcc 1
		.amdhsa_reserve_flat_scratch 0
		.amdhsa_float_round_mode_32 0
		.amdhsa_float_round_mode_16_64 0
		.amdhsa_float_denorm_mode_32 3
		.amdhsa_float_denorm_mode_16_64 3
		.amdhsa_dx10_clamp 1
		.amdhsa_ieee_mode 1
		.amdhsa_fp16_overflow 0
		.amdhsa_workgroup_processor_mode 1
		.amdhsa_memory_ordered 1
		.amdhsa_forward_progress 1
		.amdhsa_shared_vgpr_count 0
		.amdhsa_exception_fp_ieee_invalid_op 0
		.amdhsa_exception_fp_denorm_src 0
		.amdhsa_exception_fp_ieee_div_zero 0
		.amdhsa_exception_fp_ieee_overflow 0
		.amdhsa_exception_fp_ieee_underflow 0
		.amdhsa_exception_fp_ieee_inexact 0
		.amdhsa_exception_int_div_zero 0
	.end_amdhsa_kernel
	.section	.text._ZN12_GLOBAL__N_127rocblas_gemm_batched_kernelI19rocblas_complex_numIdELi16ELi16ELi64ELi64ELi4ELi64ELi4ELi4ELi64ELc67ELc78EKS2_S3_S2_EEvlllT_PT11_llS6_llS4_PT12_llPT13_lli,"axG",@progbits,_ZN12_GLOBAL__N_127rocblas_gemm_batched_kernelI19rocblas_complex_numIdELi16ELi16ELi64ELi64ELi4ELi64ELi4ELi4ELi64ELc67ELc78EKS2_S3_S2_EEvlllT_PT11_llS6_llS4_PT12_llPT13_lli,comdat
.Lfunc_end534:
	.size	_ZN12_GLOBAL__N_127rocblas_gemm_batched_kernelI19rocblas_complex_numIdELi16ELi16ELi64ELi64ELi4ELi64ELi4ELi4ELi64ELc67ELc78EKS2_S3_S2_EEvlllT_PT11_llS6_llS4_PT12_llPT13_lli, .Lfunc_end534-_ZN12_GLOBAL__N_127rocblas_gemm_batched_kernelI19rocblas_complex_numIdELi16ELi16ELi64ELi64ELi4ELi64ELi4ELi4ELi64ELc67ELc78EKS2_S3_S2_EEvlllT_PT11_llS6_llS4_PT12_llPT13_lli
                                        ; -- End function
	.set _ZN12_GLOBAL__N_127rocblas_gemm_batched_kernelI19rocblas_complex_numIdELi16ELi16ELi64ELi64ELi4ELi64ELi4ELi4ELi64ELc67ELc78EKS2_S3_S2_EEvlllT_PT11_llS6_llS4_PT12_llPT13_lli.num_vgpr, 138
	.set _ZN12_GLOBAL__N_127rocblas_gemm_batched_kernelI19rocblas_complex_numIdELi16ELi16ELi64ELi64ELi4ELi64ELi4ELi4ELi64ELc67ELc78EKS2_S3_S2_EEvlllT_PT11_llS6_llS4_PT12_llPT13_lli.num_agpr, 0
	.set _ZN12_GLOBAL__N_127rocblas_gemm_batched_kernelI19rocblas_complex_numIdELi16ELi16ELi64ELi64ELi4ELi64ELi4ELi4ELi64ELc67ELc78EKS2_S3_S2_EEvlllT_PT11_llS6_llS4_PT12_llPT13_lli.numbered_sgpr, 52
	.set _ZN12_GLOBAL__N_127rocblas_gemm_batched_kernelI19rocblas_complex_numIdELi16ELi16ELi64ELi64ELi4ELi64ELi4ELi4ELi64ELc67ELc78EKS2_S3_S2_EEvlllT_PT11_llS6_llS4_PT12_llPT13_lli.num_named_barrier, 0
	.set _ZN12_GLOBAL__N_127rocblas_gemm_batched_kernelI19rocblas_complex_numIdELi16ELi16ELi64ELi64ELi4ELi64ELi4ELi4ELi64ELc67ELc78EKS2_S3_S2_EEvlllT_PT11_llS6_llS4_PT12_llPT13_lli.private_seg_size, 0
	.set _ZN12_GLOBAL__N_127rocblas_gemm_batched_kernelI19rocblas_complex_numIdELi16ELi16ELi64ELi64ELi4ELi64ELi4ELi4ELi64ELc67ELc78EKS2_S3_S2_EEvlllT_PT11_llS6_llS4_PT12_llPT13_lli.uses_vcc, 1
	.set _ZN12_GLOBAL__N_127rocblas_gemm_batched_kernelI19rocblas_complex_numIdELi16ELi16ELi64ELi64ELi4ELi64ELi4ELi4ELi64ELc67ELc78EKS2_S3_S2_EEvlllT_PT11_llS6_llS4_PT12_llPT13_lli.uses_flat_scratch, 0
	.set _ZN12_GLOBAL__N_127rocblas_gemm_batched_kernelI19rocblas_complex_numIdELi16ELi16ELi64ELi64ELi4ELi64ELi4ELi4ELi64ELc67ELc78EKS2_S3_S2_EEvlllT_PT11_llS6_llS4_PT12_llPT13_lli.has_dyn_sized_stack, 0
	.set _ZN12_GLOBAL__N_127rocblas_gemm_batched_kernelI19rocblas_complex_numIdELi16ELi16ELi64ELi64ELi4ELi64ELi4ELi4ELi64ELc67ELc78EKS2_S3_S2_EEvlllT_PT11_llS6_llS4_PT12_llPT13_lli.has_recursion, 0
	.set _ZN12_GLOBAL__N_127rocblas_gemm_batched_kernelI19rocblas_complex_numIdELi16ELi16ELi64ELi64ELi4ELi64ELi4ELi4ELi64ELc67ELc78EKS2_S3_S2_EEvlllT_PT11_llS6_llS4_PT12_llPT13_lli.has_indirect_call, 0
	.section	.AMDGPU.csdata,"",@progbits
; Kernel info:
; codeLenInByte = 7440
; TotalNumSgprs: 54
; NumVgprs: 138
; ScratchSize: 0
; MemoryBound: 0
; FloatMode: 240
; IeeeMode: 1
; LDSByteSize: 8192 bytes/workgroup (compile time only)
; SGPRBlocks: 0
; VGPRBlocks: 17
; NumSGPRsForWavesPerEU: 54
; NumVGPRsForWavesPerEU: 138
; Occupancy: 7
; WaveLimiterHint : 1
; COMPUTE_PGM_RSRC2:SCRATCH_EN: 0
; COMPUTE_PGM_RSRC2:USER_SGPR: 6
; COMPUTE_PGM_RSRC2:TRAP_HANDLER: 0
; COMPUTE_PGM_RSRC2:TGID_X_EN: 1
; COMPUTE_PGM_RSRC2:TGID_Y_EN: 1
; COMPUTE_PGM_RSRC2:TGID_Z_EN: 1
; COMPUTE_PGM_RSRC2:TIDIG_COMP_CNT: 1
	.section	.text._ZN12_GLOBAL__N_127rocblas_gemm_batched_kernelI19rocblas_complex_numIdELi16ELi16ELi64ELi64ELi4ELi64ELi4ELi4ELi64ELc67ELc84EKS2_S3_S2_EEvlllT_PT11_llS6_llS4_PT12_llPT13_lli,"axG",@progbits,_ZN12_GLOBAL__N_127rocblas_gemm_batched_kernelI19rocblas_complex_numIdELi16ELi16ELi64ELi64ELi4ELi64ELi4ELi4ELi64ELc67ELc84EKS2_S3_S2_EEvlllT_PT11_llS6_llS4_PT12_llPT13_lli,comdat
	.globl	_ZN12_GLOBAL__N_127rocblas_gemm_batched_kernelI19rocblas_complex_numIdELi16ELi16ELi64ELi64ELi4ELi64ELi4ELi4ELi64ELc67ELc84EKS2_S3_S2_EEvlllT_PT11_llS6_llS4_PT12_llPT13_lli ; -- Begin function _ZN12_GLOBAL__N_127rocblas_gemm_batched_kernelI19rocblas_complex_numIdELi16ELi16ELi64ELi64ELi4ELi64ELi4ELi4ELi64ELc67ELc84EKS2_S3_S2_EEvlllT_PT11_llS6_llS4_PT12_llPT13_lli
	.p2align	8
	.type	_ZN12_GLOBAL__N_127rocblas_gemm_batched_kernelI19rocblas_complex_numIdELi16ELi16ELi64ELi64ELi4ELi64ELi4ELi4ELi64ELc67ELc84EKS2_S3_S2_EEvlllT_PT11_llS6_llS4_PT12_llPT13_lli,@function
_ZN12_GLOBAL__N_127rocblas_gemm_batched_kernelI19rocblas_complex_numIdELi16ELi16ELi64ELi64ELi4ELi64ELi4ELi4ELi64ELc67ELc84EKS2_S3_S2_EEvlllT_PT11_llS6_llS4_PT12_llPT13_lli: ; @_ZN12_GLOBAL__N_127rocblas_gemm_batched_kernelI19rocblas_complex_numIdELi16ELi16ELi64ELi64ELi4ELi64ELi4ELi4ELi64ELc67ELc84EKS2_S3_S2_EEvlllT_PT11_llS6_llS4_PT12_llPT13_lli
; %bb.0:
	s_clause 0x1
	s_load_dwordx16 s[12:27], s[4:5], 0x10
	s_load_dwordx16 s[36:51], s[4:5], 0x50
	s_mov_b32 s2, s7
	s_ashr_i32 s7, s6, 31
	s_ashr_i32 s3, s2, 31
	s_lshl_b64 s[0:1], s[6:7], 6
	s_lshl_b64 s[2:3], s[2:3], 6
	s_waitcnt lgkmcnt(0)
	v_cmp_lt_i64_e64 s9, s[12:13], 1
	s_and_b32 vcc_lo, exec_lo, s9
	s_cbranch_vccnz .LBB535_3
; %bb.1:
	v_lshl_add_u32 v6, v1, 4, v0
	v_and_b32_e32 v7, 3, v0
	s_mul_i32 s7, s23, s8
	s_mul_hi_u32 s9, s22, s8
	v_mov_b32_e32 v76, 0
	v_lshrrev_b32_e32 v8, 2, v6
	v_and_b32_e32 v9, 63, v6
	v_lshrrev_b32_e32 v12, 6, v6
	v_lshlrev_b32_e32 v13, 4, v7
	s_add_i32 s7, s9, s7
	v_add_co_u32 v2, s6, v8, s2
	v_add_co_ci_u32_e64 v3, null, 0, s3, s6
	v_add_co_u32 v4, s6, s0, v9
	v_add_co_ci_u32_e64 v5, null, s1, 0, s6
	v_mad_u64_u32 v[2:3], null, s26, v7, v[2:3]
	v_mul_lo_u32 v10, s21, v4
	v_mul_lo_u32 v11, s20, v5
	v_mad_u64_u32 v[4:5], null, s20, v4, 0
	s_mul_i32 s6, s22, s8
	v_mov_b32_e32 v74, 0
	s_lshl_b64 s[6:7], s[6:7], 4
	v_mov_b32_e32 v16, 0
	v_mov_b32_e32 v14, 0
	;; [unrolled: 1-line block ×3, first 2 shown]
	v_add3_u32 v5, v5, v11, v10
	v_mad_u64_u32 v[6:7], null, s27, v7, v[3:4]
	v_lshl_or_b32 v7, v8, 6, v13
	v_lshlrev_b32_e32 v8, 4, v12
	v_lshlrev_b64 v[4:5], 4, v[4:5]
	v_lshlrev_b32_e32 v3, 4, v9
	v_mov_b32_e32 v10, 0
	v_mov_b32_e32 v18, 0
	;; [unrolled: 1-line block ×4, first 2 shown]
	v_add_co_u32 v4, vcc_lo, v4, s6
	v_add_co_ci_u32_e64 v5, null, s7, v5, vcc_lo
	v_lshl_or_b32 v91, v12, 10, v3
	v_add_co_u32 v4, vcc_lo, v4, v8
	v_mov_b32_e32 v3, v6
	v_add_co_ci_u32_e64 v5, null, 0, v5, vcc_lo
	s_mul_i32 s6, s37, s8
	s_mul_hi_u32 s7, s36, s8
	v_add_co_u32 v4, vcc_lo, s18, v4
	s_add_i32 s7, s7, s6
	s_mul_i32 s6, s36, s8
	v_lshlrev_b64 v[2:3], 4, v[2:3]
	v_add_co_ci_u32_e64 v5, null, s19, v5, vcc_lo
	s_lshl_b64 s[6:7], s[6:7], 4
	v_add_co_u32 v26, vcc_lo, v4, 8
	s_add_u32 s6, s24, s6
	v_add_co_ci_u32_e64 v27, null, 0, v5, vcc_lo
	s_addc_u32 s7, s25, s7
	v_add_co_u32 v28, vcc_lo, s6, v2
	v_mov_b32_e32 v12, 0
	v_mov_b32_e32 v50, 0
	;; [unrolled: 1-line block ×23, first 2 shown]
	v_lshlrev_b32_e32 v90, 4, v0
	v_add_nc_u32_e32 v92, 0x1000, v7
	v_lshl_add_u32 v93, v1, 6, 0x1000
	v_mov_b32_e32 v77, 0
	v_mov_b32_e32 v75, 0
	;; [unrolled: 1-line block ×32, first 2 shown]
	v_add_co_ci_u32_e64 v29, null, s7, v3, vcc_lo
	s_lshl_b64 s[6:7], s[26:27], 6
	s_mov_b64 s[10:11], 0
.LBB535_2:                              ; =>This Inner Loop Header: Depth=1
	global_load_dwordx4 v[2:5], v[26:27], off offset:-8
	s_add_u32 s10, s10, 4
	s_addc_u32 s11, s11, 0
	v_add_co_u32 v26, vcc_lo, v26, 64
	v_cmp_lt_i64_e64 s9, s[10:11], s[12:13]
	v_add_co_ci_u32_e64 v27, null, 0, v27, vcc_lo
	s_waitcnt vmcnt(0)
	v_xor_b32_e32 v5, 0x80000000, v5
	ds_write_b128 v91, v[2:5]
	global_load_dwordx4 v[2:5], v[28:29], off
	v_add_co_u32 v28, vcc_lo, v28, s6
	v_add_co_ci_u32_e64 v29, null, s7, v29, vcc_lo
	s_and_b32 vcc_lo, exec_lo, s9
	s_waitcnt vmcnt(0)
	ds_write2_b64 v92, v[2:3], v[4:5] offset1:1
	s_waitcnt lgkmcnt(0)
	s_barrier
	buffer_gl0_inv
	ds_read_b128 v[78:81], v93
	ds_read_b128 v[82:85], v93 offset:16
	ds_read_b128 v[6:9], v93 offset:32
	;; [unrolled: 1-line block ×3, first 2 shown]
	ds_read_b128 v[86:89], v90
	s_waitcnt lgkmcnt(0)
	v_mul_f64 v[94:95], v[80:81], v[88:89]
	v_mul_f64 v[96:97], v[78:79], v[88:89]
	v_fma_f64 v[94:95], v[78:79], v[86:87], -v[94:95]
	v_fma_f64 v[96:97], v[80:81], v[86:87], v[96:97]
	v_add_f64 v[98:99], v[48:49], v[94:95]
	v_add_f64 v[100:101], v[96:97], v[52:53]
	ds_read_b128 v[94:97], v90 offset:256
	s_waitcnt lgkmcnt(0)
	v_mul_f64 v[48:49], v[80:81], v[96:97]
	v_mul_f64 v[52:53], v[78:79], v[96:97]
	v_fma_f64 v[48:49], v[78:79], v[94:95], -v[48:49]
	v_fma_f64 v[52:53], v[80:81], v[94:95], v[52:53]
	v_add_f64 v[102:103], v[34:35], v[48:49]
	v_add_f64 v[104:105], v[52:53], v[36:37]
	ds_read_b128 v[34:37], v90 offset:512
	;; [unrolled: 8-line block ×4, first 2 shown]
	s_waitcnt lgkmcnt(0)
	v_mul_f64 v[48:49], v[24:25], v[88:89]
	v_mul_f64 v[52:53], v[22:23], v[88:89]
	v_fma_f64 v[48:49], v[22:23], v[86:87], -v[48:49]
	v_fma_f64 v[52:53], v[24:25], v[86:87], v[52:53]
	v_add_f64 v[70:71], v[70:71], v[48:49]
	v_mul_f64 v[48:49], v[24:25], v[96:97]
	v_add_f64 v[72:73], v[52:53], v[72:73]
	v_mul_f64 v[52:53], v[22:23], v[96:97]
	v_fma_f64 v[48:49], v[22:23], v[94:95], -v[48:49]
	v_fma_f64 v[52:53], v[24:25], v[94:95], v[52:53]
	v_add_f64 v[110:111], v[62:63], v[48:49]
	v_mul_f64 v[48:49], v[24:25], v[36:37]
	v_add_f64 v[112:113], v[52:53], v[64:65]
	;; [unrolled: 6-line block ×3, first 2 shown]
	v_fma_f64 v[48:49], v[22:23], v[30:31], -v[48:49]
	v_mul_f64 v[22:23], v[22:23], v[32:33]
	v_add_f64 v[118:119], v[42:43], v[48:49]
	v_fma_f64 v[22:23], v[24:25], v[30:31], v[22:23]
	v_add_f64 v[120:121], v[22:23], v[46:47]
	ds_read_b128 v[22:25], v93 offset:2048
	s_waitcnt lgkmcnt(0)
	v_mul_f64 v[42:43], v[24:25], v[88:89]
	v_mul_f64 v[46:47], v[22:23], v[88:89]
	v_fma_f64 v[42:43], v[22:23], v[86:87], -v[42:43]
	v_fma_f64 v[46:47], v[24:25], v[86:87], v[46:47]
	v_add_f64 v[122:123], v[66:67], v[42:43]
	v_mul_f64 v[42:43], v[24:25], v[96:97]
	v_add_f64 v[124:125], v[46:47], v[68:69]
	v_mul_f64 v[46:47], v[22:23], v[96:97]
	v_fma_f64 v[42:43], v[22:23], v[94:95], -v[42:43]
	v_fma_f64 v[46:47], v[24:25], v[94:95], v[46:47]
	v_add_f64 v[126:127], v[56:57], v[42:43]
	v_mul_f64 v[42:43], v[24:25], v[36:37]
	v_add_f64 v[128:129], v[46:47], v[60:61]
	;; [unrolled: 6-line block ×3, first 2 shown]
	v_fma_f64 v[42:43], v[22:23], v[30:31], -v[42:43]
	v_mul_f64 v[22:23], v[22:23], v[32:33]
	v_add_f64 v[134:135], v[38:39], v[42:43]
	v_fma_f64 v[22:23], v[24:25], v[30:31], v[22:23]
	v_add_f64 v[136:137], v[22:23], v[40:41]
	ds_read_b128 v[22:25], v93 offset:3072
	s_waitcnt lgkmcnt(0)
	v_mul_f64 v[38:39], v[24:25], v[88:89]
	v_mul_f64 v[40:41], v[22:23], v[88:89]
	v_fma_f64 v[38:39], v[22:23], v[86:87], -v[38:39]
	v_fma_f64 v[40:41], v[24:25], v[86:87], v[40:41]
	v_add_f64 v[58:59], v[18:19], v[38:39]
	v_add_f64 v[60:61], v[40:41], v[20:21]
	v_mul_f64 v[18:19], v[24:25], v[96:97]
	v_mul_f64 v[20:21], v[22:23], v[96:97]
	v_fma_f64 v[18:19], v[22:23], v[94:95], -v[18:19]
	v_fma_f64 v[20:21], v[24:25], v[94:95], v[20:21]
	v_add_f64 v[54:55], v[14:15], v[18:19]
	v_add_f64 v[56:57], v[20:21], v[16:17]
	v_mul_f64 v[14:15], v[24:25], v[36:37]
	v_mul_f64 v[16:17], v[22:23], v[36:37]
	ds_read_b128 v[18:21], v90 offset:1280
	v_fma_f64 v[14:15], v[22:23], v[34:35], -v[14:15]
	v_fma_f64 v[16:17], v[24:25], v[34:35], v[16:17]
	v_add_f64 v[50:51], v[10:11], v[14:15]
	v_add_f64 v[52:53], v[16:17], v[12:13]
	v_mul_f64 v[10:11], v[24:25], v[32:33]
	v_mul_f64 v[12:13], v[22:23], v[32:33]
	ds_read_b128 v[14:17], v90 offset:1536
	v_fma_f64 v[10:11], v[22:23], v[30:31], -v[10:11]
	v_fma_f64 v[12:13], v[24:25], v[30:31], v[12:13]
	ds_read_b128 v[22:25], v90 offset:1024
	v_add_f64 v[46:47], v[74:75], v[10:11]
	v_add_f64 v[48:49], v[12:13], v[76:77]
	s_waitcnt lgkmcnt(0)
	v_mul_f64 v[10:11], v[84:85], v[24:25]
	v_mul_f64 v[12:13], v[82:83], v[24:25]
	ds_read_b128 v[74:77], v93 offset:1040
	v_fma_f64 v[10:11], v[82:83], v[22:23], -v[10:11]
	v_fma_f64 v[12:13], v[84:85], v[22:23], v[12:13]
	s_waitcnt lgkmcnt(0)
	v_mul_f64 v[62:63], v[76:77], v[24:25]
	v_mul_f64 v[64:65], v[74:75], v[24:25]
	;; [unrolled: 1-line block ×4, first 2 shown]
	v_add_f64 v[42:43], v[98:99], v[10:11]
	v_add_f64 v[44:45], v[12:13], v[100:101]
	v_mul_f64 v[10:11], v[84:85], v[20:21]
	v_mul_f64 v[12:13], v[82:83], v[20:21]
	v_fma_f64 v[62:63], v[74:75], v[22:23], -v[62:63]
	v_fma_f64 v[64:65], v[76:77], v[22:23], v[64:65]
	v_fma_f64 v[66:67], v[74:75], v[18:19], -v[66:67]
	v_fma_f64 v[68:69], v[76:77], v[18:19], v[68:69]
	;; [unrolled: 2-line block ×3, first 2 shown]
	v_add_f64 v[62:63], v[70:71], v[62:63]
	v_mul_f64 v[70:71], v[76:77], v[16:17]
	v_add_f64 v[64:65], v[64:65], v[72:73]
	v_mul_f64 v[72:73], v[74:75], v[16:17]
	v_add_f64 v[66:67], v[110:111], v[66:67]
	v_add_f64 v[68:69], v[68:69], v[112:113]
	;; [unrolled: 1-line block ×4, first 2 shown]
	v_mul_f64 v[10:11], v[84:85], v[16:17]
	v_mul_f64 v[12:13], v[82:83], v[16:17]
	v_fma_f64 v[70:71], v[74:75], v[14:15], -v[70:71]
	v_fma_f64 v[72:73], v[76:77], v[14:15], v[72:73]
	v_fma_f64 v[10:11], v[82:83], v[14:15], -v[10:11]
	v_fma_f64 v[12:13], v[84:85], v[14:15], v[12:13]
	v_add_f64 v[70:71], v[114:115], v[70:71]
	v_add_f64 v[72:73], v[72:73], v[116:117]
	v_add_f64 v[34:35], v[106:107], v[10:11]
	v_add_f64 v[36:37], v[12:13], v[108:109]
	ds_read_b128 v[10:13], v90 offset:1792
	s_waitcnt lgkmcnt(0)
	v_mul_f64 v[30:31], v[84:85], v[12:13]
	v_mul_f64 v[32:33], v[82:83], v[12:13]
	v_fma_f64 v[30:31], v[82:83], v[10:11], -v[30:31]
	v_fma_f64 v[32:33], v[84:85], v[10:11], v[32:33]
	v_add_f64 v[30:31], v[78:79], v[30:31]
	v_mul_f64 v[78:79], v[76:77], v[12:13]
	v_add_f64 v[32:33], v[32:33], v[80:81]
	v_fma_f64 v[78:79], v[74:75], v[10:11], -v[78:79]
	v_mul_f64 v[74:75], v[74:75], v[12:13]
	v_fma_f64 v[76:77], v[76:77], v[10:11], v[74:75]
	v_add_f64 v[74:75], v[118:119], v[78:79]
	ds_read_b128 v[78:81], v93 offset:2064
	s_waitcnt lgkmcnt(0)
	v_mul_f64 v[82:83], v[80:81], v[24:25]
	v_mul_f64 v[86:87], v[80:81], v[20:21]
	;; [unrolled: 1-line block ×7, first 2 shown]
	v_add_f64 v[76:77], v[76:77], v[120:121]
	v_fma_f64 v[82:83], v[78:79], v[22:23], -v[82:83]
	v_fma_f64 v[86:87], v[78:79], v[18:19], -v[86:87]
	;; [unrolled: 1-line block ×4, first 2 shown]
	v_mul_f64 v[78:79], v[78:79], v[12:13]
	v_fma_f64 v[84:85], v[80:81], v[22:23], v[84:85]
	v_fma_f64 v[88:89], v[80:81], v[18:19], v[88:89]
	;; [unrolled: 1-line block ×3, first 2 shown]
	v_add_f64 v[82:83], v[122:123], v[82:83]
	v_add_f64 v[86:87], v[126:127], v[86:87]
	;; [unrolled: 1-line block ×4, first 2 shown]
	v_fma_f64 v[78:79], v[80:81], v[10:11], v[78:79]
	v_add_f64 v[84:85], v[84:85], v[124:125]
	v_add_f64 v[88:89], v[88:89], v[128:129]
	;; [unrolled: 1-line block ×4, first 2 shown]
	ds_read_b128 v[78:81], v93 offset:3088
	s_waitcnt lgkmcnt(0)
	v_mul_f64 v[102:103], v[80:81], v[24:25]
	v_mul_f64 v[24:25], v[78:79], v[24:25]
	v_fma_f64 v[102:103], v[78:79], v[22:23], -v[102:103]
	v_fma_f64 v[22:23], v[80:81], v[22:23], v[24:25]
	v_add_f64 v[58:59], v[58:59], v[102:103]
	v_add_f64 v[60:61], v[22:23], v[60:61]
	v_mul_f64 v[22:23], v[80:81], v[20:21]
	v_mul_f64 v[20:21], v[78:79], v[20:21]
	v_fma_f64 v[22:23], v[78:79], v[18:19], -v[22:23]
	v_fma_f64 v[18:19], v[80:81], v[18:19], v[20:21]
	v_add_f64 v[54:55], v[54:55], v[22:23]
	v_add_f64 v[56:57], v[18:19], v[56:57]
	;; [unrolled: 6-line block ×4, first 2 shown]
	ds_read_b128 v[10:13], v90 offset:2048
	s_waitcnt lgkmcnt(0)
	v_mul_f64 v[14:15], v[8:9], v[12:13]
	v_mul_f64 v[16:17], v[6:7], v[12:13]
	v_fma_f64 v[14:15], v[6:7], v[10:11], -v[14:15]
	v_fma_f64 v[16:17], v[8:9], v[10:11], v[16:17]
	v_add_f64 v[42:43], v[42:43], v[14:15]
	v_add_f64 v[44:45], v[16:17], v[44:45]
	ds_read_b128 v[14:17], v90 offset:2304
	s_waitcnt lgkmcnt(0)
	v_mul_f64 v[18:19], v[8:9], v[16:17]
	v_mul_f64 v[20:21], v[6:7], v[16:17]
	v_fma_f64 v[18:19], v[6:7], v[14:15], -v[18:19]
	v_fma_f64 v[20:21], v[8:9], v[14:15], v[20:21]
	v_add_f64 v[38:39], v[38:39], v[18:19]
	v_add_f64 v[40:41], v[20:21], v[40:41]
	;; [unrolled: 8-line block ×3, first 2 shown]
	ds_read_b128 v[22:25], v90 offset:2816
	s_waitcnt lgkmcnt(0)
	v_mul_f64 v[34:35], v[8:9], v[24:25]
	v_fma_f64 v[34:35], v[6:7], v[22:23], -v[34:35]
	v_mul_f64 v[6:7], v[6:7], v[24:25]
	v_add_f64 v[106:107], v[30:31], v[34:35]
	v_fma_f64 v[6:7], v[8:9], v[22:23], v[6:7]
	v_add_f64 v[108:109], v[6:7], v[32:33]
	ds_read_b128 v[6:9], v93 offset:1056
	s_waitcnt lgkmcnt(0)
	v_mul_f64 v[30:31], v[8:9], v[12:13]
	v_mul_f64 v[32:33], v[6:7], v[12:13]
	v_fma_f64 v[30:31], v[6:7], v[10:11], -v[30:31]
	v_fma_f64 v[32:33], v[8:9], v[10:11], v[32:33]
	v_add_f64 v[62:63], v[62:63], v[30:31]
	v_mul_f64 v[30:31], v[8:9], v[16:17]
	v_add_f64 v[64:65], v[32:33], v[64:65]
	v_mul_f64 v[32:33], v[6:7], v[16:17]
	v_fma_f64 v[30:31], v[6:7], v[14:15], -v[30:31]
	v_fma_f64 v[32:33], v[8:9], v[14:15], v[32:33]
	v_add_f64 v[66:67], v[66:67], v[30:31]
	v_mul_f64 v[30:31], v[8:9], v[20:21]
	v_add_f64 v[68:69], v[32:33], v[68:69]
	v_mul_f64 v[32:33], v[6:7], v[20:21]
	v_fma_f64 v[30:31], v[6:7], v[18:19], -v[30:31]
	v_fma_f64 v[32:33], v[8:9], v[18:19], v[32:33]
	v_add_f64 v[110:111], v[70:71], v[30:31]
	v_mul_f64 v[30:31], v[8:9], v[24:25]
	v_add_f64 v[112:113], v[32:33], v[72:73]
	v_fma_f64 v[30:31], v[6:7], v[22:23], -v[30:31]
	v_mul_f64 v[6:7], v[6:7], v[24:25]
	v_add_f64 v[114:115], v[74:75], v[30:31]
	v_fma_f64 v[6:7], v[8:9], v[22:23], v[6:7]
	v_add_f64 v[116:117], v[6:7], v[76:77]
	ds_read_b128 v[6:9], v93 offset:2080
	s_waitcnt lgkmcnt(0)
	v_mul_f64 v[30:31], v[8:9], v[12:13]
	v_mul_f64 v[32:33], v[6:7], v[12:13]
	v_fma_f64 v[30:31], v[6:7], v[10:11], -v[30:31]
	v_fma_f64 v[32:33], v[8:9], v[10:11], v[32:33]
	v_add_f64 v[118:119], v[82:83], v[30:31]
	v_mul_f64 v[30:31], v[8:9], v[16:17]
	v_add_f64 v[120:121], v[32:33], v[84:85]
	v_mul_f64 v[32:33], v[6:7], v[16:17]
	v_fma_f64 v[30:31], v[6:7], v[14:15], -v[30:31]
	v_fma_f64 v[32:33], v[8:9], v[14:15], v[32:33]
	v_add_f64 v[122:123], v[86:87], v[30:31]
	v_mul_f64 v[30:31], v[8:9], v[20:21]
	v_add_f64 v[124:125], v[32:33], v[88:89]
	;; [unrolled: 6-line block ×3, first 2 shown]
	v_fma_f64 v[30:31], v[6:7], v[22:23], -v[30:31]
	v_mul_f64 v[6:7], v[6:7], v[24:25]
	v_add_f64 v[98:99], v[98:99], v[30:31]
	v_fma_f64 v[6:7], v[8:9], v[22:23], v[6:7]
	v_add_f64 v[100:101], v[6:7], v[100:101]
	ds_read_b128 v[6:9], v93 offset:3104
	s_waitcnt lgkmcnt(0)
	v_mul_f64 v[30:31], v[8:9], v[12:13]
	v_mul_f64 v[12:13], v[6:7], v[12:13]
	v_fma_f64 v[30:31], v[6:7], v[10:11], -v[30:31]
	v_fma_f64 v[10:11], v[8:9], v[10:11], v[12:13]
	v_mul_f64 v[12:13], v[6:7], v[16:17]
	v_add_f64 v[86:87], v[58:59], v[30:31]
	v_add_f64 v[88:89], v[10:11], v[60:61]
	v_mul_f64 v[10:11], v[8:9], v[16:17]
	v_fma_f64 v[12:13], v[8:9], v[14:15], v[12:13]
	v_fma_f64 v[10:11], v[6:7], v[14:15], -v[10:11]
	v_add_f64 v[84:85], v[12:13], v[56:57]
	v_mul_f64 v[12:13], v[6:7], v[20:21]
	ds_read_b128 v[14:17], v90 offset:3328
	v_add_f64 v[82:83], v[54:55], v[10:11]
	v_mul_f64 v[10:11], v[8:9], v[20:21]
	v_fma_f64 v[12:13], v[8:9], v[18:19], v[12:13]
	v_fma_f64 v[10:11], v[6:7], v[18:19], -v[10:11]
	ds_read_b128 v[18:21], v90 offset:3072
	v_add_f64 v[80:81], v[12:13], v[52:53]
	v_add_f64 v[78:79], v[50:51], v[10:11]
	v_mul_f64 v[10:11], v[8:9], v[24:25]
	v_fma_f64 v[10:11], v[6:7], v[22:23], -v[10:11]
	v_mul_f64 v[6:7], v[6:7], v[24:25]
	v_add_f64 v[74:75], v[46:47], v[10:11]
	v_fma_f64 v[6:7], v[8:9], v[22:23], v[6:7]
	s_waitcnt lgkmcnt(0)
	v_mul_f64 v[8:9], v[2:3], v[20:21]
	ds_read_b128 v[10:13], v90 offset:3584
	v_add_f64 v[76:77], v[6:7], v[48:49]
	v_mul_f64 v[6:7], v[4:5], v[20:21]
	v_fma_f64 v[8:9], v[4:5], v[18:19], v[8:9]
	v_fma_f64 v[6:7], v[2:3], v[18:19], -v[6:7]
	v_add_f64 v[52:53], v[8:9], v[44:45]
	v_mul_f64 v[8:9], v[2:3], v[16:17]
	v_add_f64 v[48:49], v[42:43], v[6:7]
	v_mul_f64 v[6:7], v[4:5], v[16:17]
	v_fma_f64 v[8:9], v[4:5], v[14:15], v[8:9]
	v_fma_f64 v[6:7], v[2:3], v[14:15], -v[6:7]
	v_add_f64 v[36:37], v[8:9], v[40:41]
	s_waitcnt lgkmcnt(0)
	v_mul_f64 v[8:9], v[2:3], v[12:13]
	v_add_f64 v[34:35], v[38:39], v[6:7]
	v_mul_f64 v[6:7], v[4:5], v[12:13]
	v_fma_f64 v[8:9], v[4:5], v[10:11], v[8:9]
	v_fma_f64 v[6:7], v[2:3], v[10:11], -v[6:7]
	v_add_f64 v[32:33], v[8:9], v[104:105]
	v_add_f64 v[30:31], v[102:103], v[6:7]
	ds_read_b128 v[6:9], v90 offset:3840
	s_waitcnt lgkmcnt(0)
	v_mul_f64 v[22:23], v[4:5], v[8:9]
	v_fma_f64 v[22:23], v[2:3], v[6:7], -v[22:23]
	v_mul_f64 v[2:3], v[2:3], v[8:9]
	v_add_f64 v[22:23], v[106:107], v[22:23]
	v_fma_f64 v[2:3], v[4:5], v[6:7], v[2:3]
	v_add_f64 v[24:25], v[2:3], v[108:109]
	ds_read_b128 v[2:5], v93 offset:1072
	s_waitcnt lgkmcnt(0)
	v_mul_f64 v[38:39], v[4:5], v[20:21]
	v_mul_f64 v[40:41], v[2:3], v[20:21]
	v_fma_f64 v[38:39], v[2:3], v[18:19], -v[38:39]
	v_fma_f64 v[40:41], v[4:5], v[18:19], v[40:41]
	v_add_f64 v[70:71], v[62:63], v[38:39]
	v_mul_f64 v[38:39], v[4:5], v[16:17]
	v_add_f64 v[72:73], v[40:41], v[64:65]
	v_mul_f64 v[40:41], v[2:3], v[16:17]
	v_fma_f64 v[38:39], v[2:3], v[14:15], -v[38:39]
	v_fma_f64 v[40:41], v[4:5], v[14:15], v[40:41]
	v_add_f64 v[62:63], v[66:67], v[38:39]
	v_mul_f64 v[38:39], v[4:5], v[12:13]
	v_add_f64 v[64:65], v[40:41], v[68:69]
	;; [unrolled: 6-line block ×3, first 2 shown]
	v_fma_f64 v[38:39], v[2:3], v[6:7], -v[38:39]
	v_mul_f64 v[2:3], v[2:3], v[8:9]
	v_add_f64 v[42:43], v[114:115], v[38:39]
	v_fma_f64 v[2:3], v[4:5], v[6:7], v[2:3]
	v_add_f64 v[46:47], v[2:3], v[116:117]
	ds_read_b128 v[2:5], v93 offset:2096
	s_waitcnt lgkmcnt(0)
	v_mul_f64 v[38:39], v[4:5], v[20:21]
	v_mul_f64 v[40:41], v[2:3], v[20:21]
	v_fma_f64 v[38:39], v[2:3], v[18:19], -v[38:39]
	v_fma_f64 v[40:41], v[4:5], v[18:19], v[40:41]
	v_add_f64 v[66:67], v[118:119], v[38:39]
	v_mul_f64 v[38:39], v[4:5], v[16:17]
	v_add_f64 v[68:69], v[40:41], v[120:121]
	v_mul_f64 v[40:41], v[2:3], v[16:17]
	v_fma_f64 v[38:39], v[2:3], v[14:15], -v[38:39]
	v_fma_f64 v[40:41], v[4:5], v[14:15], v[40:41]
	v_add_f64 v[56:57], v[122:123], v[38:39]
	v_mul_f64 v[38:39], v[4:5], v[12:13]
	v_add_f64 v[60:61], v[40:41], v[124:125]
	;; [unrolled: 6-line block ×3, first 2 shown]
	v_fma_f64 v[38:39], v[2:3], v[6:7], -v[38:39]
	v_mul_f64 v[2:3], v[2:3], v[8:9]
	v_add_f64 v[38:39], v[98:99], v[38:39]
	v_fma_f64 v[2:3], v[4:5], v[6:7], v[2:3]
	v_add_f64 v[40:41], v[2:3], v[100:101]
	ds_read_b128 v[2:5], v93 offset:3120
	s_waitcnt lgkmcnt(0)
	s_barrier
	buffer_gl0_inv
	v_mul_f64 v[94:95], v[4:5], v[20:21]
	v_mul_f64 v[20:21], v[2:3], v[20:21]
	v_fma_f64 v[94:95], v[2:3], v[18:19], -v[94:95]
	v_fma_f64 v[20:21], v[4:5], v[18:19], v[20:21]
	v_add_f64 v[18:19], v[86:87], v[94:95]
	v_mul_f64 v[86:87], v[4:5], v[16:17]
	v_mul_f64 v[16:17], v[2:3], v[16:17]
	v_add_f64 v[20:21], v[20:21], v[88:89]
	v_fma_f64 v[86:87], v[2:3], v[14:15], -v[86:87]
	v_fma_f64 v[16:17], v[4:5], v[14:15], v[16:17]
	v_add_f64 v[14:15], v[82:83], v[86:87]
	v_mul_f64 v[82:83], v[4:5], v[12:13]
	v_mul_f64 v[12:13], v[2:3], v[12:13]
	v_add_f64 v[16:17], v[16:17], v[84:85]
	v_fma_f64 v[82:83], v[2:3], v[10:11], -v[82:83]
	v_fma_f64 v[12:13], v[4:5], v[10:11], v[12:13]
	v_add_f64 v[10:11], v[78:79], v[82:83]
	v_mul_f64 v[78:79], v[4:5], v[8:9]
	v_add_f64 v[12:13], v[12:13], v[80:81]
	v_fma_f64 v[78:79], v[2:3], v[6:7], -v[78:79]
	v_mul_f64 v[2:3], v[2:3], v[8:9]
	v_add_f64 v[74:75], v[74:75], v[78:79]
	v_fma_f64 v[2:3], v[4:5], v[6:7], v[2:3]
	v_add_f64 v[76:77], v[2:3], v[76:77]
	s_cbranch_vccnz .LBB535_2
	s_branch .LBB535_4
.LBB535_3:
	v_mov_b32_e32 v48, 0
	v_mov_b32_e32 v52, 0
	;; [unrolled: 1-line block ×64, first 2 shown]
.LBB535_4:
	s_load_dwordx2 s[4:5], s[4:5], 0x90
	v_cmp_neq_f64_e64 s6, s[38:39], 0
	v_cmp_neq_f64_e64 s7, s[40:41], 0
	v_add_co_u32 v6, s2, s2, v1
	v_add_co_u32 v0, s0, s0, v0
	v_add_co_ci_u32_e64 v7, null, s3, 0, s2
	v_add_co_ci_u32_e64 v1, null, s1, 0, s0
	s_waitcnt lgkmcnt(0)
	s_mul_i32 s5, s5, s8
	s_mul_hi_u32 s9, s4, s8
	s_mul_i32 s4, s4, s8
	s_add_i32 s5, s9, s5
	s_lshl_b64 s[4:5], s[4:5], 4
	s_add_u32 s2, s48, s4
	s_addc_u32 s3, s49, s5
	s_or_b32 s4, s6, s7
	s_and_b32 vcc_lo, exec_lo, s4
	s_cbranch_vccnz .LBB535_6
; %bb.5:
	v_mul_f64 v[4:5], s[16:17], v[52:53]
	v_mul_f64 v[8:9], s[14:15], v[52:53]
	v_mul_lo_u32 v78, v7, s50
	v_mul_lo_u32 v79, v6, s51
	v_mad_u64_u32 v[2:3], null, v6, s50, 0
	v_mul_f64 v[26:27], s[16:17], v[36:37]
	v_mul_f64 v[28:29], s[14:15], v[36:37]
	;; [unrolled: 1-line block ×6, first 2 shown]
	v_add3_u32 v3, v3, v79, v78
	v_mul_f64 v[78:79], s[16:17], v[32:33]
	v_mul_f64 v[88:89], s[14:15], v[72:73]
	;; [unrolled: 1-line block ×4, first 2 shown]
	v_lshlrev_b64 v[2:3], 4, v[2:3]
	v_mul_f64 v[94:95], s[16:17], v[58:59]
	v_mul_f64 v[96:97], s[14:15], v[58:59]
	;; [unrolled: 1-line block ×4, first 2 shown]
	s_lshl_b64 s[0:1], s[50:51], 8
	v_add_co_u32 v104, vcc_lo, s2, v2
	v_add_co_ci_u32_e64 v105, null, s3, v3, vcc_lo
	v_fma_f64 v[2:3], s[14:15], v[48:49], -v[4:5]
	v_fma_f64 v[4:5], s[16:17], v[48:49], v[8:9]
	v_lshlrev_b64 v[8:9], 4, v[0:1]
	v_fma_f64 v[26:27], s[14:15], v[34:35], -v[26:27]
	v_fma_f64 v[28:29], s[16:17], v[34:35], v[28:29]
	v_fma_f64 v[80:81], s[16:17], v[30:31], v[80:81]
	v_fma_f64 v[82:83], s[14:15], v[22:23], -v[82:83]
	v_fma_f64 v[84:85], s[16:17], v[22:23], v[84:85]
	v_add_co_u32 v102, vcc_lo, v104, v8
	v_fma_f64 v[78:79], s[14:15], v[30:31], -v[78:79]
	v_add_co_ci_u32_e64 v103, null, v105, v9, vcc_lo
	v_fma_f64 v[86:87], s[14:15], v[70:71], -v[86:87]
	v_fma_f64 v[88:89], s[16:17], v[70:71], v[88:89]
	v_fma_f64 v[90:91], s[14:15], v[62:63], -v[90:91]
	v_fma_f64 v[92:93], s[16:17], v[62:63], v[92:93]
	;; [unrolled: 2-line block ×3, first 2 shown]
	v_add_co_u32 v106, vcc_lo, v104, s0
	v_add_co_ci_u32_e64 v107, null, s1, v105, vcc_lo
	global_store_dwordx4 v[102:103], v[2:5], off
	v_fma_f64 v[2:3], s[14:15], v[42:43], -v[98:99]
	v_fma_f64 v[4:5], s[16:17], v[42:43], v[100:101]
	v_add_co_u32 v104, vcc_lo, v106, v8
	v_add_co_ci_u32_e64 v105, null, v107, v9, vcc_lo
	global_store_dwordx4 v[102:103], v[26:29], off offset:256
	global_store_dwordx4 v[102:103], v[78:81], off offset:512
	;; [unrolled: 1-line block ×3, first 2 shown]
	global_store_dwordx4 v[104:105], v[86:89], off
	global_store_dwordx4 v[104:105], v[90:93], off offset:256
	global_store_dwordx4 v[104:105], v[94:97], off offset:512
	v_mul_f64 v[26:27], s[16:17], v[68:69]
	v_mul_f64 v[28:29], s[14:15], v[68:69]
	;; [unrolled: 1-line block ×12, first 2 shown]
	global_store_dwordx4 v[104:105], v[2:5], off offset:768
	v_mul_f64 v[2:3], s[16:17], v[76:77]
	v_mul_f64 v[4:5], s[14:15], v[76:77]
	;; [unrolled: 1-line block ×4, first 2 shown]
	v_add_co_u32 v104, vcc_lo, v106, s0
	v_add_co_ci_u32_e64 v105, null, s1, v107, vcc_lo
	v_fma_f64 v[26:27], s[14:15], v[66:67], -v[26:27]
	v_fma_f64 v[28:29], s[16:17], v[66:67], v[28:29]
	v_fma_f64 v[78:79], s[14:15], v[56:57], -v[78:79]
	v_fma_f64 v[80:81], s[16:17], v[56:57], v[80:81]
	;; [unrolled: 2-line block ×6, first 2 shown]
	v_add_co_u32 v106, vcc_lo, v104, s0
	v_fma_f64 v[102:103], s[14:15], v[74:75], -v[2:3]
	v_fma_f64 v[2:3], s[16:17], v[74:75], v[4:5]
	v_fma_f64 v[98:99], s[14:15], v[10:11], -v[98:99]
	v_fma_f64 v[100:101], s[16:17], v[10:11], v[100:101]
	v_add_co_ci_u32_e64 v107, null, s1, v105, vcc_lo
	v_add_co_u32 v4, vcc_lo, v104, v8
	v_add_co_ci_u32_e64 v5, null, v105, v9, vcc_lo
	v_add_co_u32 v8, vcc_lo, v106, v8
	v_add_co_ci_u32_e64 v9, null, v107, v9, vcc_lo
	global_store_dwordx4 v[4:5], v[26:29], off
	global_store_dwordx4 v[4:5], v[78:81], off offset:256
	global_store_dwordx4 v[4:5], v[82:85], off offset:512
	;; [unrolled: 1-line block ×3, first 2 shown]
	global_store_dwordx4 v[8:9], v[90:93], off
	v_add_co_u32 v4, vcc_lo, 0x300, v8
	v_add_co_ci_u32_e64 v5, null, 0, v9, vcc_lo
	global_store_dwordx4 v[8:9], v[94:97], off offset:256
	global_store_dwordx4 v[8:9], v[98:101], off offset:512
	global_store_dwordx2 v[8:9], v[102:103], off offset:768
	s_cbranch_execz .LBB535_7
	s_branch .LBB535_8
.LBB535_6:
                                        ; implicit-def: $vgpr2_vgpr3
                                        ; implicit-def: $vgpr4_vgpr5
.LBB535_7:
	v_mul_lo_u32 v4, v7, s44
	v_mul_lo_u32 v5, v6, s45
	v_mad_u64_u32 v[2:3], null, v6, s44, 0
	s_mul_i32 s1, s47, s8
	s_mul_hi_u32 s4, s46, s8
	s_mul_i32 s0, s46, s8
	s_add_i32 s1, s4, s1
	v_mul_f64 v[26:27], s[16:17], v[52:53]
	s_lshl_b64 s[0:1], s[0:1], 4
	v_add3_u32 v3, v3, v5, v4
	s_add_u32 s0, s42, s0
	v_lshlrev_b64 v[4:5], 4, v[0:1]
	s_addc_u32 s1, s43, s1
	v_mul_f64 v[28:29], s[14:15], v[52:53]
	v_lshlrev_b64 v[2:3], 4, v[2:3]
	v_add_co_u32 v78, vcc_lo, s0, v2
	v_add_co_ci_u32_e64 v79, null, s1, v3, vcc_lo
	s_lshl_b64 s[0:1], s[44:45], 8
	v_add_co_u32 v8, vcc_lo, v78, v4
	v_add_co_ci_u32_e64 v9, null, v79, v5, vcc_lo
	v_fma_f64 v[26:27], s[14:15], v[48:49], -v[26:27]
	global_load_dwordx4 v[0:3], v[8:9], off
	v_fma_f64 v[28:29], s[16:17], v[48:49], v[28:29]
	s_waitcnt vmcnt(0)
	v_mul_f64 v[52:53], s[40:41], v[2:3]
	v_mul_f64 v[2:3], s[38:39], v[2:3]
	v_fma_f64 v[48:49], s[38:39], v[0:1], -v[52:53]
	v_fma_f64 v[2:3], s[40:41], v[0:1], v[2:3]
	v_mul_lo_u32 v0, v7, s50
	v_mul_lo_u32 v1, v6, s51
	v_mad_u64_u32 v[6:7], null, v6, s50, 0
	v_add3_u32 v7, v7, v1, v0
	v_lshlrev_b64 v[6:7], 4, v[6:7]
	v_add_f64 v[0:1], v[26:27], v[48:49]
	v_add_f64 v[2:3], v[28:29], v[2:3]
	v_add_co_u32 v48, vcc_lo, s2, v6
	v_add_co_ci_u32_e64 v49, null, s3, v7, vcc_lo
	v_mul_f64 v[26:27], s[16:17], v[36:37]
	v_add_co_u32 v6, vcc_lo, v48, v4
	v_add_co_ci_u32_e64 v7, null, v49, v5, vcc_lo
	v_mul_f64 v[28:29], s[14:15], v[36:37]
	s_lshl_b64 s[2:3], s[50:51], 8
	global_store_dwordx4 v[6:7], v[0:3], off
	global_load_dwordx4 v[0:3], v[8:9], off offset:256
	v_fma_f64 v[26:27], s[14:15], v[34:35], -v[26:27]
	v_fma_f64 v[28:29], s[16:17], v[34:35], v[28:29]
	s_waitcnt vmcnt(0)
	v_mul_f64 v[36:37], s[40:41], v[2:3]
	v_mul_f64 v[2:3], s[38:39], v[2:3]
	v_fma_f64 v[34:35], s[38:39], v[0:1], -v[36:37]
	v_fma_f64 v[2:3], s[40:41], v[0:1], v[2:3]
	v_add_f64 v[0:1], v[26:27], v[34:35]
	v_add_f64 v[2:3], v[28:29], v[2:3]
	v_mul_f64 v[26:27], s[16:17], v[32:33]
	v_mul_f64 v[28:29], s[14:15], v[32:33]
	global_store_dwordx4 v[6:7], v[0:3], off offset:256
	global_load_dwordx4 v[0:3], v[8:9], off offset:512
	v_fma_f64 v[26:27], s[14:15], v[30:31], -v[26:27]
	v_fma_f64 v[28:29], s[16:17], v[30:31], v[28:29]
	s_waitcnt vmcnt(0)
	v_mul_f64 v[32:33], s[40:41], v[2:3]
	v_mul_f64 v[2:3], s[38:39], v[2:3]
	v_fma_f64 v[30:31], s[38:39], v[0:1], -v[32:33]
	v_fma_f64 v[2:3], s[40:41], v[0:1], v[2:3]
	v_add_f64 v[0:1], v[26:27], v[30:31]
	v_add_f64 v[2:3], v[28:29], v[2:3]
	v_add_co_u32 v28, vcc_lo, v78, s0
	v_add_co_ci_u32_e64 v29, null, s1, v79, vcc_lo
	global_store_dwordx4 v[6:7], v[0:3], off offset:512
	global_load_dwordx4 v[0:3], v[8:9], off offset:768
	v_mul_f64 v[8:9], s[16:17], v[24:25]
	v_mul_f64 v[24:25], s[14:15], v[24:25]
	v_fma_f64 v[8:9], s[14:15], v[22:23], -v[8:9]
	v_fma_f64 v[22:23], s[16:17], v[22:23], v[24:25]
	s_waitcnt vmcnt(0)
	v_mul_f64 v[26:27], s[40:41], v[2:3]
	v_mul_f64 v[2:3], s[38:39], v[2:3]
	v_fma_f64 v[24:25], s[38:39], v[0:1], -v[26:27]
	v_fma_f64 v[2:3], s[40:41], v[0:1], v[2:3]
	v_add_f64 v[0:1], v[8:9], v[24:25]
	v_add_f64 v[2:3], v[22:23], v[2:3]
	v_add_co_u32 v8, vcc_lo, v28, v4
	v_add_co_ci_u32_e64 v9, null, v29, v5, vcc_lo
	v_mul_f64 v[22:23], s[14:15], v[72:73]
	v_add_co_u32 v30, vcc_lo, v48, s2
	v_add_co_ci_u32_e64 v31, null, s3, v49, vcc_lo
	global_store_dwordx4 v[6:7], v[0:3], off offset:768
	global_load_dwordx4 v[0:3], v[8:9], off
	v_mul_f64 v[6:7], s[16:17], v[72:73]
	v_fma_f64 v[22:23], s[16:17], v[70:71], v[22:23]
	v_fma_f64 v[6:7], s[14:15], v[70:71], -v[6:7]
	s_waitcnt vmcnt(0)
	v_mul_f64 v[24:25], s[40:41], v[2:3]
	v_mul_f64 v[2:3], s[38:39], v[2:3]
	v_fma_f64 v[24:25], s[38:39], v[0:1], -v[24:25]
	v_fma_f64 v[2:3], s[40:41], v[0:1], v[2:3]
	v_add_f64 v[0:1], v[6:7], v[24:25]
	v_add_f64 v[2:3], v[22:23], v[2:3]
	v_add_co_u32 v6, vcc_lo, v30, v4
	v_add_co_ci_u32_e64 v7, null, v31, v5, vcc_lo
	v_mul_f64 v[22:23], s[16:17], v[64:65]
	v_mul_f64 v[24:25], s[14:15], v[64:65]
	v_add_co_u32 v28, vcc_lo, v28, s0
	v_add_co_ci_u32_e64 v29, null, s1, v29, vcc_lo
	global_store_dwordx4 v[6:7], v[0:3], off
	global_load_dwordx4 v[0:3], v[8:9], off offset:256
	v_fma_f64 v[22:23], s[14:15], v[62:63], -v[22:23]
	v_fma_f64 v[24:25], s[16:17], v[62:63], v[24:25]
	s_waitcnt vmcnt(0)
	v_mul_f64 v[26:27], s[40:41], v[2:3]
	v_mul_f64 v[2:3], s[38:39], v[2:3]
	v_fma_f64 v[26:27], s[38:39], v[0:1], -v[26:27]
	v_fma_f64 v[2:3], s[40:41], v[0:1], v[2:3]
	v_add_f64 v[0:1], v[22:23], v[26:27]
	v_add_f64 v[2:3], v[24:25], v[2:3]
	v_mul_f64 v[22:23], s[16:17], v[58:59]
	v_mul_f64 v[24:25], s[14:15], v[58:59]
	global_store_dwordx4 v[6:7], v[0:3], off offset:256
	global_load_dwordx4 v[0:3], v[8:9], off offset:512
	v_fma_f64 v[22:23], s[14:15], v[54:55], -v[22:23]
	v_fma_f64 v[24:25], s[16:17], v[54:55], v[24:25]
	s_waitcnt vmcnt(0)
	v_mul_f64 v[26:27], s[40:41], v[2:3]
	v_mul_f64 v[2:3], s[38:39], v[2:3]
	v_fma_f64 v[26:27], s[38:39], v[0:1], -v[26:27]
	v_fma_f64 v[2:3], s[40:41], v[0:1], v[2:3]
	v_add_f64 v[0:1], v[22:23], v[26:27]
	v_add_f64 v[2:3], v[24:25], v[2:3]
	v_mul_f64 v[22:23], s[14:15], v[46:47]
	global_store_dwordx4 v[6:7], v[0:3], off offset:512
	global_load_dwordx4 v[0:3], v[8:9], off offset:768
	v_mul_f64 v[8:9], s[16:17], v[46:47]
	v_fma_f64 v[22:23], s[16:17], v[42:43], v[22:23]
	v_fma_f64 v[8:9], s[14:15], v[42:43], -v[8:9]
	s_waitcnt vmcnt(0)
	v_mul_f64 v[24:25], s[40:41], v[2:3]
	v_mul_f64 v[2:3], s[38:39], v[2:3]
	v_fma_f64 v[24:25], s[38:39], v[0:1], -v[24:25]
	v_fma_f64 v[2:3], s[40:41], v[0:1], v[2:3]
	v_add_f64 v[0:1], v[8:9], v[24:25]
	v_add_f64 v[2:3], v[22:23], v[2:3]
	v_add_co_u32 v8, vcc_lo, v28, v4
	v_add_co_ci_u32_e64 v9, null, v29, v5, vcc_lo
	v_mul_f64 v[22:23], s[14:15], v[68:69]
	v_add_co_u32 v30, vcc_lo, v30, s2
	v_add_co_ci_u32_e64 v31, null, s3, v31, vcc_lo
	global_store_dwordx4 v[6:7], v[0:3], off offset:768
	global_load_dwordx4 v[0:3], v[8:9], off
	v_mul_f64 v[6:7], s[16:17], v[68:69]
	v_fma_f64 v[22:23], s[16:17], v[66:67], v[22:23]
	v_fma_f64 v[6:7], s[14:15], v[66:67], -v[6:7]
	s_waitcnt vmcnt(0)
	v_mul_f64 v[24:25], s[40:41], v[2:3]
	v_mul_f64 v[2:3], s[38:39], v[2:3]
	v_fma_f64 v[24:25], s[38:39], v[0:1], -v[24:25]
	v_fma_f64 v[2:3], s[40:41], v[0:1], v[2:3]
	v_add_f64 v[0:1], v[6:7], v[24:25]
	v_add_f64 v[2:3], v[22:23], v[2:3]
	v_add_co_u32 v6, vcc_lo, v30, v4
	v_add_co_ci_u32_e64 v7, null, v31, v5, vcc_lo
	v_mul_f64 v[22:23], s[16:17], v[60:61]
	v_mul_f64 v[24:25], s[14:15], v[60:61]
	global_store_dwordx4 v[6:7], v[0:3], off
	global_load_dwordx4 v[0:3], v[8:9], off offset:256
	v_fma_f64 v[22:23], s[14:15], v[56:57], -v[22:23]
	v_fma_f64 v[24:25], s[16:17], v[56:57], v[24:25]
	s_waitcnt vmcnt(0)
	v_mul_f64 v[26:27], s[40:41], v[2:3]
	v_mul_f64 v[2:3], s[38:39], v[2:3]
	v_fma_f64 v[26:27], s[38:39], v[0:1], -v[26:27]
	v_fma_f64 v[2:3], s[40:41], v[0:1], v[2:3]
	v_add_f64 v[0:1], v[22:23], v[26:27]
	v_add_f64 v[2:3], v[24:25], v[2:3]
	v_mul_f64 v[22:23], s[16:17], v[50:51]
	v_mul_f64 v[24:25], s[14:15], v[50:51]
	global_store_dwordx4 v[6:7], v[0:3], off offset:256
	global_load_dwordx4 v[0:3], v[8:9], off offset:512
	v_fma_f64 v[22:23], s[14:15], v[44:45], -v[22:23]
	v_fma_f64 v[24:25], s[16:17], v[44:45], v[24:25]
	s_waitcnt vmcnt(0)
	v_mul_f64 v[26:27], s[40:41], v[2:3]
	v_mul_f64 v[2:3], s[38:39], v[2:3]
	v_fma_f64 v[26:27], s[38:39], v[0:1], -v[26:27]
	v_fma_f64 v[2:3], s[40:41], v[0:1], v[2:3]
	v_add_f64 v[0:1], v[22:23], v[26:27]
	v_add_f64 v[2:3], v[24:25], v[2:3]
	v_mul_f64 v[22:23], s[14:15], v[40:41]
	global_store_dwordx4 v[6:7], v[0:3], off offset:512
	global_load_dwordx4 v[0:3], v[8:9], off offset:768
	v_mul_f64 v[8:9], s[16:17], v[40:41]
	v_fma_f64 v[22:23], s[16:17], v[38:39], v[22:23]
	v_fma_f64 v[8:9], s[14:15], v[38:39], -v[8:9]
	s_waitcnt vmcnt(0)
	v_mul_f64 v[24:25], s[40:41], v[2:3]
	v_mul_f64 v[2:3], s[38:39], v[2:3]
	v_fma_f64 v[24:25], s[38:39], v[0:1], -v[24:25]
	v_fma_f64 v[2:3], s[40:41], v[0:1], v[2:3]
	v_add_f64 v[0:1], v[8:9], v[24:25]
	v_add_f64 v[2:3], v[22:23], v[2:3]
	v_add_co_u32 v8, vcc_lo, v28, s0
	v_add_co_ci_u32_e64 v9, null, s1, v29, vcc_lo
	v_add_co_u32 v8, vcc_lo, v8, v4
	v_add_co_ci_u32_e64 v9, null, v9, v5, vcc_lo
	global_store_dwordx4 v[6:7], v[0:3], off offset:768
	global_load_dwordx4 v[0:3], v[8:9], off
	v_mul_f64 v[6:7], s[16:17], v[20:21]
	v_mul_f64 v[20:21], s[14:15], v[20:21]
	v_fma_f64 v[6:7], s[14:15], v[18:19], -v[6:7]
	v_fma_f64 v[18:19], s[16:17], v[18:19], v[20:21]
	s_waitcnt vmcnt(0)
	v_mul_f64 v[22:23], s[40:41], v[2:3]
	v_mul_f64 v[2:3], s[38:39], v[2:3]
	v_fma_f64 v[20:21], s[38:39], v[0:1], -v[22:23]
	v_fma_f64 v[2:3], s[40:41], v[0:1], v[2:3]
	v_add_f64 v[0:1], v[6:7], v[20:21]
	v_add_f64 v[2:3], v[18:19], v[2:3]
	v_add_co_u32 v6, vcc_lo, v30, s2
	v_add_co_ci_u32_e64 v7, null, s3, v31, vcc_lo
	v_add_co_u32 v6, vcc_lo, v6, v4
	v_add_co_ci_u32_e64 v7, null, v7, v5, vcc_lo
	v_mul_f64 v[4:5], s[16:17], v[16:17]
	v_mul_f64 v[16:17], s[14:15], v[16:17]
	global_store_dwordx4 v[6:7], v[0:3], off
	global_load_dwordx4 v[0:3], v[8:9], off offset:256
	v_fma_f64 v[4:5], s[14:15], v[14:15], -v[4:5]
	v_fma_f64 v[14:15], s[16:17], v[14:15], v[16:17]
	s_waitcnt vmcnt(0)
	v_mul_f64 v[18:19], s[40:41], v[2:3]
	v_mul_f64 v[2:3], s[38:39], v[2:3]
	v_fma_f64 v[16:17], s[38:39], v[0:1], -v[18:19]
	v_fma_f64 v[2:3], s[40:41], v[0:1], v[2:3]
	v_add_f64 v[0:1], v[4:5], v[16:17]
	v_add_f64 v[2:3], v[14:15], v[2:3]
	v_mul_f64 v[4:5], s[16:17], v[12:13]
	v_mul_f64 v[12:13], s[14:15], v[12:13]
	global_store_dwordx4 v[6:7], v[0:3], off offset:256
	global_load_dwordx4 v[0:3], v[8:9], off offset:512
	v_fma_f64 v[4:5], s[14:15], v[10:11], -v[4:5]
	v_fma_f64 v[10:11], s[16:17], v[10:11], v[12:13]
	s_waitcnt vmcnt(0)
	v_mul_f64 v[14:15], s[40:41], v[2:3]
	v_mul_f64 v[2:3], s[38:39], v[2:3]
	v_fma_f64 v[12:13], s[38:39], v[0:1], -v[14:15]
	v_fma_f64 v[2:3], s[40:41], v[0:1], v[2:3]
	v_add_f64 v[0:1], v[4:5], v[12:13]
	v_add_f64 v[2:3], v[10:11], v[2:3]
	v_mul_f64 v[4:5], s[16:17], v[76:77]
	global_store_dwordx4 v[6:7], v[0:3], off offset:512
	global_load_dwordx4 v[0:3], v[8:9], off offset:768
	v_mul_f64 v[8:9], s[14:15], v[76:77]
	v_fma_f64 v[4:5], s[14:15], v[74:75], -v[4:5]
	v_fma_f64 v[8:9], s[16:17], v[74:75], v[8:9]
	s_waitcnt vmcnt(0)
	v_mul_f64 v[10:11], s[40:41], v[2:3]
	v_mul_f64 v[2:3], s[38:39], v[2:3]
	v_fma_f64 v[10:11], s[38:39], v[0:1], -v[10:11]
	v_fma_f64 v[0:1], s[40:41], v[0:1], v[2:3]
	v_add_f64 v[10:11], v[4:5], v[10:11]
	v_add_f64 v[2:3], v[8:9], v[0:1]
	v_add_co_u32 v4, vcc_lo, 0x300, v6
	v_add_co_ci_u32_e64 v5, null, 0, v7, vcc_lo
	global_store_dwordx2 v[6:7], v[10:11], off offset:768
.LBB535_8:
	global_store_dwordx2 v[4:5], v[2:3], off offset:8
	s_endpgm
	.section	.rodata,"a",@progbits
	.p2align	6, 0x0
	.amdhsa_kernel _ZN12_GLOBAL__N_127rocblas_gemm_batched_kernelI19rocblas_complex_numIdELi16ELi16ELi64ELi64ELi4ELi64ELi4ELi4ELi64ELc67ELc84EKS2_S3_S2_EEvlllT_PT11_llS6_llS4_PT12_llPT13_lli
		.amdhsa_group_segment_fixed_size 8192
		.amdhsa_private_segment_fixed_size 0
		.amdhsa_kernarg_size 156
		.amdhsa_user_sgpr_count 6
		.amdhsa_user_sgpr_private_segment_buffer 1
		.amdhsa_user_sgpr_dispatch_ptr 0
		.amdhsa_user_sgpr_queue_ptr 0
		.amdhsa_user_sgpr_kernarg_segment_ptr 1
		.amdhsa_user_sgpr_dispatch_id 0
		.amdhsa_user_sgpr_flat_scratch_init 0
		.amdhsa_user_sgpr_private_segment_size 0
		.amdhsa_wavefront_size32 1
		.amdhsa_uses_dynamic_stack 0
		.amdhsa_system_sgpr_private_segment_wavefront_offset 0
		.amdhsa_system_sgpr_workgroup_id_x 1
		.amdhsa_system_sgpr_workgroup_id_y 1
		.amdhsa_system_sgpr_workgroup_id_z 1
		.amdhsa_system_sgpr_workgroup_info 0
		.amdhsa_system_vgpr_workitem_id 1
		.amdhsa_next_free_vgpr 138
		.amdhsa_next_free_sgpr 52
		.amdhsa_reserve_vcc 1
		.amdhsa_reserve_flat_scratch 0
		.amdhsa_float_round_mode_32 0
		.amdhsa_float_round_mode_16_64 0
		.amdhsa_float_denorm_mode_32 3
		.amdhsa_float_denorm_mode_16_64 3
		.amdhsa_dx10_clamp 1
		.amdhsa_ieee_mode 1
		.amdhsa_fp16_overflow 0
		.amdhsa_workgroup_processor_mode 1
		.amdhsa_memory_ordered 1
		.amdhsa_forward_progress 1
		.amdhsa_shared_vgpr_count 0
		.amdhsa_exception_fp_ieee_invalid_op 0
		.amdhsa_exception_fp_denorm_src 0
		.amdhsa_exception_fp_ieee_div_zero 0
		.amdhsa_exception_fp_ieee_overflow 0
		.amdhsa_exception_fp_ieee_underflow 0
		.amdhsa_exception_fp_ieee_inexact 0
		.amdhsa_exception_int_div_zero 0
	.end_amdhsa_kernel
	.section	.text._ZN12_GLOBAL__N_127rocblas_gemm_batched_kernelI19rocblas_complex_numIdELi16ELi16ELi64ELi64ELi4ELi64ELi4ELi4ELi64ELc67ELc84EKS2_S3_S2_EEvlllT_PT11_llS6_llS4_PT12_llPT13_lli,"axG",@progbits,_ZN12_GLOBAL__N_127rocblas_gemm_batched_kernelI19rocblas_complex_numIdELi16ELi16ELi64ELi64ELi4ELi64ELi4ELi4ELi64ELc67ELc84EKS2_S3_S2_EEvlllT_PT11_llS6_llS4_PT12_llPT13_lli,comdat
.Lfunc_end535:
	.size	_ZN12_GLOBAL__N_127rocblas_gemm_batched_kernelI19rocblas_complex_numIdELi16ELi16ELi64ELi64ELi4ELi64ELi4ELi4ELi64ELc67ELc84EKS2_S3_S2_EEvlllT_PT11_llS6_llS4_PT12_llPT13_lli, .Lfunc_end535-_ZN12_GLOBAL__N_127rocblas_gemm_batched_kernelI19rocblas_complex_numIdELi16ELi16ELi64ELi64ELi4ELi64ELi4ELi4ELi64ELc67ELc84EKS2_S3_S2_EEvlllT_PT11_llS6_llS4_PT12_llPT13_lli
                                        ; -- End function
	.set _ZN12_GLOBAL__N_127rocblas_gemm_batched_kernelI19rocblas_complex_numIdELi16ELi16ELi64ELi64ELi4ELi64ELi4ELi4ELi64ELc67ELc84EKS2_S3_S2_EEvlllT_PT11_llS6_llS4_PT12_llPT13_lli.num_vgpr, 138
	.set _ZN12_GLOBAL__N_127rocblas_gemm_batched_kernelI19rocblas_complex_numIdELi16ELi16ELi64ELi64ELi4ELi64ELi4ELi4ELi64ELc67ELc84EKS2_S3_S2_EEvlllT_PT11_llS6_llS4_PT12_llPT13_lli.num_agpr, 0
	.set _ZN12_GLOBAL__N_127rocblas_gemm_batched_kernelI19rocblas_complex_numIdELi16ELi16ELi64ELi64ELi4ELi64ELi4ELi4ELi64ELc67ELc84EKS2_S3_S2_EEvlllT_PT11_llS6_llS4_PT12_llPT13_lli.numbered_sgpr, 52
	.set _ZN12_GLOBAL__N_127rocblas_gemm_batched_kernelI19rocblas_complex_numIdELi16ELi16ELi64ELi64ELi4ELi64ELi4ELi4ELi64ELc67ELc84EKS2_S3_S2_EEvlllT_PT11_llS6_llS4_PT12_llPT13_lli.num_named_barrier, 0
	.set _ZN12_GLOBAL__N_127rocblas_gemm_batched_kernelI19rocblas_complex_numIdELi16ELi16ELi64ELi64ELi4ELi64ELi4ELi4ELi64ELc67ELc84EKS2_S3_S2_EEvlllT_PT11_llS6_llS4_PT12_llPT13_lli.private_seg_size, 0
	.set _ZN12_GLOBAL__N_127rocblas_gemm_batched_kernelI19rocblas_complex_numIdELi16ELi16ELi64ELi64ELi4ELi64ELi4ELi4ELi64ELc67ELc84EKS2_S3_S2_EEvlllT_PT11_llS6_llS4_PT12_llPT13_lli.uses_vcc, 1
	.set _ZN12_GLOBAL__N_127rocblas_gemm_batched_kernelI19rocblas_complex_numIdELi16ELi16ELi64ELi64ELi4ELi64ELi4ELi4ELi64ELc67ELc84EKS2_S3_S2_EEvlllT_PT11_llS6_llS4_PT12_llPT13_lli.uses_flat_scratch, 0
	.set _ZN12_GLOBAL__N_127rocblas_gemm_batched_kernelI19rocblas_complex_numIdELi16ELi16ELi64ELi64ELi4ELi64ELi4ELi4ELi64ELc67ELc84EKS2_S3_S2_EEvlllT_PT11_llS6_llS4_PT12_llPT13_lli.has_dyn_sized_stack, 0
	.set _ZN12_GLOBAL__N_127rocblas_gemm_batched_kernelI19rocblas_complex_numIdELi16ELi16ELi64ELi64ELi4ELi64ELi4ELi4ELi64ELc67ELc84EKS2_S3_S2_EEvlllT_PT11_llS6_llS4_PT12_llPT13_lli.has_recursion, 0
	.set _ZN12_GLOBAL__N_127rocblas_gemm_batched_kernelI19rocblas_complex_numIdELi16ELi16ELi64ELi64ELi4ELi64ELi4ELi4ELi64ELc67ELc84EKS2_S3_S2_EEvlllT_PT11_llS6_llS4_PT12_llPT13_lli.has_indirect_call, 0
	.section	.AMDGPU.csdata,"",@progbits
; Kernel info:
; codeLenInByte = 7408
; TotalNumSgprs: 54
; NumVgprs: 138
; ScratchSize: 0
; MemoryBound: 0
; FloatMode: 240
; IeeeMode: 1
; LDSByteSize: 8192 bytes/workgroup (compile time only)
; SGPRBlocks: 0
; VGPRBlocks: 17
; NumSGPRsForWavesPerEU: 54
; NumVGPRsForWavesPerEU: 138
; Occupancy: 7
; WaveLimiterHint : 1
; COMPUTE_PGM_RSRC2:SCRATCH_EN: 0
; COMPUTE_PGM_RSRC2:USER_SGPR: 6
; COMPUTE_PGM_RSRC2:TRAP_HANDLER: 0
; COMPUTE_PGM_RSRC2:TGID_X_EN: 1
; COMPUTE_PGM_RSRC2:TGID_Y_EN: 1
; COMPUTE_PGM_RSRC2:TGID_Z_EN: 1
; COMPUTE_PGM_RSRC2:TIDIG_COMP_CNT: 1
	.section	.text._ZN12_GLOBAL__N_127rocblas_gemm_batched_kernelI19rocblas_complex_numIdELi16ELi16ELi64ELi64ELi4ELi64ELi4ELi4ELi64ELc78ELc67EKS2_S3_S2_EEvlllT_PT11_llS6_llS4_PT12_llPT13_lli,"axG",@progbits,_ZN12_GLOBAL__N_127rocblas_gemm_batched_kernelI19rocblas_complex_numIdELi16ELi16ELi64ELi64ELi4ELi64ELi4ELi4ELi64ELc78ELc67EKS2_S3_S2_EEvlllT_PT11_llS6_llS4_PT12_llPT13_lli,comdat
	.globl	_ZN12_GLOBAL__N_127rocblas_gemm_batched_kernelI19rocblas_complex_numIdELi16ELi16ELi64ELi64ELi4ELi64ELi4ELi4ELi64ELc78ELc67EKS2_S3_S2_EEvlllT_PT11_llS6_llS4_PT12_llPT13_lli ; -- Begin function _ZN12_GLOBAL__N_127rocblas_gemm_batched_kernelI19rocblas_complex_numIdELi16ELi16ELi64ELi64ELi4ELi64ELi4ELi4ELi64ELc78ELc67EKS2_S3_S2_EEvlllT_PT11_llS6_llS4_PT12_llPT13_lli
	.p2align	8
	.type	_ZN12_GLOBAL__N_127rocblas_gemm_batched_kernelI19rocblas_complex_numIdELi16ELi16ELi64ELi64ELi4ELi64ELi4ELi4ELi64ELc78ELc67EKS2_S3_S2_EEvlllT_PT11_llS6_llS4_PT12_llPT13_lli,@function
_ZN12_GLOBAL__N_127rocblas_gemm_batched_kernelI19rocblas_complex_numIdELi16ELi16ELi64ELi64ELi4ELi64ELi4ELi4ELi64ELc78ELc67EKS2_S3_S2_EEvlllT_PT11_llS6_llS4_PT12_llPT13_lli: ; @_ZN12_GLOBAL__N_127rocblas_gemm_batched_kernelI19rocblas_complex_numIdELi16ELi16ELi64ELi64ELi4ELi64ELi4ELi4ELi64ELc78ELc67EKS2_S3_S2_EEvlllT_PT11_llS6_llS4_PT12_llPT13_lli
; %bb.0:
	s_clause 0x1
	s_load_dwordx16 s[12:27], s[4:5], 0x10
	s_load_dwordx16 s[36:51], s[4:5], 0x50
	s_mov_b32 s2, s7
	s_ashr_i32 s7, s6, 31
	s_ashr_i32 s3, s2, 31
	s_lshl_b64 s[0:1], s[6:7], 6
	s_lshl_b64 s[2:3], s[2:3], 6
	s_waitcnt lgkmcnt(0)
	v_cmp_lt_i64_e64 s9, s[12:13], 1
	s_and_b32 vcc_lo, exec_lo, s9
	s_cbranch_vccnz .LBB536_3
; %bb.1:
	v_lshl_add_u32 v8, v1, 4, v0
	v_and_b32_e32 v9, 3, v0
	s_mul_i32 s7, s23, s8
	s_mul_hi_u32 s9, s22, s8
	s_mul_i32 s10, s37, s8
	v_lshrrev_b32_e32 v11, 2, v8
	v_lshrrev_b32_e32 v10, 6, v8
	s_add_i32 s7, s9, s7
	s_mul_hi_u32 s11, s36, s8
	v_mov_b32_e32 v76, 0
	v_add_co_u32 v4, s6, v11, s2
	v_add_co_ci_u32_e64 v5, null, 0, s3, s6
	v_mad_u64_u32 v[2:3], null, s20, v10, s[0:1]
	s_mul_i32 s6, s22, s8
	v_mad_u64_u32 v[4:5], null, s26, v9, v[4:5]
	s_lshl_b64 s[6:7], s[6:7], 4
	v_mov_b32_e32 v74, 0
	s_add_u32 s6, s18, s6
	s_addc_u32 s7, s19, s7
	v_mov_b32_e32 v12, 0
	v_mov_b32_e32 v16, 0
	v_mad_u64_u32 v[6:7], null, s21, v10, v[3:4]
	v_and_b32_e32 v7, 63, v8
	v_mov_b32_e32 v3, v5
	v_lshlrev_b32_e32 v8, 4, v9
	v_mov_b32_e32 v14, 0
	v_mov_b32_e32 v20, 0
	v_add_co_u32 v5, vcc_lo, v2, v7
	v_add_co_ci_u32_e64 v6, null, 0, v6, vcc_lo
	v_mad_u64_u32 v[2:3], null, s27, v9, v[3:4]
	v_lshlrev_b32_e32 v3, 4, v7
	v_lshlrev_b64 v[6:7], 4, v[5:6]
	v_lshl_or_b32 v8, v11, 6, v8
	v_mov_b32_e32 v18, 0
	v_mov_b32_e32 v40, 0
	v_lshl_or_b32 v92, v10, 10, v3
	v_mov_b32_e32 v5, v2
	v_add_co_u32 v26, vcc_lo, s6, v6
	v_add_co_ci_u32_e64 v27, null, s7, v7, vcc_lo
	s_add_i32 s7, s11, s10
	s_mul_i32 s6, s36, s8
	v_lshlrev_b64 v[2:3], 4, v[4:5]
	s_lshl_b64 s[10:11], s[6:7], 4
	s_lshl_b64 s[6:7], s[20:21], 6
	s_add_u32 s9, s24, s10
	s_addc_u32 s10, s25, s11
	v_mov_b32_e32 v10, 0
	v_add_co_u32 v2, vcc_lo, s9, v2
	v_add_co_ci_u32_e64 v3, null, s10, v3, vcc_lo
	v_mov_b32_e32 v38, 0
	v_add_co_u32 v28, vcc_lo, v2, 8
	v_mov_b32_e32 v50, 0
	v_mov_b32_e32 v44, 0
	v_mov_b32_e32 v60, 0
	v_mov_b32_e32 v56, 0
	v_mov_b32_e32 v68, 0
	v_mov_b32_e32 v66, 0
	v_mov_b32_e32 v46, 0
	v_mov_b32_e32 v42, 0
	v_mov_b32_e32 v58, 0
	v_mov_b32_e32 v54, 0
	v_mov_b32_e32 v64, 0
	v_mov_b32_e32 v62, 0
	v_mov_b32_e32 v72, 0
	v_mov_b32_e32 v70, 0
	v_mov_b32_e32 v24, 0
	v_mov_b32_e32 v22, 0
	v_mov_b32_e32 v32, 0
	v_mov_b32_e32 v30, 0
	v_mov_b32_e32 v36, 0
	v_mov_b32_e32 v34, 0
	v_mov_b32_e32 v52, 0
	v_mov_b32_e32 v48, 0
	v_lshlrev_b32_e32 v90, 4, v0
	v_lshl_add_u32 v91, v1, 6, 0x1000
	v_add_nc_u32_e32 v93, 0x1000, v8
	v_mov_b32_e32 v77, 0
	v_mov_b32_e32 v75, 0
	;; [unrolled: 1-line block ×32, first 2 shown]
	v_add_co_ci_u32_e64 v29, null, 0, v3, vcc_lo
	s_lshl_b64 s[10:11], s[26:27], 6
	s_mov_b64 s[18:19], 0
.LBB536_2:                              ; =>This Inner Loop Header: Depth=1
	global_load_dwordx4 v[2:5], v[26:27], off
	s_add_u32 s18, s18, 4
	s_addc_u32 s19, s19, 0
	v_add_co_u32 v26, vcc_lo, v26, s6
	v_cmp_lt_i64_e64 s9, s[18:19], s[12:13]
	v_add_co_ci_u32_e64 v27, null, s7, v27, vcc_lo
	s_waitcnt vmcnt(0)
	ds_write2_b64 v92, v[2:3], v[4:5] offset1:1
	global_load_dwordx4 v[2:5], v[28:29], off offset:-8
	v_add_co_u32 v28, vcc_lo, v28, s10
	v_add_co_ci_u32_e64 v29, null, s11, v29, vcc_lo
	s_and_b32 vcc_lo, exec_lo, s9
	s_waitcnt vmcnt(0)
	v_xor_b32_e32 v5, 0x80000000, v5
	ds_write_b128 v93, v[2:5]
	s_waitcnt lgkmcnt(0)
	s_barrier
	buffer_gl0_inv
	ds_read_b128 v[78:81], v91
	ds_read_b128 v[82:85], v91 offset:16
	ds_read_b128 v[6:9], v91 offset:32
	;; [unrolled: 1-line block ×3, first 2 shown]
	ds_read_b128 v[86:89], v90
	s_waitcnt lgkmcnt(0)
	v_mul_f64 v[94:95], v[80:81], v[88:89]
	v_mul_f64 v[96:97], v[78:79], v[88:89]
	v_fma_f64 v[94:95], v[78:79], v[86:87], -v[94:95]
	v_fma_f64 v[96:97], v[80:81], v[86:87], v[96:97]
	v_add_f64 v[98:99], v[48:49], v[94:95]
	v_add_f64 v[100:101], v[96:97], v[52:53]
	ds_read_b128 v[94:97], v90 offset:256
	s_waitcnt lgkmcnt(0)
	v_mul_f64 v[48:49], v[80:81], v[96:97]
	v_mul_f64 v[52:53], v[78:79], v[96:97]
	v_fma_f64 v[48:49], v[78:79], v[94:95], -v[48:49]
	v_fma_f64 v[52:53], v[80:81], v[94:95], v[52:53]
	v_add_f64 v[102:103], v[34:35], v[48:49]
	v_add_f64 v[104:105], v[52:53], v[36:37]
	ds_read_b128 v[34:37], v90 offset:512
	s_waitcnt lgkmcnt(0)
	v_mul_f64 v[48:49], v[80:81], v[36:37]
	v_mul_f64 v[52:53], v[78:79], v[36:37]
	v_fma_f64 v[48:49], v[78:79], v[34:35], -v[48:49]
	v_fma_f64 v[52:53], v[80:81], v[34:35], v[52:53]
	v_add_f64 v[106:107], v[30:31], v[48:49]
	v_add_f64 v[108:109], v[52:53], v[32:33]
	ds_read_b128 v[30:33], v90 offset:768
	s_waitcnt lgkmcnt(0)
	v_mul_f64 v[48:49], v[80:81], v[32:33]
	v_mul_f64 v[52:53], v[78:79], v[32:33]
	v_fma_f64 v[48:49], v[78:79], v[30:31], -v[48:49]
	v_fma_f64 v[52:53], v[80:81], v[30:31], v[52:53]
	v_add_f64 v[78:79], v[22:23], v[48:49]
	v_add_f64 v[80:81], v[52:53], v[24:25]
	ds_read_b128 v[22:25], v91 offset:1024
	s_waitcnt lgkmcnt(0)
	v_mul_f64 v[48:49], v[24:25], v[88:89]
	v_mul_f64 v[52:53], v[22:23], v[88:89]
	v_fma_f64 v[48:49], v[22:23], v[86:87], -v[48:49]
	v_fma_f64 v[52:53], v[24:25], v[86:87], v[52:53]
	v_add_f64 v[70:71], v[70:71], v[48:49]
	v_mul_f64 v[48:49], v[24:25], v[96:97]
	v_add_f64 v[72:73], v[52:53], v[72:73]
	v_mul_f64 v[52:53], v[22:23], v[96:97]
	v_fma_f64 v[48:49], v[22:23], v[94:95], -v[48:49]
	v_fma_f64 v[52:53], v[24:25], v[94:95], v[52:53]
	v_add_f64 v[110:111], v[62:63], v[48:49]
	v_mul_f64 v[48:49], v[24:25], v[36:37]
	v_add_f64 v[112:113], v[52:53], v[64:65]
	;; [unrolled: 6-line block ×3, first 2 shown]
	v_fma_f64 v[48:49], v[22:23], v[30:31], -v[48:49]
	v_mul_f64 v[22:23], v[22:23], v[32:33]
	v_add_f64 v[118:119], v[42:43], v[48:49]
	v_fma_f64 v[22:23], v[24:25], v[30:31], v[22:23]
	v_add_f64 v[120:121], v[22:23], v[46:47]
	ds_read_b128 v[22:25], v91 offset:2048
	s_waitcnt lgkmcnt(0)
	v_mul_f64 v[42:43], v[24:25], v[88:89]
	v_mul_f64 v[46:47], v[22:23], v[88:89]
	v_fma_f64 v[42:43], v[22:23], v[86:87], -v[42:43]
	v_fma_f64 v[46:47], v[24:25], v[86:87], v[46:47]
	v_add_f64 v[122:123], v[66:67], v[42:43]
	v_mul_f64 v[42:43], v[24:25], v[96:97]
	v_add_f64 v[124:125], v[46:47], v[68:69]
	v_mul_f64 v[46:47], v[22:23], v[96:97]
	v_fma_f64 v[42:43], v[22:23], v[94:95], -v[42:43]
	v_fma_f64 v[46:47], v[24:25], v[94:95], v[46:47]
	v_add_f64 v[126:127], v[56:57], v[42:43]
	v_mul_f64 v[42:43], v[24:25], v[36:37]
	v_add_f64 v[128:129], v[46:47], v[60:61]
	;; [unrolled: 6-line block ×3, first 2 shown]
	v_fma_f64 v[42:43], v[22:23], v[30:31], -v[42:43]
	v_mul_f64 v[22:23], v[22:23], v[32:33]
	v_add_f64 v[134:135], v[38:39], v[42:43]
	v_fma_f64 v[22:23], v[24:25], v[30:31], v[22:23]
	v_add_f64 v[136:137], v[22:23], v[40:41]
	ds_read_b128 v[22:25], v91 offset:3072
	s_waitcnt lgkmcnt(0)
	v_mul_f64 v[38:39], v[24:25], v[88:89]
	v_mul_f64 v[40:41], v[22:23], v[88:89]
	v_fma_f64 v[38:39], v[22:23], v[86:87], -v[38:39]
	v_fma_f64 v[40:41], v[24:25], v[86:87], v[40:41]
	v_add_f64 v[58:59], v[18:19], v[38:39]
	v_add_f64 v[60:61], v[40:41], v[20:21]
	v_mul_f64 v[18:19], v[24:25], v[96:97]
	v_mul_f64 v[20:21], v[22:23], v[96:97]
	v_fma_f64 v[18:19], v[22:23], v[94:95], -v[18:19]
	v_fma_f64 v[20:21], v[24:25], v[94:95], v[20:21]
	v_add_f64 v[54:55], v[14:15], v[18:19]
	v_add_f64 v[56:57], v[20:21], v[16:17]
	v_mul_f64 v[14:15], v[24:25], v[36:37]
	v_mul_f64 v[16:17], v[22:23], v[36:37]
	ds_read_b128 v[18:21], v90 offset:1280
	v_fma_f64 v[14:15], v[22:23], v[34:35], -v[14:15]
	v_fma_f64 v[16:17], v[24:25], v[34:35], v[16:17]
	v_add_f64 v[50:51], v[10:11], v[14:15]
	v_add_f64 v[52:53], v[16:17], v[12:13]
	v_mul_f64 v[10:11], v[24:25], v[32:33]
	v_mul_f64 v[12:13], v[22:23], v[32:33]
	ds_read_b128 v[14:17], v90 offset:1536
	v_fma_f64 v[10:11], v[22:23], v[30:31], -v[10:11]
	v_fma_f64 v[12:13], v[24:25], v[30:31], v[12:13]
	ds_read_b128 v[22:25], v90 offset:1024
	v_add_f64 v[46:47], v[74:75], v[10:11]
	v_add_f64 v[48:49], v[12:13], v[76:77]
	s_waitcnt lgkmcnt(0)
	v_mul_f64 v[10:11], v[84:85], v[24:25]
	v_mul_f64 v[12:13], v[82:83], v[24:25]
	ds_read_b128 v[74:77], v91 offset:1040
	v_fma_f64 v[10:11], v[82:83], v[22:23], -v[10:11]
	v_fma_f64 v[12:13], v[84:85], v[22:23], v[12:13]
	s_waitcnt lgkmcnt(0)
	v_mul_f64 v[62:63], v[76:77], v[24:25]
	v_mul_f64 v[64:65], v[74:75], v[24:25]
	;; [unrolled: 1-line block ×4, first 2 shown]
	v_add_f64 v[42:43], v[98:99], v[10:11]
	v_add_f64 v[44:45], v[12:13], v[100:101]
	v_mul_f64 v[10:11], v[84:85], v[20:21]
	v_mul_f64 v[12:13], v[82:83], v[20:21]
	v_fma_f64 v[62:63], v[74:75], v[22:23], -v[62:63]
	v_fma_f64 v[64:65], v[76:77], v[22:23], v[64:65]
	v_fma_f64 v[66:67], v[74:75], v[18:19], -v[66:67]
	v_fma_f64 v[68:69], v[76:77], v[18:19], v[68:69]
	;; [unrolled: 2-line block ×3, first 2 shown]
	v_add_f64 v[62:63], v[70:71], v[62:63]
	v_mul_f64 v[70:71], v[76:77], v[16:17]
	v_add_f64 v[64:65], v[64:65], v[72:73]
	v_mul_f64 v[72:73], v[74:75], v[16:17]
	v_add_f64 v[66:67], v[110:111], v[66:67]
	v_add_f64 v[68:69], v[68:69], v[112:113]
	;; [unrolled: 1-line block ×4, first 2 shown]
	v_mul_f64 v[10:11], v[84:85], v[16:17]
	v_mul_f64 v[12:13], v[82:83], v[16:17]
	v_fma_f64 v[70:71], v[74:75], v[14:15], -v[70:71]
	v_fma_f64 v[72:73], v[76:77], v[14:15], v[72:73]
	v_fma_f64 v[10:11], v[82:83], v[14:15], -v[10:11]
	v_fma_f64 v[12:13], v[84:85], v[14:15], v[12:13]
	v_add_f64 v[70:71], v[114:115], v[70:71]
	v_add_f64 v[72:73], v[72:73], v[116:117]
	;; [unrolled: 1-line block ×4, first 2 shown]
	ds_read_b128 v[10:13], v90 offset:1792
	s_waitcnt lgkmcnt(0)
	v_mul_f64 v[30:31], v[84:85], v[12:13]
	v_mul_f64 v[32:33], v[82:83], v[12:13]
	v_fma_f64 v[30:31], v[82:83], v[10:11], -v[30:31]
	v_fma_f64 v[32:33], v[84:85], v[10:11], v[32:33]
	v_add_f64 v[30:31], v[78:79], v[30:31]
	v_mul_f64 v[78:79], v[76:77], v[12:13]
	v_add_f64 v[32:33], v[32:33], v[80:81]
	v_fma_f64 v[78:79], v[74:75], v[10:11], -v[78:79]
	v_mul_f64 v[74:75], v[74:75], v[12:13]
	v_fma_f64 v[76:77], v[76:77], v[10:11], v[74:75]
	v_add_f64 v[74:75], v[118:119], v[78:79]
	ds_read_b128 v[78:81], v91 offset:2064
	s_waitcnt lgkmcnt(0)
	v_mul_f64 v[82:83], v[80:81], v[24:25]
	v_mul_f64 v[86:87], v[80:81], v[20:21]
	;; [unrolled: 1-line block ×7, first 2 shown]
	v_add_f64 v[76:77], v[76:77], v[120:121]
	v_fma_f64 v[82:83], v[78:79], v[22:23], -v[82:83]
	v_fma_f64 v[86:87], v[78:79], v[18:19], -v[86:87]
	;; [unrolled: 1-line block ×4, first 2 shown]
	v_mul_f64 v[78:79], v[78:79], v[12:13]
	v_fma_f64 v[84:85], v[80:81], v[22:23], v[84:85]
	v_fma_f64 v[88:89], v[80:81], v[18:19], v[88:89]
	v_fma_f64 v[96:97], v[80:81], v[14:15], v[96:97]
	v_add_f64 v[82:83], v[122:123], v[82:83]
	v_add_f64 v[86:87], v[126:127], v[86:87]
	;; [unrolled: 1-line block ×4, first 2 shown]
	v_fma_f64 v[78:79], v[80:81], v[10:11], v[78:79]
	v_add_f64 v[84:85], v[84:85], v[124:125]
	v_add_f64 v[88:89], v[88:89], v[128:129]
	;; [unrolled: 1-line block ×4, first 2 shown]
	ds_read_b128 v[78:81], v91 offset:3088
	s_waitcnt lgkmcnt(0)
	v_mul_f64 v[102:103], v[80:81], v[24:25]
	v_mul_f64 v[24:25], v[78:79], v[24:25]
	v_fma_f64 v[102:103], v[78:79], v[22:23], -v[102:103]
	v_fma_f64 v[22:23], v[80:81], v[22:23], v[24:25]
	v_add_f64 v[58:59], v[58:59], v[102:103]
	v_add_f64 v[60:61], v[22:23], v[60:61]
	v_mul_f64 v[22:23], v[80:81], v[20:21]
	v_mul_f64 v[20:21], v[78:79], v[20:21]
	v_fma_f64 v[22:23], v[78:79], v[18:19], -v[22:23]
	v_fma_f64 v[18:19], v[80:81], v[18:19], v[20:21]
	v_add_f64 v[54:55], v[54:55], v[22:23]
	v_add_f64 v[56:57], v[18:19], v[56:57]
	v_mul_f64 v[18:19], v[80:81], v[16:17]
	v_mul_f64 v[16:17], v[78:79], v[16:17]
	v_fma_f64 v[18:19], v[78:79], v[14:15], -v[18:19]
	v_fma_f64 v[14:15], v[80:81], v[14:15], v[16:17]
	v_add_f64 v[50:51], v[50:51], v[18:19]
	v_add_f64 v[52:53], v[14:15], v[52:53]
	v_mul_f64 v[14:15], v[80:81], v[12:13]
	v_mul_f64 v[12:13], v[78:79], v[12:13]
	v_fma_f64 v[14:15], v[78:79], v[10:11], -v[14:15]
	v_fma_f64 v[10:11], v[80:81], v[10:11], v[12:13]
	v_add_f64 v[46:47], v[46:47], v[14:15]
	v_add_f64 v[48:49], v[10:11], v[48:49]
	ds_read_b128 v[10:13], v90 offset:2048
	s_waitcnt lgkmcnt(0)
	v_mul_f64 v[14:15], v[8:9], v[12:13]
	v_mul_f64 v[16:17], v[6:7], v[12:13]
	v_fma_f64 v[14:15], v[6:7], v[10:11], -v[14:15]
	v_fma_f64 v[16:17], v[8:9], v[10:11], v[16:17]
	v_add_f64 v[42:43], v[42:43], v[14:15]
	v_add_f64 v[44:45], v[16:17], v[44:45]
	ds_read_b128 v[14:17], v90 offset:2304
	s_waitcnt lgkmcnt(0)
	v_mul_f64 v[18:19], v[8:9], v[16:17]
	v_mul_f64 v[20:21], v[6:7], v[16:17]
	v_fma_f64 v[18:19], v[6:7], v[14:15], -v[18:19]
	v_fma_f64 v[20:21], v[8:9], v[14:15], v[20:21]
	v_add_f64 v[38:39], v[38:39], v[18:19]
	v_add_f64 v[40:41], v[20:21], v[40:41]
	;; [unrolled: 8-line block ×3, first 2 shown]
	ds_read_b128 v[22:25], v90 offset:2816
	s_waitcnt lgkmcnt(0)
	v_mul_f64 v[34:35], v[8:9], v[24:25]
	v_fma_f64 v[34:35], v[6:7], v[22:23], -v[34:35]
	v_mul_f64 v[6:7], v[6:7], v[24:25]
	v_add_f64 v[106:107], v[30:31], v[34:35]
	v_fma_f64 v[6:7], v[8:9], v[22:23], v[6:7]
	v_add_f64 v[108:109], v[6:7], v[32:33]
	ds_read_b128 v[6:9], v91 offset:1056
	s_waitcnt lgkmcnt(0)
	v_mul_f64 v[30:31], v[8:9], v[12:13]
	v_mul_f64 v[32:33], v[6:7], v[12:13]
	v_fma_f64 v[30:31], v[6:7], v[10:11], -v[30:31]
	v_fma_f64 v[32:33], v[8:9], v[10:11], v[32:33]
	v_add_f64 v[62:63], v[62:63], v[30:31]
	v_mul_f64 v[30:31], v[8:9], v[16:17]
	v_add_f64 v[64:65], v[32:33], v[64:65]
	v_mul_f64 v[32:33], v[6:7], v[16:17]
	v_fma_f64 v[30:31], v[6:7], v[14:15], -v[30:31]
	v_fma_f64 v[32:33], v[8:9], v[14:15], v[32:33]
	v_add_f64 v[66:67], v[66:67], v[30:31]
	v_mul_f64 v[30:31], v[8:9], v[20:21]
	v_add_f64 v[68:69], v[32:33], v[68:69]
	;; [unrolled: 6-line block ×3, first 2 shown]
	v_fma_f64 v[30:31], v[6:7], v[22:23], -v[30:31]
	v_mul_f64 v[6:7], v[6:7], v[24:25]
	v_add_f64 v[114:115], v[74:75], v[30:31]
	v_fma_f64 v[6:7], v[8:9], v[22:23], v[6:7]
	v_add_f64 v[116:117], v[6:7], v[76:77]
	ds_read_b128 v[6:9], v91 offset:2080
	s_waitcnt lgkmcnt(0)
	v_mul_f64 v[30:31], v[8:9], v[12:13]
	v_mul_f64 v[32:33], v[6:7], v[12:13]
	v_fma_f64 v[30:31], v[6:7], v[10:11], -v[30:31]
	v_fma_f64 v[32:33], v[8:9], v[10:11], v[32:33]
	v_add_f64 v[118:119], v[82:83], v[30:31]
	v_mul_f64 v[30:31], v[8:9], v[16:17]
	v_add_f64 v[120:121], v[32:33], v[84:85]
	v_mul_f64 v[32:33], v[6:7], v[16:17]
	v_fma_f64 v[30:31], v[6:7], v[14:15], -v[30:31]
	v_fma_f64 v[32:33], v[8:9], v[14:15], v[32:33]
	v_add_f64 v[122:123], v[86:87], v[30:31]
	v_mul_f64 v[30:31], v[8:9], v[20:21]
	v_add_f64 v[124:125], v[32:33], v[88:89]
	;; [unrolled: 6-line block ×3, first 2 shown]
	v_fma_f64 v[30:31], v[6:7], v[22:23], -v[30:31]
	v_mul_f64 v[6:7], v[6:7], v[24:25]
	v_add_f64 v[98:99], v[98:99], v[30:31]
	v_fma_f64 v[6:7], v[8:9], v[22:23], v[6:7]
	v_add_f64 v[100:101], v[6:7], v[100:101]
	ds_read_b128 v[6:9], v91 offset:3104
	s_waitcnt lgkmcnt(0)
	v_mul_f64 v[30:31], v[8:9], v[12:13]
	v_mul_f64 v[12:13], v[6:7], v[12:13]
	v_fma_f64 v[30:31], v[6:7], v[10:11], -v[30:31]
	v_fma_f64 v[10:11], v[8:9], v[10:11], v[12:13]
	v_mul_f64 v[12:13], v[6:7], v[16:17]
	v_add_f64 v[86:87], v[58:59], v[30:31]
	v_add_f64 v[88:89], v[10:11], v[60:61]
	v_mul_f64 v[10:11], v[8:9], v[16:17]
	v_fma_f64 v[12:13], v[8:9], v[14:15], v[12:13]
	v_fma_f64 v[10:11], v[6:7], v[14:15], -v[10:11]
	v_add_f64 v[84:85], v[12:13], v[56:57]
	v_mul_f64 v[12:13], v[6:7], v[20:21]
	ds_read_b128 v[14:17], v90 offset:3328
	v_add_f64 v[82:83], v[54:55], v[10:11]
	v_mul_f64 v[10:11], v[8:9], v[20:21]
	v_fma_f64 v[12:13], v[8:9], v[18:19], v[12:13]
	v_fma_f64 v[10:11], v[6:7], v[18:19], -v[10:11]
	ds_read_b128 v[18:21], v90 offset:3072
	v_add_f64 v[80:81], v[12:13], v[52:53]
	v_add_f64 v[78:79], v[50:51], v[10:11]
	v_mul_f64 v[10:11], v[8:9], v[24:25]
	v_fma_f64 v[10:11], v[6:7], v[22:23], -v[10:11]
	v_mul_f64 v[6:7], v[6:7], v[24:25]
	v_add_f64 v[74:75], v[46:47], v[10:11]
	v_fma_f64 v[6:7], v[8:9], v[22:23], v[6:7]
	s_waitcnt lgkmcnt(0)
	v_mul_f64 v[8:9], v[2:3], v[20:21]
	ds_read_b128 v[10:13], v90 offset:3584
	v_add_f64 v[76:77], v[6:7], v[48:49]
	v_mul_f64 v[6:7], v[4:5], v[20:21]
	v_fma_f64 v[8:9], v[4:5], v[18:19], v[8:9]
	v_fma_f64 v[6:7], v[2:3], v[18:19], -v[6:7]
	v_add_f64 v[52:53], v[8:9], v[44:45]
	v_mul_f64 v[8:9], v[2:3], v[16:17]
	v_add_f64 v[48:49], v[42:43], v[6:7]
	v_mul_f64 v[6:7], v[4:5], v[16:17]
	v_fma_f64 v[8:9], v[4:5], v[14:15], v[8:9]
	v_fma_f64 v[6:7], v[2:3], v[14:15], -v[6:7]
	v_add_f64 v[36:37], v[8:9], v[40:41]
	s_waitcnt lgkmcnt(0)
	v_mul_f64 v[8:9], v[2:3], v[12:13]
	v_add_f64 v[34:35], v[38:39], v[6:7]
	v_mul_f64 v[6:7], v[4:5], v[12:13]
	v_fma_f64 v[8:9], v[4:5], v[10:11], v[8:9]
	v_fma_f64 v[6:7], v[2:3], v[10:11], -v[6:7]
	v_add_f64 v[32:33], v[8:9], v[104:105]
	v_add_f64 v[30:31], v[102:103], v[6:7]
	ds_read_b128 v[6:9], v90 offset:3840
	s_waitcnt lgkmcnt(0)
	v_mul_f64 v[22:23], v[4:5], v[8:9]
	v_fma_f64 v[22:23], v[2:3], v[6:7], -v[22:23]
	v_mul_f64 v[2:3], v[2:3], v[8:9]
	v_add_f64 v[22:23], v[106:107], v[22:23]
	v_fma_f64 v[2:3], v[4:5], v[6:7], v[2:3]
	v_add_f64 v[24:25], v[2:3], v[108:109]
	ds_read_b128 v[2:5], v91 offset:1072
	s_waitcnt lgkmcnt(0)
	v_mul_f64 v[38:39], v[4:5], v[20:21]
	v_mul_f64 v[40:41], v[2:3], v[20:21]
	v_fma_f64 v[38:39], v[2:3], v[18:19], -v[38:39]
	v_fma_f64 v[40:41], v[4:5], v[18:19], v[40:41]
	v_add_f64 v[70:71], v[62:63], v[38:39]
	v_mul_f64 v[38:39], v[4:5], v[16:17]
	v_add_f64 v[72:73], v[40:41], v[64:65]
	v_mul_f64 v[40:41], v[2:3], v[16:17]
	v_fma_f64 v[38:39], v[2:3], v[14:15], -v[38:39]
	v_fma_f64 v[40:41], v[4:5], v[14:15], v[40:41]
	v_add_f64 v[62:63], v[66:67], v[38:39]
	v_mul_f64 v[38:39], v[4:5], v[12:13]
	v_add_f64 v[64:65], v[40:41], v[68:69]
	;; [unrolled: 6-line block ×3, first 2 shown]
	v_fma_f64 v[38:39], v[2:3], v[6:7], -v[38:39]
	v_mul_f64 v[2:3], v[2:3], v[8:9]
	v_add_f64 v[42:43], v[114:115], v[38:39]
	v_fma_f64 v[2:3], v[4:5], v[6:7], v[2:3]
	v_add_f64 v[46:47], v[2:3], v[116:117]
	ds_read_b128 v[2:5], v91 offset:2096
	s_waitcnt lgkmcnt(0)
	v_mul_f64 v[38:39], v[4:5], v[20:21]
	v_mul_f64 v[40:41], v[2:3], v[20:21]
	v_fma_f64 v[38:39], v[2:3], v[18:19], -v[38:39]
	v_fma_f64 v[40:41], v[4:5], v[18:19], v[40:41]
	v_add_f64 v[66:67], v[118:119], v[38:39]
	v_mul_f64 v[38:39], v[4:5], v[16:17]
	v_add_f64 v[68:69], v[40:41], v[120:121]
	v_mul_f64 v[40:41], v[2:3], v[16:17]
	v_fma_f64 v[38:39], v[2:3], v[14:15], -v[38:39]
	v_fma_f64 v[40:41], v[4:5], v[14:15], v[40:41]
	v_add_f64 v[56:57], v[122:123], v[38:39]
	v_mul_f64 v[38:39], v[4:5], v[12:13]
	v_add_f64 v[60:61], v[40:41], v[124:125]
	;; [unrolled: 6-line block ×3, first 2 shown]
	v_fma_f64 v[38:39], v[2:3], v[6:7], -v[38:39]
	v_mul_f64 v[2:3], v[2:3], v[8:9]
	v_add_f64 v[38:39], v[98:99], v[38:39]
	v_fma_f64 v[2:3], v[4:5], v[6:7], v[2:3]
	v_add_f64 v[40:41], v[2:3], v[100:101]
	ds_read_b128 v[2:5], v91 offset:3120
	s_waitcnt lgkmcnt(0)
	s_barrier
	buffer_gl0_inv
	v_mul_f64 v[94:95], v[4:5], v[20:21]
	v_mul_f64 v[20:21], v[2:3], v[20:21]
	v_fma_f64 v[94:95], v[2:3], v[18:19], -v[94:95]
	v_fma_f64 v[20:21], v[4:5], v[18:19], v[20:21]
	v_add_f64 v[18:19], v[86:87], v[94:95]
	v_mul_f64 v[86:87], v[4:5], v[16:17]
	v_mul_f64 v[16:17], v[2:3], v[16:17]
	v_add_f64 v[20:21], v[20:21], v[88:89]
	v_fma_f64 v[86:87], v[2:3], v[14:15], -v[86:87]
	v_fma_f64 v[16:17], v[4:5], v[14:15], v[16:17]
	v_add_f64 v[14:15], v[82:83], v[86:87]
	v_mul_f64 v[82:83], v[4:5], v[12:13]
	v_mul_f64 v[12:13], v[2:3], v[12:13]
	v_add_f64 v[16:17], v[16:17], v[84:85]
	v_fma_f64 v[82:83], v[2:3], v[10:11], -v[82:83]
	v_fma_f64 v[12:13], v[4:5], v[10:11], v[12:13]
	v_add_f64 v[10:11], v[78:79], v[82:83]
	v_mul_f64 v[78:79], v[4:5], v[8:9]
	v_add_f64 v[12:13], v[12:13], v[80:81]
	v_fma_f64 v[78:79], v[2:3], v[6:7], -v[78:79]
	v_mul_f64 v[2:3], v[2:3], v[8:9]
	v_add_f64 v[74:75], v[74:75], v[78:79]
	v_fma_f64 v[2:3], v[4:5], v[6:7], v[2:3]
	v_add_f64 v[76:77], v[2:3], v[76:77]
	s_cbranch_vccnz .LBB536_2
	s_branch .LBB536_4
.LBB536_3:
	v_mov_b32_e32 v48, 0
	v_mov_b32_e32 v52, 0
	;; [unrolled: 1-line block ×64, first 2 shown]
.LBB536_4:
	s_load_dwordx2 s[4:5], s[4:5], 0x90
	v_cmp_neq_f64_e64 s6, s[38:39], 0
	v_cmp_neq_f64_e64 s7, s[40:41], 0
	v_add_co_u32 v6, s2, s2, v1
	v_add_co_u32 v0, s0, s0, v0
	v_add_co_ci_u32_e64 v7, null, s3, 0, s2
	v_add_co_ci_u32_e64 v1, null, s1, 0, s0
	s_waitcnt lgkmcnt(0)
	s_mul_i32 s5, s5, s8
	s_mul_hi_u32 s9, s4, s8
	s_mul_i32 s4, s4, s8
	s_add_i32 s5, s9, s5
	s_lshl_b64 s[4:5], s[4:5], 4
	s_add_u32 s2, s48, s4
	s_addc_u32 s3, s49, s5
	s_or_b32 s4, s6, s7
	s_and_b32 vcc_lo, exec_lo, s4
	s_cbranch_vccnz .LBB536_6
; %bb.5:
	v_mul_f64 v[4:5], s[16:17], v[52:53]
	v_mul_f64 v[8:9], s[14:15], v[52:53]
	v_mul_lo_u32 v78, v7, s50
	v_mul_lo_u32 v79, v6, s51
	v_mad_u64_u32 v[2:3], null, v6, s50, 0
	v_mul_f64 v[26:27], s[16:17], v[36:37]
	v_mul_f64 v[28:29], s[14:15], v[36:37]
	;; [unrolled: 1-line block ×6, first 2 shown]
	v_add3_u32 v3, v3, v79, v78
	v_mul_f64 v[78:79], s[16:17], v[32:33]
	v_mul_f64 v[88:89], s[14:15], v[72:73]
	;; [unrolled: 1-line block ×4, first 2 shown]
	v_lshlrev_b64 v[2:3], 4, v[2:3]
	v_mul_f64 v[94:95], s[16:17], v[58:59]
	v_mul_f64 v[96:97], s[14:15], v[58:59]
	;; [unrolled: 1-line block ×4, first 2 shown]
	s_lshl_b64 s[0:1], s[50:51], 8
	v_add_co_u32 v104, vcc_lo, s2, v2
	v_add_co_ci_u32_e64 v105, null, s3, v3, vcc_lo
	v_fma_f64 v[2:3], s[14:15], v[48:49], -v[4:5]
	v_fma_f64 v[4:5], s[16:17], v[48:49], v[8:9]
	v_lshlrev_b64 v[8:9], 4, v[0:1]
	v_fma_f64 v[26:27], s[14:15], v[34:35], -v[26:27]
	v_fma_f64 v[28:29], s[16:17], v[34:35], v[28:29]
	v_fma_f64 v[80:81], s[16:17], v[30:31], v[80:81]
	v_fma_f64 v[82:83], s[14:15], v[22:23], -v[82:83]
	v_fma_f64 v[84:85], s[16:17], v[22:23], v[84:85]
	v_add_co_u32 v102, vcc_lo, v104, v8
	v_fma_f64 v[78:79], s[14:15], v[30:31], -v[78:79]
	v_add_co_ci_u32_e64 v103, null, v105, v9, vcc_lo
	v_fma_f64 v[86:87], s[14:15], v[70:71], -v[86:87]
	v_fma_f64 v[88:89], s[16:17], v[70:71], v[88:89]
	v_fma_f64 v[90:91], s[14:15], v[62:63], -v[90:91]
	v_fma_f64 v[92:93], s[16:17], v[62:63], v[92:93]
	;; [unrolled: 2-line block ×3, first 2 shown]
	v_add_co_u32 v106, vcc_lo, v104, s0
	v_add_co_ci_u32_e64 v107, null, s1, v105, vcc_lo
	global_store_dwordx4 v[102:103], v[2:5], off
	v_fma_f64 v[2:3], s[14:15], v[42:43], -v[98:99]
	v_fma_f64 v[4:5], s[16:17], v[42:43], v[100:101]
	v_add_co_u32 v104, vcc_lo, v106, v8
	v_add_co_ci_u32_e64 v105, null, v107, v9, vcc_lo
	global_store_dwordx4 v[102:103], v[26:29], off offset:256
	global_store_dwordx4 v[102:103], v[78:81], off offset:512
	;; [unrolled: 1-line block ×3, first 2 shown]
	global_store_dwordx4 v[104:105], v[86:89], off
	global_store_dwordx4 v[104:105], v[90:93], off offset:256
	global_store_dwordx4 v[104:105], v[94:97], off offset:512
	v_mul_f64 v[26:27], s[16:17], v[68:69]
	v_mul_f64 v[28:29], s[14:15], v[68:69]
	;; [unrolled: 1-line block ×12, first 2 shown]
	global_store_dwordx4 v[104:105], v[2:5], off offset:768
	v_mul_f64 v[2:3], s[16:17], v[76:77]
	v_mul_f64 v[4:5], s[14:15], v[76:77]
	;; [unrolled: 1-line block ×4, first 2 shown]
	v_add_co_u32 v104, vcc_lo, v106, s0
	v_add_co_ci_u32_e64 v105, null, s1, v107, vcc_lo
	v_fma_f64 v[26:27], s[14:15], v[66:67], -v[26:27]
	v_fma_f64 v[28:29], s[16:17], v[66:67], v[28:29]
	v_fma_f64 v[78:79], s[14:15], v[56:57], -v[78:79]
	v_fma_f64 v[80:81], s[16:17], v[56:57], v[80:81]
	;; [unrolled: 2-line block ×6, first 2 shown]
	v_add_co_u32 v106, vcc_lo, v104, s0
	v_fma_f64 v[102:103], s[14:15], v[74:75], -v[2:3]
	v_fma_f64 v[2:3], s[16:17], v[74:75], v[4:5]
	v_fma_f64 v[98:99], s[14:15], v[10:11], -v[98:99]
	v_fma_f64 v[100:101], s[16:17], v[10:11], v[100:101]
	v_add_co_ci_u32_e64 v107, null, s1, v105, vcc_lo
	v_add_co_u32 v4, vcc_lo, v104, v8
	v_add_co_ci_u32_e64 v5, null, v105, v9, vcc_lo
	v_add_co_u32 v8, vcc_lo, v106, v8
	v_add_co_ci_u32_e64 v9, null, v107, v9, vcc_lo
	global_store_dwordx4 v[4:5], v[26:29], off
	global_store_dwordx4 v[4:5], v[78:81], off offset:256
	global_store_dwordx4 v[4:5], v[82:85], off offset:512
	;; [unrolled: 1-line block ×3, first 2 shown]
	global_store_dwordx4 v[8:9], v[90:93], off
	v_add_co_u32 v4, vcc_lo, 0x300, v8
	v_add_co_ci_u32_e64 v5, null, 0, v9, vcc_lo
	global_store_dwordx4 v[8:9], v[94:97], off offset:256
	global_store_dwordx4 v[8:9], v[98:101], off offset:512
	global_store_dwordx2 v[8:9], v[102:103], off offset:768
	s_cbranch_execz .LBB536_7
	s_branch .LBB536_8
.LBB536_6:
                                        ; implicit-def: $vgpr2_vgpr3
                                        ; implicit-def: $vgpr4_vgpr5
.LBB536_7:
	v_mul_lo_u32 v4, v7, s44
	v_mul_lo_u32 v5, v6, s45
	v_mad_u64_u32 v[2:3], null, v6, s44, 0
	s_mul_i32 s1, s47, s8
	s_mul_hi_u32 s4, s46, s8
	s_mul_i32 s0, s46, s8
	s_add_i32 s1, s4, s1
	v_mul_f64 v[26:27], s[16:17], v[52:53]
	s_lshl_b64 s[0:1], s[0:1], 4
	v_add3_u32 v3, v3, v5, v4
	s_add_u32 s0, s42, s0
	v_lshlrev_b64 v[4:5], 4, v[0:1]
	s_addc_u32 s1, s43, s1
	v_mul_f64 v[28:29], s[14:15], v[52:53]
	v_lshlrev_b64 v[2:3], 4, v[2:3]
	v_add_co_u32 v78, vcc_lo, s0, v2
	v_add_co_ci_u32_e64 v79, null, s1, v3, vcc_lo
	s_lshl_b64 s[0:1], s[44:45], 8
	v_add_co_u32 v8, vcc_lo, v78, v4
	v_add_co_ci_u32_e64 v9, null, v79, v5, vcc_lo
	v_fma_f64 v[26:27], s[14:15], v[48:49], -v[26:27]
	global_load_dwordx4 v[0:3], v[8:9], off
	v_fma_f64 v[28:29], s[16:17], v[48:49], v[28:29]
	s_waitcnt vmcnt(0)
	v_mul_f64 v[52:53], s[40:41], v[2:3]
	v_mul_f64 v[2:3], s[38:39], v[2:3]
	v_fma_f64 v[48:49], s[38:39], v[0:1], -v[52:53]
	v_fma_f64 v[2:3], s[40:41], v[0:1], v[2:3]
	v_mul_lo_u32 v0, v7, s50
	v_mul_lo_u32 v1, v6, s51
	v_mad_u64_u32 v[6:7], null, v6, s50, 0
	v_add3_u32 v7, v7, v1, v0
	v_lshlrev_b64 v[6:7], 4, v[6:7]
	v_add_f64 v[0:1], v[26:27], v[48:49]
	v_add_f64 v[2:3], v[28:29], v[2:3]
	v_add_co_u32 v48, vcc_lo, s2, v6
	v_add_co_ci_u32_e64 v49, null, s3, v7, vcc_lo
	v_mul_f64 v[26:27], s[16:17], v[36:37]
	v_add_co_u32 v6, vcc_lo, v48, v4
	v_add_co_ci_u32_e64 v7, null, v49, v5, vcc_lo
	v_mul_f64 v[28:29], s[14:15], v[36:37]
	s_lshl_b64 s[2:3], s[50:51], 8
	global_store_dwordx4 v[6:7], v[0:3], off
	global_load_dwordx4 v[0:3], v[8:9], off offset:256
	v_fma_f64 v[26:27], s[14:15], v[34:35], -v[26:27]
	v_fma_f64 v[28:29], s[16:17], v[34:35], v[28:29]
	s_waitcnt vmcnt(0)
	v_mul_f64 v[36:37], s[40:41], v[2:3]
	v_mul_f64 v[2:3], s[38:39], v[2:3]
	v_fma_f64 v[34:35], s[38:39], v[0:1], -v[36:37]
	v_fma_f64 v[2:3], s[40:41], v[0:1], v[2:3]
	v_add_f64 v[0:1], v[26:27], v[34:35]
	v_add_f64 v[2:3], v[28:29], v[2:3]
	v_mul_f64 v[26:27], s[16:17], v[32:33]
	v_mul_f64 v[28:29], s[14:15], v[32:33]
	global_store_dwordx4 v[6:7], v[0:3], off offset:256
	global_load_dwordx4 v[0:3], v[8:9], off offset:512
	v_fma_f64 v[26:27], s[14:15], v[30:31], -v[26:27]
	v_fma_f64 v[28:29], s[16:17], v[30:31], v[28:29]
	s_waitcnt vmcnt(0)
	v_mul_f64 v[32:33], s[40:41], v[2:3]
	v_mul_f64 v[2:3], s[38:39], v[2:3]
	v_fma_f64 v[30:31], s[38:39], v[0:1], -v[32:33]
	v_fma_f64 v[2:3], s[40:41], v[0:1], v[2:3]
	v_add_f64 v[0:1], v[26:27], v[30:31]
	v_add_f64 v[2:3], v[28:29], v[2:3]
	v_add_co_u32 v28, vcc_lo, v78, s0
	v_add_co_ci_u32_e64 v29, null, s1, v79, vcc_lo
	global_store_dwordx4 v[6:7], v[0:3], off offset:512
	global_load_dwordx4 v[0:3], v[8:9], off offset:768
	v_mul_f64 v[8:9], s[16:17], v[24:25]
	v_mul_f64 v[24:25], s[14:15], v[24:25]
	v_fma_f64 v[8:9], s[14:15], v[22:23], -v[8:9]
	v_fma_f64 v[22:23], s[16:17], v[22:23], v[24:25]
	s_waitcnt vmcnt(0)
	v_mul_f64 v[26:27], s[40:41], v[2:3]
	v_mul_f64 v[2:3], s[38:39], v[2:3]
	v_fma_f64 v[24:25], s[38:39], v[0:1], -v[26:27]
	v_fma_f64 v[2:3], s[40:41], v[0:1], v[2:3]
	v_add_f64 v[0:1], v[8:9], v[24:25]
	v_add_f64 v[2:3], v[22:23], v[2:3]
	v_add_co_u32 v8, vcc_lo, v28, v4
	v_add_co_ci_u32_e64 v9, null, v29, v5, vcc_lo
	v_mul_f64 v[22:23], s[14:15], v[72:73]
	v_add_co_u32 v30, vcc_lo, v48, s2
	v_add_co_ci_u32_e64 v31, null, s3, v49, vcc_lo
	global_store_dwordx4 v[6:7], v[0:3], off offset:768
	global_load_dwordx4 v[0:3], v[8:9], off
	v_mul_f64 v[6:7], s[16:17], v[72:73]
	v_fma_f64 v[22:23], s[16:17], v[70:71], v[22:23]
	v_fma_f64 v[6:7], s[14:15], v[70:71], -v[6:7]
	s_waitcnt vmcnt(0)
	v_mul_f64 v[24:25], s[40:41], v[2:3]
	v_mul_f64 v[2:3], s[38:39], v[2:3]
	v_fma_f64 v[24:25], s[38:39], v[0:1], -v[24:25]
	v_fma_f64 v[2:3], s[40:41], v[0:1], v[2:3]
	v_add_f64 v[0:1], v[6:7], v[24:25]
	v_add_f64 v[2:3], v[22:23], v[2:3]
	v_add_co_u32 v6, vcc_lo, v30, v4
	v_add_co_ci_u32_e64 v7, null, v31, v5, vcc_lo
	v_mul_f64 v[22:23], s[16:17], v[64:65]
	v_mul_f64 v[24:25], s[14:15], v[64:65]
	v_add_co_u32 v28, vcc_lo, v28, s0
	v_add_co_ci_u32_e64 v29, null, s1, v29, vcc_lo
	global_store_dwordx4 v[6:7], v[0:3], off
	global_load_dwordx4 v[0:3], v[8:9], off offset:256
	v_fma_f64 v[22:23], s[14:15], v[62:63], -v[22:23]
	v_fma_f64 v[24:25], s[16:17], v[62:63], v[24:25]
	s_waitcnt vmcnt(0)
	v_mul_f64 v[26:27], s[40:41], v[2:3]
	v_mul_f64 v[2:3], s[38:39], v[2:3]
	v_fma_f64 v[26:27], s[38:39], v[0:1], -v[26:27]
	v_fma_f64 v[2:3], s[40:41], v[0:1], v[2:3]
	v_add_f64 v[0:1], v[22:23], v[26:27]
	v_add_f64 v[2:3], v[24:25], v[2:3]
	v_mul_f64 v[22:23], s[16:17], v[58:59]
	v_mul_f64 v[24:25], s[14:15], v[58:59]
	global_store_dwordx4 v[6:7], v[0:3], off offset:256
	global_load_dwordx4 v[0:3], v[8:9], off offset:512
	v_fma_f64 v[22:23], s[14:15], v[54:55], -v[22:23]
	v_fma_f64 v[24:25], s[16:17], v[54:55], v[24:25]
	s_waitcnt vmcnt(0)
	v_mul_f64 v[26:27], s[40:41], v[2:3]
	v_mul_f64 v[2:3], s[38:39], v[2:3]
	v_fma_f64 v[26:27], s[38:39], v[0:1], -v[26:27]
	v_fma_f64 v[2:3], s[40:41], v[0:1], v[2:3]
	v_add_f64 v[0:1], v[22:23], v[26:27]
	v_add_f64 v[2:3], v[24:25], v[2:3]
	v_mul_f64 v[22:23], s[14:15], v[46:47]
	global_store_dwordx4 v[6:7], v[0:3], off offset:512
	global_load_dwordx4 v[0:3], v[8:9], off offset:768
	v_mul_f64 v[8:9], s[16:17], v[46:47]
	v_fma_f64 v[22:23], s[16:17], v[42:43], v[22:23]
	v_fma_f64 v[8:9], s[14:15], v[42:43], -v[8:9]
	s_waitcnt vmcnt(0)
	v_mul_f64 v[24:25], s[40:41], v[2:3]
	v_mul_f64 v[2:3], s[38:39], v[2:3]
	v_fma_f64 v[24:25], s[38:39], v[0:1], -v[24:25]
	v_fma_f64 v[2:3], s[40:41], v[0:1], v[2:3]
	v_add_f64 v[0:1], v[8:9], v[24:25]
	v_add_f64 v[2:3], v[22:23], v[2:3]
	v_add_co_u32 v8, vcc_lo, v28, v4
	v_add_co_ci_u32_e64 v9, null, v29, v5, vcc_lo
	v_mul_f64 v[22:23], s[14:15], v[68:69]
	v_add_co_u32 v30, vcc_lo, v30, s2
	v_add_co_ci_u32_e64 v31, null, s3, v31, vcc_lo
	global_store_dwordx4 v[6:7], v[0:3], off offset:768
	global_load_dwordx4 v[0:3], v[8:9], off
	v_mul_f64 v[6:7], s[16:17], v[68:69]
	v_fma_f64 v[22:23], s[16:17], v[66:67], v[22:23]
	v_fma_f64 v[6:7], s[14:15], v[66:67], -v[6:7]
	s_waitcnt vmcnt(0)
	v_mul_f64 v[24:25], s[40:41], v[2:3]
	v_mul_f64 v[2:3], s[38:39], v[2:3]
	v_fma_f64 v[24:25], s[38:39], v[0:1], -v[24:25]
	v_fma_f64 v[2:3], s[40:41], v[0:1], v[2:3]
	v_add_f64 v[0:1], v[6:7], v[24:25]
	v_add_f64 v[2:3], v[22:23], v[2:3]
	v_add_co_u32 v6, vcc_lo, v30, v4
	v_add_co_ci_u32_e64 v7, null, v31, v5, vcc_lo
	v_mul_f64 v[22:23], s[16:17], v[60:61]
	v_mul_f64 v[24:25], s[14:15], v[60:61]
	global_store_dwordx4 v[6:7], v[0:3], off
	global_load_dwordx4 v[0:3], v[8:9], off offset:256
	v_fma_f64 v[22:23], s[14:15], v[56:57], -v[22:23]
	v_fma_f64 v[24:25], s[16:17], v[56:57], v[24:25]
	s_waitcnt vmcnt(0)
	v_mul_f64 v[26:27], s[40:41], v[2:3]
	v_mul_f64 v[2:3], s[38:39], v[2:3]
	v_fma_f64 v[26:27], s[38:39], v[0:1], -v[26:27]
	v_fma_f64 v[2:3], s[40:41], v[0:1], v[2:3]
	v_add_f64 v[0:1], v[22:23], v[26:27]
	v_add_f64 v[2:3], v[24:25], v[2:3]
	v_mul_f64 v[22:23], s[16:17], v[50:51]
	v_mul_f64 v[24:25], s[14:15], v[50:51]
	global_store_dwordx4 v[6:7], v[0:3], off offset:256
	global_load_dwordx4 v[0:3], v[8:9], off offset:512
	v_fma_f64 v[22:23], s[14:15], v[44:45], -v[22:23]
	v_fma_f64 v[24:25], s[16:17], v[44:45], v[24:25]
	s_waitcnt vmcnt(0)
	v_mul_f64 v[26:27], s[40:41], v[2:3]
	v_mul_f64 v[2:3], s[38:39], v[2:3]
	v_fma_f64 v[26:27], s[38:39], v[0:1], -v[26:27]
	v_fma_f64 v[2:3], s[40:41], v[0:1], v[2:3]
	v_add_f64 v[0:1], v[22:23], v[26:27]
	v_add_f64 v[2:3], v[24:25], v[2:3]
	v_mul_f64 v[22:23], s[14:15], v[40:41]
	global_store_dwordx4 v[6:7], v[0:3], off offset:512
	global_load_dwordx4 v[0:3], v[8:9], off offset:768
	v_mul_f64 v[8:9], s[16:17], v[40:41]
	v_fma_f64 v[22:23], s[16:17], v[38:39], v[22:23]
	v_fma_f64 v[8:9], s[14:15], v[38:39], -v[8:9]
	s_waitcnt vmcnt(0)
	v_mul_f64 v[24:25], s[40:41], v[2:3]
	v_mul_f64 v[2:3], s[38:39], v[2:3]
	v_fma_f64 v[24:25], s[38:39], v[0:1], -v[24:25]
	v_fma_f64 v[2:3], s[40:41], v[0:1], v[2:3]
	v_add_f64 v[0:1], v[8:9], v[24:25]
	v_add_f64 v[2:3], v[22:23], v[2:3]
	v_add_co_u32 v8, vcc_lo, v28, s0
	v_add_co_ci_u32_e64 v9, null, s1, v29, vcc_lo
	v_add_co_u32 v8, vcc_lo, v8, v4
	v_add_co_ci_u32_e64 v9, null, v9, v5, vcc_lo
	global_store_dwordx4 v[6:7], v[0:3], off offset:768
	global_load_dwordx4 v[0:3], v[8:9], off
	v_mul_f64 v[6:7], s[16:17], v[20:21]
	v_mul_f64 v[20:21], s[14:15], v[20:21]
	v_fma_f64 v[6:7], s[14:15], v[18:19], -v[6:7]
	v_fma_f64 v[18:19], s[16:17], v[18:19], v[20:21]
	s_waitcnt vmcnt(0)
	v_mul_f64 v[22:23], s[40:41], v[2:3]
	v_mul_f64 v[2:3], s[38:39], v[2:3]
	v_fma_f64 v[20:21], s[38:39], v[0:1], -v[22:23]
	v_fma_f64 v[2:3], s[40:41], v[0:1], v[2:3]
	v_add_f64 v[0:1], v[6:7], v[20:21]
	v_add_f64 v[2:3], v[18:19], v[2:3]
	v_add_co_u32 v6, vcc_lo, v30, s2
	v_add_co_ci_u32_e64 v7, null, s3, v31, vcc_lo
	v_add_co_u32 v6, vcc_lo, v6, v4
	v_add_co_ci_u32_e64 v7, null, v7, v5, vcc_lo
	v_mul_f64 v[4:5], s[16:17], v[16:17]
	v_mul_f64 v[16:17], s[14:15], v[16:17]
	global_store_dwordx4 v[6:7], v[0:3], off
	global_load_dwordx4 v[0:3], v[8:9], off offset:256
	v_fma_f64 v[4:5], s[14:15], v[14:15], -v[4:5]
	v_fma_f64 v[14:15], s[16:17], v[14:15], v[16:17]
	s_waitcnt vmcnt(0)
	v_mul_f64 v[18:19], s[40:41], v[2:3]
	v_mul_f64 v[2:3], s[38:39], v[2:3]
	v_fma_f64 v[16:17], s[38:39], v[0:1], -v[18:19]
	v_fma_f64 v[2:3], s[40:41], v[0:1], v[2:3]
	v_add_f64 v[0:1], v[4:5], v[16:17]
	v_add_f64 v[2:3], v[14:15], v[2:3]
	v_mul_f64 v[4:5], s[16:17], v[12:13]
	v_mul_f64 v[12:13], s[14:15], v[12:13]
	global_store_dwordx4 v[6:7], v[0:3], off offset:256
	global_load_dwordx4 v[0:3], v[8:9], off offset:512
	v_fma_f64 v[4:5], s[14:15], v[10:11], -v[4:5]
	v_fma_f64 v[10:11], s[16:17], v[10:11], v[12:13]
	s_waitcnt vmcnt(0)
	v_mul_f64 v[14:15], s[40:41], v[2:3]
	v_mul_f64 v[2:3], s[38:39], v[2:3]
	v_fma_f64 v[12:13], s[38:39], v[0:1], -v[14:15]
	v_fma_f64 v[2:3], s[40:41], v[0:1], v[2:3]
	v_add_f64 v[0:1], v[4:5], v[12:13]
	v_add_f64 v[2:3], v[10:11], v[2:3]
	v_mul_f64 v[4:5], s[16:17], v[76:77]
	global_store_dwordx4 v[6:7], v[0:3], off offset:512
	global_load_dwordx4 v[0:3], v[8:9], off offset:768
	v_mul_f64 v[8:9], s[14:15], v[76:77]
	v_fma_f64 v[4:5], s[14:15], v[74:75], -v[4:5]
	v_fma_f64 v[8:9], s[16:17], v[74:75], v[8:9]
	s_waitcnt vmcnt(0)
	v_mul_f64 v[10:11], s[40:41], v[2:3]
	v_mul_f64 v[2:3], s[38:39], v[2:3]
	v_fma_f64 v[10:11], s[38:39], v[0:1], -v[10:11]
	v_fma_f64 v[0:1], s[40:41], v[0:1], v[2:3]
	v_add_f64 v[10:11], v[4:5], v[10:11]
	v_add_f64 v[2:3], v[8:9], v[0:1]
	v_add_co_u32 v4, vcc_lo, 0x300, v6
	v_add_co_ci_u32_e64 v5, null, 0, v7, vcc_lo
	global_store_dwordx2 v[6:7], v[10:11], off offset:768
.LBB536_8:
	global_store_dwordx2 v[4:5], v[2:3], off offset:8
	s_endpgm
	.section	.rodata,"a",@progbits
	.p2align	6, 0x0
	.amdhsa_kernel _ZN12_GLOBAL__N_127rocblas_gemm_batched_kernelI19rocblas_complex_numIdELi16ELi16ELi64ELi64ELi4ELi64ELi4ELi4ELi64ELc78ELc67EKS2_S3_S2_EEvlllT_PT11_llS6_llS4_PT12_llPT13_lli
		.amdhsa_group_segment_fixed_size 8192
		.amdhsa_private_segment_fixed_size 0
		.amdhsa_kernarg_size 156
		.amdhsa_user_sgpr_count 6
		.amdhsa_user_sgpr_private_segment_buffer 1
		.amdhsa_user_sgpr_dispatch_ptr 0
		.amdhsa_user_sgpr_queue_ptr 0
		.amdhsa_user_sgpr_kernarg_segment_ptr 1
		.amdhsa_user_sgpr_dispatch_id 0
		.amdhsa_user_sgpr_flat_scratch_init 0
		.amdhsa_user_sgpr_private_segment_size 0
		.amdhsa_wavefront_size32 1
		.amdhsa_uses_dynamic_stack 0
		.amdhsa_system_sgpr_private_segment_wavefront_offset 0
		.amdhsa_system_sgpr_workgroup_id_x 1
		.amdhsa_system_sgpr_workgroup_id_y 1
		.amdhsa_system_sgpr_workgroup_id_z 1
		.amdhsa_system_sgpr_workgroup_info 0
		.amdhsa_system_vgpr_workitem_id 1
		.amdhsa_next_free_vgpr 138
		.amdhsa_next_free_sgpr 52
		.amdhsa_reserve_vcc 1
		.amdhsa_reserve_flat_scratch 0
		.amdhsa_float_round_mode_32 0
		.amdhsa_float_round_mode_16_64 0
		.amdhsa_float_denorm_mode_32 3
		.amdhsa_float_denorm_mode_16_64 3
		.amdhsa_dx10_clamp 1
		.amdhsa_ieee_mode 1
		.amdhsa_fp16_overflow 0
		.amdhsa_workgroup_processor_mode 1
		.amdhsa_memory_ordered 1
		.amdhsa_forward_progress 1
		.amdhsa_shared_vgpr_count 0
		.amdhsa_exception_fp_ieee_invalid_op 0
		.amdhsa_exception_fp_denorm_src 0
		.amdhsa_exception_fp_ieee_div_zero 0
		.amdhsa_exception_fp_ieee_overflow 0
		.amdhsa_exception_fp_ieee_underflow 0
		.amdhsa_exception_fp_ieee_inexact 0
		.amdhsa_exception_int_div_zero 0
	.end_amdhsa_kernel
	.section	.text._ZN12_GLOBAL__N_127rocblas_gemm_batched_kernelI19rocblas_complex_numIdELi16ELi16ELi64ELi64ELi4ELi64ELi4ELi4ELi64ELc78ELc67EKS2_S3_S2_EEvlllT_PT11_llS6_llS4_PT12_llPT13_lli,"axG",@progbits,_ZN12_GLOBAL__N_127rocblas_gemm_batched_kernelI19rocblas_complex_numIdELi16ELi16ELi64ELi64ELi4ELi64ELi4ELi4ELi64ELc78ELc67EKS2_S3_S2_EEvlllT_PT11_llS6_llS4_PT12_llPT13_lli,comdat
.Lfunc_end536:
	.size	_ZN12_GLOBAL__N_127rocblas_gemm_batched_kernelI19rocblas_complex_numIdELi16ELi16ELi64ELi64ELi4ELi64ELi4ELi4ELi64ELc78ELc67EKS2_S3_S2_EEvlllT_PT11_llS6_llS4_PT12_llPT13_lli, .Lfunc_end536-_ZN12_GLOBAL__N_127rocblas_gemm_batched_kernelI19rocblas_complex_numIdELi16ELi16ELi64ELi64ELi4ELi64ELi4ELi4ELi64ELc78ELc67EKS2_S3_S2_EEvlllT_PT11_llS6_llS4_PT12_llPT13_lli
                                        ; -- End function
	.set _ZN12_GLOBAL__N_127rocblas_gemm_batched_kernelI19rocblas_complex_numIdELi16ELi16ELi64ELi64ELi4ELi64ELi4ELi4ELi64ELc78ELc67EKS2_S3_S2_EEvlllT_PT11_llS6_llS4_PT12_llPT13_lli.num_vgpr, 138
	.set _ZN12_GLOBAL__N_127rocblas_gemm_batched_kernelI19rocblas_complex_numIdELi16ELi16ELi64ELi64ELi4ELi64ELi4ELi4ELi64ELc78ELc67EKS2_S3_S2_EEvlllT_PT11_llS6_llS4_PT12_llPT13_lli.num_agpr, 0
	.set _ZN12_GLOBAL__N_127rocblas_gemm_batched_kernelI19rocblas_complex_numIdELi16ELi16ELi64ELi64ELi4ELi64ELi4ELi4ELi64ELc78ELc67EKS2_S3_S2_EEvlllT_PT11_llS6_llS4_PT12_llPT13_lli.numbered_sgpr, 52
	.set _ZN12_GLOBAL__N_127rocblas_gemm_batched_kernelI19rocblas_complex_numIdELi16ELi16ELi64ELi64ELi4ELi64ELi4ELi4ELi64ELc78ELc67EKS2_S3_S2_EEvlllT_PT11_llS6_llS4_PT12_llPT13_lli.num_named_barrier, 0
	.set _ZN12_GLOBAL__N_127rocblas_gemm_batched_kernelI19rocblas_complex_numIdELi16ELi16ELi64ELi64ELi4ELi64ELi4ELi4ELi64ELc78ELc67EKS2_S3_S2_EEvlllT_PT11_llS6_llS4_PT12_llPT13_lli.private_seg_size, 0
	.set _ZN12_GLOBAL__N_127rocblas_gemm_batched_kernelI19rocblas_complex_numIdELi16ELi16ELi64ELi64ELi4ELi64ELi4ELi4ELi64ELc78ELc67EKS2_S3_S2_EEvlllT_PT11_llS6_llS4_PT12_llPT13_lli.uses_vcc, 1
	.set _ZN12_GLOBAL__N_127rocblas_gemm_batched_kernelI19rocblas_complex_numIdELi16ELi16ELi64ELi64ELi4ELi64ELi4ELi4ELi64ELc78ELc67EKS2_S3_S2_EEvlllT_PT11_llS6_llS4_PT12_llPT13_lli.uses_flat_scratch, 0
	.set _ZN12_GLOBAL__N_127rocblas_gemm_batched_kernelI19rocblas_complex_numIdELi16ELi16ELi64ELi64ELi4ELi64ELi4ELi4ELi64ELc78ELc67EKS2_S3_S2_EEvlllT_PT11_llS6_llS4_PT12_llPT13_lli.has_dyn_sized_stack, 0
	.set _ZN12_GLOBAL__N_127rocblas_gemm_batched_kernelI19rocblas_complex_numIdELi16ELi16ELi64ELi64ELi4ELi64ELi4ELi4ELi64ELc78ELc67EKS2_S3_S2_EEvlllT_PT11_llS6_llS4_PT12_llPT13_lli.has_recursion, 0
	.set _ZN12_GLOBAL__N_127rocblas_gemm_batched_kernelI19rocblas_complex_numIdELi16ELi16ELi64ELi64ELi4ELi64ELi4ELi4ELi64ELc78ELc67EKS2_S3_S2_EEvlllT_PT11_llS6_llS4_PT12_llPT13_lli.has_indirect_call, 0
	.section	.AMDGPU.csdata,"",@progbits
; Kernel info:
; codeLenInByte = 7372
; TotalNumSgprs: 54
; NumVgprs: 138
; ScratchSize: 0
; MemoryBound: 0
; FloatMode: 240
; IeeeMode: 1
; LDSByteSize: 8192 bytes/workgroup (compile time only)
; SGPRBlocks: 0
; VGPRBlocks: 17
; NumSGPRsForWavesPerEU: 54
; NumVGPRsForWavesPerEU: 138
; Occupancy: 7
; WaveLimiterHint : 1
; COMPUTE_PGM_RSRC2:SCRATCH_EN: 0
; COMPUTE_PGM_RSRC2:USER_SGPR: 6
; COMPUTE_PGM_RSRC2:TRAP_HANDLER: 0
; COMPUTE_PGM_RSRC2:TGID_X_EN: 1
; COMPUTE_PGM_RSRC2:TGID_Y_EN: 1
; COMPUTE_PGM_RSRC2:TGID_Z_EN: 1
; COMPUTE_PGM_RSRC2:TIDIG_COMP_CNT: 1
	.section	.text._ZN12_GLOBAL__N_127rocblas_gemm_batched_kernelI19rocblas_complex_numIdELi16ELi16ELi64ELi64ELi4ELi64ELi4ELi4ELi64ELc84ELc67EKS2_S3_S2_EEvlllT_PT11_llS6_llS4_PT12_llPT13_lli,"axG",@progbits,_ZN12_GLOBAL__N_127rocblas_gemm_batched_kernelI19rocblas_complex_numIdELi16ELi16ELi64ELi64ELi4ELi64ELi4ELi4ELi64ELc84ELc67EKS2_S3_S2_EEvlllT_PT11_llS6_llS4_PT12_llPT13_lli,comdat
	.globl	_ZN12_GLOBAL__N_127rocblas_gemm_batched_kernelI19rocblas_complex_numIdELi16ELi16ELi64ELi64ELi4ELi64ELi4ELi4ELi64ELc84ELc67EKS2_S3_S2_EEvlllT_PT11_llS6_llS4_PT12_llPT13_lli ; -- Begin function _ZN12_GLOBAL__N_127rocblas_gemm_batched_kernelI19rocblas_complex_numIdELi16ELi16ELi64ELi64ELi4ELi64ELi4ELi4ELi64ELc84ELc67EKS2_S3_S2_EEvlllT_PT11_llS6_llS4_PT12_llPT13_lli
	.p2align	8
	.type	_ZN12_GLOBAL__N_127rocblas_gemm_batched_kernelI19rocblas_complex_numIdELi16ELi16ELi64ELi64ELi4ELi64ELi4ELi4ELi64ELc84ELc67EKS2_S3_S2_EEvlllT_PT11_llS6_llS4_PT12_llPT13_lli,@function
_ZN12_GLOBAL__N_127rocblas_gemm_batched_kernelI19rocblas_complex_numIdELi16ELi16ELi64ELi64ELi4ELi64ELi4ELi4ELi64ELc84ELc67EKS2_S3_S2_EEvlllT_PT11_llS6_llS4_PT12_llPT13_lli: ; @_ZN12_GLOBAL__N_127rocblas_gemm_batched_kernelI19rocblas_complex_numIdELi16ELi16ELi64ELi64ELi4ELi64ELi4ELi4ELi64ELc84ELc67EKS2_S3_S2_EEvlllT_PT11_llS6_llS4_PT12_llPT13_lli
; %bb.0:
	s_clause 0x1
	s_load_dwordx16 s[12:27], s[4:5], 0x10
	s_load_dwordx16 s[36:51], s[4:5], 0x50
	s_mov_b32 s2, s7
	s_ashr_i32 s7, s6, 31
	s_ashr_i32 s3, s2, 31
	s_lshl_b64 s[0:1], s[6:7], 6
	s_lshl_b64 s[2:3], s[2:3], 6
	s_waitcnt lgkmcnt(0)
	v_cmp_lt_i64_e64 s9, s[12:13], 1
	s_and_b32 vcc_lo, exec_lo, s9
	s_cbranch_vccnz .LBB537_3
; %bb.1:
	v_lshl_add_u32 v6, v1, 4, v0
	v_and_b32_e32 v7, 3, v0
	s_mul_i32 s7, s23, s8
	s_mul_hi_u32 s9, s22, s8
	s_mul_hi_u32 s10, s36, s8
	v_lshrrev_b32_e32 v8, 2, v6
	v_and_b32_e32 v9, 63, v6
	v_lshlrev_b32_e32 v12, 4, v7
	v_lshrrev_b32_e32 v13, 6, v6
	s_add_i32 s7, s9, s7
	v_add_co_u32 v2, s6, v8, s2
	v_add_co_ci_u32_e64 v3, null, 0, s3, s6
	v_add_co_u32 v4, s6, s0, v9
	v_add_co_ci_u32_e64 v5, null, s1, 0, s6
	v_mad_u64_u32 v[2:3], null, s26, v7, v[2:3]
	v_mul_lo_u32 v10, s21, v4
	v_mul_lo_u32 v11, s20, v5
	v_mad_u64_u32 v[4:5], null, s20, v4, 0
	s_mul_i32 s6, s22, s8
	s_mul_i32 s9, s37, s8
	s_lshl_b64 s[6:7], s[6:7], 4
	v_lshlrev_b32_e32 v9, 4, v9
	v_mov_b32_e32 v76, 0
	v_mov_b32_e32 v74, 0
	v_add3_u32 v5, v5, v11, v10
	v_mad_u64_u32 v[6:7], null, s27, v7, v[3:4]
	v_lshl_or_b32 v3, v8, 6, v12
	v_lshl_or_b32 v92, v13, 10, v9
	v_lshlrev_b64 v[4:5], 4, v[4:5]
	v_mov_b32_e32 v10, 0
	v_mov_b32_e32 v16, 0
	v_add_nc_u32_e32 v93, 0x1000, v3
	v_mov_b32_e32 v3, v6
	v_lshlrev_b32_e32 v6, 4, v13
	v_add_co_u32 v4, vcc_lo, v4, s6
	v_add_co_ci_u32_e64 v5, null, s7, v5, vcc_lo
	s_add_i32 s7, s10, s9
	v_add_co_u32 v4, vcc_lo, v4, v6
	s_mul_i32 s6, s36, s8
	v_lshlrev_b64 v[2:3], 4, v[2:3]
	v_add_co_ci_u32_e64 v5, null, 0, v5, vcc_lo
	s_lshl_b64 s[6:7], s[6:7], 4
	v_add_co_u32 v26, vcc_lo, s18, v4
	s_add_u32 s6, s24, s6
	v_add_co_ci_u32_e64 v27, null, s19, v5, vcc_lo
	s_addc_u32 s7, s25, s7
	v_add_co_u32 v2, vcc_lo, s6, v2
	v_add_co_ci_u32_e64 v3, null, s7, v3, vcc_lo
	v_mov_b32_e32 v12, 0
	v_add_co_u32 v28, vcc_lo, v2, 8
	v_mov_b32_e32 v14, 0
	v_mov_b32_e32 v20, 0
	;; [unrolled: 1-line block ×27, first 2 shown]
	v_lshlrev_b32_e32 v90, 4, v0
	v_lshl_add_u32 v91, v1, 6, 0x1000
	v_mov_b32_e32 v77, 0
	v_mov_b32_e32 v75, 0
	;; [unrolled: 1-line block ×32, first 2 shown]
	v_add_co_ci_u32_e64 v29, null, 0, v3, vcc_lo
	s_lshl_b64 s[6:7], s[26:27], 6
	s_mov_b64 s[10:11], 0
.LBB537_2:                              ; =>This Inner Loop Header: Depth=1
	global_load_dwordx4 v[2:5], v[26:27], off
	s_add_u32 s10, s10, 4
	s_addc_u32 s11, s11, 0
	v_add_co_u32 v26, vcc_lo, v26, 64
	v_cmp_lt_i64_e64 s9, s[10:11], s[12:13]
	v_add_co_ci_u32_e64 v27, null, 0, v27, vcc_lo
	s_waitcnt vmcnt(0)
	ds_write2_b64 v92, v[2:3], v[4:5] offset1:1
	global_load_dwordx4 v[2:5], v[28:29], off offset:-8
	v_add_co_u32 v28, vcc_lo, v28, s6
	v_add_co_ci_u32_e64 v29, null, s7, v29, vcc_lo
	s_and_b32 vcc_lo, exec_lo, s9
	s_waitcnt vmcnt(0)
	v_xor_b32_e32 v5, 0x80000000, v5
	ds_write_b128 v93, v[2:5]
	s_waitcnt lgkmcnt(0)
	s_barrier
	buffer_gl0_inv
	ds_read_b128 v[78:81], v91
	ds_read_b128 v[82:85], v91 offset:16
	ds_read_b128 v[6:9], v91 offset:32
	;; [unrolled: 1-line block ×3, first 2 shown]
	ds_read_b128 v[86:89], v90
	s_waitcnt lgkmcnt(0)
	v_mul_f64 v[94:95], v[80:81], v[88:89]
	v_mul_f64 v[96:97], v[78:79], v[88:89]
	v_fma_f64 v[94:95], v[78:79], v[86:87], -v[94:95]
	v_fma_f64 v[96:97], v[80:81], v[86:87], v[96:97]
	v_add_f64 v[98:99], v[48:49], v[94:95]
	v_add_f64 v[100:101], v[96:97], v[52:53]
	ds_read_b128 v[94:97], v90 offset:256
	s_waitcnt lgkmcnt(0)
	v_mul_f64 v[48:49], v[80:81], v[96:97]
	v_mul_f64 v[52:53], v[78:79], v[96:97]
	v_fma_f64 v[48:49], v[78:79], v[94:95], -v[48:49]
	v_fma_f64 v[52:53], v[80:81], v[94:95], v[52:53]
	v_add_f64 v[102:103], v[34:35], v[48:49]
	v_add_f64 v[104:105], v[52:53], v[36:37]
	ds_read_b128 v[34:37], v90 offset:512
	;; [unrolled: 8-line block ×4, first 2 shown]
	s_waitcnt lgkmcnt(0)
	v_mul_f64 v[48:49], v[24:25], v[88:89]
	v_mul_f64 v[52:53], v[22:23], v[88:89]
	v_fma_f64 v[48:49], v[22:23], v[86:87], -v[48:49]
	v_fma_f64 v[52:53], v[24:25], v[86:87], v[52:53]
	v_add_f64 v[70:71], v[70:71], v[48:49]
	v_mul_f64 v[48:49], v[24:25], v[96:97]
	v_add_f64 v[72:73], v[52:53], v[72:73]
	v_mul_f64 v[52:53], v[22:23], v[96:97]
	v_fma_f64 v[48:49], v[22:23], v[94:95], -v[48:49]
	v_fma_f64 v[52:53], v[24:25], v[94:95], v[52:53]
	v_add_f64 v[110:111], v[62:63], v[48:49]
	v_mul_f64 v[48:49], v[24:25], v[36:37]
	v_add_f64 v[112:113], v[52:53], v[64:65]
	;; [unrolled: 6-line block ×3, first 2 shown]
	v_fma_f64 v[48:49], v[22:23], v[30:31], -v[48:49]
	v_mul_f64 v[22:23], v[22:23], v[32:33]
	v_add_f64 v[118:119], v[42:43], v[48:49]
	v_fma_f64 v[22:23], v[24:25], v[30:31], v[22:23]
	v_add_f64 v[120:121], v[22:23], v[46:47]
	ds_read_b128 v[22:25], v91 offset:2048
	s_waitcnt lgkmcnt(0)
	v_mul_f64 v[42:43], v[24:25], v[88:89]
	v_mul_f64 v[46:47], v[22:23], v[88:89]
	v_fma_f64 v[42:43], v[22:23], v[86:87], -v[42:43]
	v_fma_f64 v[46:47], v[24:25], v[86:87], v[46:47]
	v_add_f64 v[122:123], v[66:67], v[42:43]
	v_mul_f64 v[42:43], v[24:25], v[96:97]
	v_add_f64 v[124:125], v[46:47], v[68:69]
	v_mul_f64 v[46:47], v[22:23], v[96:97]
	v_fma_f64 v[42:43], v[22:23], v[94:95], -v[42:43]
	v_fma_f64 v[46:47], v[24:25], v[94:95], v[46:47]
	v_add_f64 v[126:127], v[56:57], v[42:43]
	v_mul_f64 v[42:43], v[24:25], v[36:37]
	v_add_f64 v[128:129], v[46:47], v[60:61]
	;; [unrolled: 6-line block ×3, first 2 shown]
	v_fma_f64 v[42:43], v[22:23], v[30:31], -v[42:43]
	v_mul_f64 v[22:23], v[22:23], v[32:33]
	v_add_f64 v[134:135], v[38:39], v[42:43]
	v_fma_f64 v[22:23], v[24:25], v[30:31], v[22:23]
	v_add_f64 v[136:137], v[22:23], v[40:41]
	ds_read_b128 v[22:25], v91 offset:3072
	s_waitcnt lgkmcnt(0)
	v_mul_f64 v[38:39], v[24:25], v[88:89]
	v_mul_f64 v[40:41], v[22:23], v[88:89]
	v_fma_f64 v[38:39], v[22:23], v[86:87], -v[38:39]
	v_fma_f64 v[40:41], v[24:25], v[86:87], v[40:41]
	v_add_f64 v[58:59], v[18:19], v[38:39]
	v_add_f64 v[60:61], v[40:41], v[20:21]
	v_mul_f64 v[18:19], v[24:25], v[96:97]
	v_mul_f64 v[20:21], v[22:23], v[96:97]
	v_fma_f64 v[18:19], v[22:23], v[94:95], -v[18:19]
	v_fma_f64 v[20:21], v[24:25], v[94:95], v[20:21]
	v_add_f64 v[54:55], v[14:15], v[18:19]
	v_add_f64 v[56:57], v[20:21], v[16:17]
	v_mul_f64 v[14:15], v[24:25], v[36:37]
	v_mul_f64 v[16:17], v[22:23], v[36:37]
	ds_read_b128 v[18:21], v90 offset:1280
	v_fma_f64 v[14:15], v[22:23], v[34:35], -v[14:15]
	v_fma_f64 v[16:17], v[24:25], v[34:35], v[16:17]
	v_add_f64 v[50:51], v[10:11], v[14:15]
	v_add_f64 v[52:53], v[16:17], v[12:13]
	v_mul_f64 v[10:11], v[24:25], v[32:33]
	v_mul_f64 v[12:13], v[22:23], v[32:33]
	ds_read_b128 v[14:17], v90 offset:1536
	v_fma_f64 v[10:11], v[22:23], v[30:31], -v[10:11]
	v_fma_f64 v[12:13], v[24:25], v[30:31], v[12:13]
	ds_read_b128 v[22:25], v90 offset:1024
	v_add_f64 v[46:47], v[74:75], v[10:11]
	v_add_f64 v[48:49], v[12:13], v[76:77]
	s_waitcnt lgkmcnt(0)
	v_mul_f64 v[10:11], v[84:85], v[24:25]
	v_mul_f64 v[12:13], v[82:83], v[24:25]
	ds_read_b128 v[74:77], v91 offset:1040
	v_fma_f64 v[10:11], v[82:83], v[22:23], -v[10:11]
	v_fma_f64 v[12:13], v[84:85], v[22:23], v[12:13]
	s_waitcnt lgkmcnt(0)
	v_mul_f64 v[62:63], v[76:77], v[24:25]
	v_mul_f64 v[64:65], v[74:75], v[24:25]
	;; [unrolled: 1-line block ×4, first 2 shown]
	v_add_f64 v[42:43], v[98:99], v[10:11]
	v_add_f64 v[44:45], v[12:13], v[100:101]
	v_mul_f64 v[10:11], v[84:85], v[20:21]
	v_mul_f64 v[12:13], v[82:83], v[20:21]
	v_fma_f64 v[62:63], v[74:75], v[22:23], -v[62:63]
	v_fma_f64 v[64:65], v[76:77], v[22:23], v[64:65]
	v_fma_f64 v[66:67], v[74:75], v[18:19], -v[66:67]
	v_fma_f64 v[68:69], v[76:77], v[18:19], v[68:69]
	;; [unrolled: 2-line block ×3, first 2 shown]
	v_add_f64 v[62:63], v[70:71], v[62:63]
	v_mul_f64 v[70:71], v[76:77], v[16:17]
	v_add_f64 v[64:65], v[64:65], v[72:73]
	v_mul_f64 v[72:73], v[74:75], v[16:17]
	v_add_f64 v[66:67], v[110:111], v[66:67]
	v_add_f64 v[68:69], v[68:69], v[112:113]
	;; [unrolled: 1-line block ×4, first 2 shown]
	v_mul_f64 v[10:11], v[84:85], v[16:17]
	v_mul_f64 v[12:13], v[82:83], v[16:17]
	v_fma_f64 v[70:71], v[74:75], v[14:15], -v[70:71]
	v_fma_f64 v[72:73], v[76:77], v[14:15], v[72:73]
	v_fma_f64 v[10:11], v[82:83], v[14:15], -v[10:11]
	v_fma_f64 v[12:13], v[84:85], v[14:15], v[12:13]
	v_add_f64 v[70:71], v[114:115], v[70:71]
	v_add_f64 v[72:73], v[72:73], v[116:117]
	;; [unrolled: 1-line block ×4, first 2 shown]
	ds_read_b128 v[10:13], v90 offset:1792
	s_waitcnt lgkmcnt(0)
	v_mul_f64 v[30:31], v[84:85], v[12:13]
	v_mul_f64 v[32:33], v[82:83], v[12:13]
	v_fma_f64 v[30:31], v[82:83], v[10:11], -v[30:31]
	v_fma_f64 v[32:33], v[84:85], v[10:11], v[32:33]
	v_add_f64 v[30:31], v[78:79], v[30:31]
	v_mul_f64 v[78:79], v[76:77], v[12:13]
	v_add_f64 v[32:33], v[32:33], v[80:81]
	v_fma_f64 v[78:79], v[74:75], v[10:11], -v[78:79]
	v_mul_f64 v[74:75], v[74:75], v[12:13]
	v_fma_f64 v[76:77], v[76:77], v[10:11], v[74:75]
	v_add_f64 v[74:75], v[118:119], v[78:79]
	ds_read_b128 v[78:81], v91 offset:2064
	s_waitcnt lgkmcnt(0)
	v_mul_f64 v[82:83], v[80:81], v[24:25]
	v_mul_f64 v[86:87], v[80:81], v[20:21]
	;; [unrolled: 1-line block ×7, first 2 shown]
	v_add_f64 v[76:77], v[76:77], v[120:121]
	v_fma_f64 v[82:83], v[78:79], v[22:23], -v[82:83]
	v_fma_f64 v[86:87], v[78:79], v[18:19], -v[86:87]
	;; [unrolled: 1-line block ×4, first 2 shown]
	v_mul_f64 v[78:79], v[78:79], v[12:13]
	v_fma_f64 v[84:85], v[80:81], v[22:23], v[84:85]
	v_fma_f64 v[88:89], v[80:81], v[18:19], v[88:89]
	;; [unrolled: 1-line block ×3, first 2 shown]
	v_add_f64 v[82:83], v[122:123], v[82:83]
	v_add_f64 v[86:87], v[126:127], v[86:87]
	;; [unrolled: 1-line block ×4, first 2 shown]
	v_fma_f64 v[78:79], v[80:81], v[10:11], v[78:79]
	v_add_f64 v[84:85], v[84:85], v[124:125]
	v_add_f64 v[88:89], v[88:89], v[128:129]
	;; [unrolled: 1-line block ×4, first 2 shown]
	ds_read_b128 v[78:81], v91 offset:3088
	s_waitcnt lgkmcnt(0)
	v_mul_f64 v[102:103], v[80:81], v[24:25]
	v_mul_f64 v[24:25], v[78:79], v[24:25]
	v_fma_f64 v[102:103], v[78:79], v[22:23], -v[102:103]
	v_fma_f64 v[22:23], v[80:81], v[22:23], v[24:25]
	v_add_f64 v[58:59], v[58:59], v[102:103]
	v_add_f64 v[60:61], v[22:23], v[60:61]
	v_mul_f64 v[22:23], v[80:81], v[20:21]
	v_mul_f64 v[20:21], v[78:79], v[20:21]
	v_fma_f64 v[22:23], v[78:79], v[18:19], -v[22:23]
	v_fma_f64 v[18:19], v[80:81], v[18:19], v[20:21]
	v_add_f64 v[54:55], v[54:55], v[22:23]
	v_add_f64 v[56:57], v[18:19], v[56:57]
	;; [unrolled: 6-line block ×4, first 2 shown]
	ds_read_b128 v[10:13], v90 offset:2048
	s_waitcnt lgkmcnt(0)
	v_mul_f64 v[14:15], v[8:9], v[12:13]
	v_mul_f64 v[16:17], v[6:7], v[12:13]
	v_fma_f64 v[14:15], v[6:7], v[10:11], -v[14:15]
	v_fma_f64 v[16:17], v[8:9], v[10:11], v[16:17]
	v_add_f64 v[42:43], v[42:43], v[14:15]
	v_add_f64 v[44:45], v[16:17], v[44:45]
	ds_read_b128 v[14:17], v90 offset:2304
	s_waitcnt lgkmcnt(0)
	v_mul_f64 v[18:19], v[8:9], v[16:17]
	v_mul_f64 v[20:21], v[6:7], v[16:17]
	v_fma_f64 v[18:19], v[6:7], v[14:15], -v[18:19]
	v_fma_f64 v[20:21], v[8:9], v[14:15], v[20:21]
	v_add_f64 v[38:39], v[38:39], v[18:19]
	v_add_f64 v[40:41], v[20:21], v[40:41]
	;; [unrolled: 8-line block ×3, first 2 shown]
	ds_read_b128 v[22:25], v90 offset:2816
	s_waitcnt lgkmcnt(0)
	v_mul_f64 v[34:35], v[8:9], v[24:25]
	v_fma_f64 v[34:35], v[6:7], v[22:23], -v[34:35]
	v_mul_f64 v[6:7], v[6:7], v[24:25]
	v_add_f64 v[106:107], v[30:31], v[34:35]
	v_fma_f64 v[6:7], v[8:9], v[22:23], v[6:7]
	v_add_f64 v[108:109], v[6:7], v[32:33]
	ds_read_b128 v[6:9], v91 offset:1056
	s_waitcnt lgkmcnt(0)
	v_mul_f64 v[30:31], v[8:9], v[12:13]
	v_mul_f64 v[32:33], v[6:7], v[12:13]
	v_fma_f64 v[30:31], v[6:7], v[10:11], -v[30:31]
	v_fma_f64 v[32:33], v[8:9], v[10:11], v[32:33]
	v_add_f64 v[62:63], v[62:63], v[30:31]
	v_mul_f64 v[30:31], v[8:9], v[16:17]
	v_add_f64 v[64:65], v[32:33], v[64:65]
	v_mul_f64 v[32:33], v[6:7], v[16:17]
	v_fma_f64 v[30:31], v[6:7], v[14:15], -v[30:31]
	v_fma_f64 v[32:33], v[8:9], v[14:15], v[32:33]
	v_add_f64 v[66:67], v[66:67], v[30:31]
	v_mul_f64 v[30:31], v[8:9], v[20:21]
	v_add_f64 v[68:69], v[32:33], v[68:69]
	v_mul_f64 v[32:33], v[6:7], v[20:21]
	v_fma_f64 v[30:31], v[6:7], v[18:19], -v[30:31]
	v_fma_f64 v[32:33], v[8:9], v[18:19], v[32:33]
	v_add_f64 v[110:111], v[70:71], v[30:31]
	v_mul_f64 v[30:31], v[8:9], v[24:25]
	v_add_f64 v[112:113], v[32:33], v[72:73]
	v_fma_f64 v[30:31], v[6:7], v[22:23], -v[30:31]
	v_mul_f64 v[6:7], v[6:7], v[24:25]
	v_add_f64 v[114:115], v[74:75], v[30:31]
	v_fma_f64 v[6:7], v[8:9], v[22:23], v[6:7]
	v_add_f64 v[116:117], v[6:7], v[76:77]
	ds_read_b128 v[6:9], v91 offset:2080
	s_waitcnt lgkmcnt(0)
	v_mul_f64 v[30:31], v[8:9], v[12:13]
	v_mul_f64 v[32:33], v[6:7], v[12:13]
	v_fma_f64 v[30:31], v[6:7], v[10:11], -v[30:31]
	v_fma_f64 v[32:33], v[8:9], v[10:11], v[32:33]
	v_add_f64 v[118:119], v[82:83], v[30:31]
	v_mul_f64 v[30:31], v[8:9], v[16:17]
	v_add_f64 v[120:121], v[32:33], v[84:85]
	v_mul_f64 v[32:33], v[6:7], v[16:17]
	v_fma_f64 v[30:31], v[6:7], v[14:15], -v[30:31]
	v_fma_f64 v[32:33], v[8:9], v[14:15], v[32:33]
	v_add_f64 v[122:123], v[86:87], v[30:31]
	v_mul_f64 v[30:31], v[8:9], v[20:21]
	v_add_f64 v[124:125], v[32:33], v[88:89]
	;; [unrolled: 6-line block ×3, first 2 shown]
	v_fma_f64 v[30:31], v[6:7], v[22:23], -v[30:31]
	v_mul_f64 v[6:7], v[6:7], v[24:25]
	v_add_f64 v[98:99], v[98:99], v[30:31]
	v_fma_f64 v[6:7], v[8:9], v[22:23], v[6:7]
	v_add_f64 v[100:101], v[6:7], v[100:101]
	ds_read_b128 v[6:9], v91 offset:3104
	s_waitcnt lgkmcnt(0)
	v_mul_f64 v[30:31], v[8:9], v[12:13]
	v_mul_f64 v[12:13], v[6:7], v[12:13]
	v_fma_f64 v[30:31], v[6:7], v[10:11], -v[30:31]
	v_fma_f64 v[10:11], v[8:9], v[10:11], v[12:13]
	v_mul_f64 v[12:13], v[6:7], v[16:17]
	v_add_f64 v[86:87], v[58:59], v[30:31]
	v_add_f64 v[88:89], v[10:11], v[60:61]
	v_mul_f64 v[10:11], v[8:9], v[16:17]
	v_fma_f64 v[12:13], v[8:9], v[14:15], v[12:13]
	v_fma_f64 v[10:11], v[6:7], v[14:15], -v[10:11]
	v_add_f64 v[84:85], v[12:13], v[56:57]
	v_mul_f64 v[12:13], v[6:7], v[20:21]
	ds_read_b128 v[14:17], v90 offset:3328
	v_add_f64 v[82:83], v[54:55], v[10:11]
	v_mul_f64 v[10:11], v[8:9], v[20:21]
	v_fma_f64 v[12:13], v[8:9], v[18:19], v[12:13]
	v_fma_f64 v[10:11], v[6:7], v[18:19], -v[10:11]
	ds_read_b128 v[18:21], v90 offset:3072
	v_add_f64 v[80:81], v[12:13], v[52:53]
	v_add_f64 v[78:79], v[50:51], v[10:11]
	v_mul_f64 v[10:11], v[8:9], v[24:25]
	v_fma_f64 v[10:11], v[6:7], v[22:23], -v[10:11]
	v_mul_f64 v[6:7], v[6:7], v[24:25]
	v_add_f64 v[74:75], v[46:47], v[10:11]
	v_fma_f64 v[6:7], v[8:9], v[22:23], v[6:7]
	s_waitcnt lgkmcnt(0)
	v_mul_f64 v[8:9], v[2:3], v[20:21]
	ds_read_b128 v[10:13], v90 offset:3584
	v_add_f64 v[76:77], v[6:7], v[48:49]
	v_mul_f64 v[6:7], v[4:5], v[20:21]
	v_fma_f64 v[8:9], v[4:5], v[18:19], v[8:9]
	v_fma_f64 v[6:7], v[2:3], v[18:19], -v[6:7]
	v_add_f64 v[52:53], v[8:9], v[44:45]
	v_mul_f64 v[8:9], v[2:3], v[16:17]
	v_add_f64 v[48:49], v[42:43], v[6:7]
	v_mul_f64 v[6:7], v[4:5], v[16:17]
	v_fma_f64 v[8:9], v[4:5], v[14:15], v[8:9]
	v_fma_f64 v[6:7], v[2:3], v[14:15], -v[6:7]
	v_add_f64 v[36:37], v[8:9], v[40:41]
	s_waitcnt lgkmcnt(0)
	v_mul_f64 v[8:9], v[2:3], v[12:13]
	v_add_f64 v[34:35], v[38:39], v[6:7]
	v_mul_f64 v[6:7], v[4:5], v[12:13]
	v_fma_f64 v[8:9], v[4:5], v[10:11], v[8:9]
	v_fma_f64 v[6:7], v[2:3], v[10:11], -v[6:7]
	v_add_f64 v[32:33], v[8:9], v[104:105]
	v_add_f64 v[30:31], v[102:103], v[6:7]
	ds_read_b128 v[6:9], v90 offset:3840
	s_waitcnt lgkmcnt(0)
	v_mul_f64 v[22:23], v[4:5], v[8:9]
	v_fma_f64 v[22:23], v[2:3], v[6:7], -v[22:23]
	v_mul_f64 v[2:3], v[2:3], v[8:9]
	v_add_f64 v[22:23], v[106:107], v[22:23]
	v_fma_f64 v[2:3], v[4:5], v[6:7], v[2:3]
	v_add_f64 v[24:25], v[2:3], v[108:109]
	ds_read_b128 v[2:5], v91 offset:1072
	s_waitcnt lgkmcnt(0)
	v_mul_f64 v[38:39], v[4:5], v[20:21]
	v_mul_f64 v[40:41], v[2:3], v[20:21]
	v_fma_f64 v[38:39], v[2:3], v[18:19], -v[38:39]
	v_fma_f64 v[40:41], v[4:5], v[18:19], v[40:41]
	v_add_f64 v[70:71], v[62:63], v[38:39]
	v_mul_f64 v[38:39], v[4:5], v[16:17]
	v_add_f64 v[72:73], v[40:41], v[64:65]
	v_mul_f64 v[40:41], v[2:3], v[16:17]
	v_fma_f64 v[38:39], v[2:3], v[14:15], -v[38:39]
	v_fma_f64 v[40:41], v[4:5], v[14:15], v[40:41]
	v_add_f64 v[62:63], v[66:67], v[38:39]
	v_mul_f64 v[38:39], v[4:5], v[12:13]
	v_add_f64 v[64:65], v[40:41], v[68:69]
	;; [unrolled: 6-line block ×3, first 2 shown]
	v_fma_f64 v[38:39], v[2:3], v[6:7], -v[38:39]
	v_mul_f64 v[2:3], v[2:3], v[8:9]
	v_add_f64 v[42:43], v[114:115], v[38:39]
	v_fma_f64 v[2:3], v[4:5], v[6:7], v[2:3]
	v_add_f64 v[46:47], v[2:3], v[116:117]
	ds_read_b128 v[2:5], v91 offset:2096
	s_waitcnt lgkmcnt(0)
	v_mul_f64 v[38:39], v[4:5], v[20:21]
	v_mul_f64 v[40:41], v[2:3], v[20:21]
	v_fma_f64 v[38:39], v[2:3], v[18:19], -v[38:39]
	v_fma_f64 v[40:41], v[4:5], v[18:19], v[40:41]
	v_add_f64 v[66:67], v[118:119], v[38:39]
	v_mul_f64 v[38:39], v[4:5], v[16:17]
	v_add_f64 v[68:69], v[40:41], v[120:121]
	v_mul_f64 v[40:41], v[2:3], v[16:17]
	v_fma_f64 v[38:39], v[2:3], v[14:15], -v[38:39]
	v_fma_f64 v[40:41], v[4:5], v[14:15], v[40:41]
	v_add_f64 v[56:57], v[122:123], v[38:39]
	v_mul_f64 v[38:39], v[4:5], v[12:13]
	v_add_f64 v[60:61], v[40:41], v[124:125]
	;; [unrolled: 6-line block ×3, first 2 shown]
	v_fma_f64 v[38:39], v[2:3], v[6:7], -v[38:39]
	v_mul_f64 v[2:3], v[2:3], v[8:9]
	v_add_f64 v[38:39], v[98:99], v[38:39]
	v_fma_f64 v[2:3], v[4:5], v[6:7], v[2:3]
	v_add_f64 v[40:41], v[2:3], v[100:101]
	ds_read_b128 v[2:5], v91 offset:3120
	s_waitcnt lgkmcnt(0)
	s_barrier
	buffer_gl0_inv
	v_mul_f64 v[94:95], v[4:5], v[20:21]
	v_mul_f64 v[20:21], v[2:3], v[20:21]
	v_fma_f64 v[94:95], v[2:3], v[18:19], -v[94:95]
	v_fma_f64 v[20:21], v[4:5], v[18:19], v[20:21]
	v_add_f64 v[18:19], v[86:87], v[94:95]
	v_mul_f64 v[86:87], v[4:5], v[16:17]
	v_mul_f64 v[16:17], v[2:3], v[16:17]
	v_add_f64 v[20:21], v[20:21], v[88:89]
	v_fma_f64 v[86:87], v[2:3], v[14:15], -v[86:87]
	v_fma_f64 v[16:17], v[4:5], v[14:15], v[16:17]
	v_add_f64 v[14:15], v[82:83], v[86:87]
	v_mul_f64 v[82:83], v[4:5], v[12:13]
	v_mul_f64 v[12:13], v[2:3], v[12:13]
	v_add_f64 v[16:17], v[16:17], v[84:85]
	v_fma_f64 v[82:83], v[2:3], v[10:11], -v[82:83]
	v_fma_f64 v[12:13], v[4:5], v[10:11], v[12:13]
	v_add_f64 v[10:11], v[78:79], v[82:83]
	v_mul_f64 v[78:79], v[4:5], v[8:9]
	v_add_f64 v[12:13], v[12:13], v[80:81]
	v_fma_f64 v[78:79], v[2:3], v[6:7], -v[78:79]
	v_mul_f64 v[2:3], v[2:3], v[8:9]
	v_add_f64 v[74:75], v[74:75], v[78:79]
	v_fma_f64 v[2:3], v[4:5], v[6:7], v[2:3]
	v_add_f64 v[76:77], v[2:3], v[76:77]
	s_cbranch_vccnz .LBB537_2
	s_branch .LBB537_4
.LBB537_3:
	v_mov_b32_e32 v48, 0
	v_mov_b32_e32 v52, 0
	;; [unrolled: 1-line block ×64, first 2 shown]
.LBB537_4:
	s_load_dwordx2 s[4:5], s[4:5], 0x90
	v_cmp_neq_f64_e64 s6, s[38:39], 0
	v_cmp_neq_f64_e64 s7, s[40:41], 0
	v_add_co_u32 v6, s2, s2, v1
	v_add_co_u32 v0, s0, s0, v0
	v_add_co_ci_u32_e64 v7, null, s3, 0, s2
	v_add_co_ci_u32_e64 v1, null, s1, 0, s0
	s_waitcnt lgkmcnt(0)
	s_mul_i32 s5, s5, s8
	s_mul_hi_u32 s9, s4, s8
	s_mul_i32 s4, s4, s8
	s_add_i32 s5, s9, s5
	s_lshl_b64 s[4:5], s[4:5], 4
	s_add_u32 s2, s48, s4
	s_addc_u32 s3, s49, s5
	s_or_b32 s4, s6, s7
	s_and_b32 vcc_lo, exec_lo, s4
	s_cbranch_vccnz .LBB537_6
; %bb.5:
	v_mul_f64 v[4:5], s[16:17], v[52:53]
	v_mul_f64 v[8:9], s[14:15], v[52:53]
	v_mul_lo_u32 v78, v7, s50
	v_mul_lo_u32 v79, v6, s51
	v_mad_u64_u32 v[2:3], null, v6, s50, 0
	v_mul_f64 v[26:27], s[16:17], v[36:37]
	v_mul_f64 v[28:29], s[14:15], v[36:37]
	;; [unrolled: 1-line block ×6, first 2 shown]
	v_add3_u32 v3, v3, v79, v78
	v_mul_f64 v[78:79], s[16:17], v[32:33]
	v_mul_f64 v[88:89], s[14:15], v[72:73]
	;; [unrolled: 1-line block ×4, first 2 shown]
	v_lshlrev_b64 v[2:3], 4, v[2:3]
	v_mul_f64 v[94:95], s[16:17], v[58:59]
	v_mul_f64 v[96:97], s[14:15], v[58:59]
	;; [unrolled: 1-line block ×4, first 2 shown]
	s_lshl_b64 s[0:1], s[50:51], 8
	v_add_co_u32 v104, vcc_lo, s2, v2
	v_add_co_ci_u32_e64 v105, null, s3, v3, vcc_lo
	v_fma_f64 v[2:3], s[14:15], v[48:49], -v[4:5]
	v_fma_f64 v[4:5], s[16:17], v[48:49], v[8:9]
	v_lshlrev_b64 v[8:9], 4, v[0:1]
	v_fma_f64 v[26:27], s[14:15], v[34:35], -v[26:27]
	v_fma_f64 v[28:29], s[16:17], v[34:35], v[28:29]
	v_fma_f64 v[80:81], s[16:17], v[30:31], v[80:81]
	v_fma_f64 v[82:83], s[14:15], v[22:23], -v[82:83]
	v_fma_f64 v[84:85], s[16:17], v[22:23], v[84:85]
	v_add_co_u32 v102, vcc_lo, v104, v8
	v_fma_f64 v[78:79], s[14:15], v[30:31], -v[78:79]
	v_add_co_ci_u32_e64 v103, null, v105, v9, vcc_lo
	v_fma_f64 v[86:87], s[14:15], v[70:71], -v[86:87]
	v_fma_f64 v[88:89], s[16:17], v[70:71], v[88:89]
	v_fma_f64 v[90:91], s[14:15], v[62:63], -v[90:91]
	v_fma_f64 v[92:93], s[16:17], v[62:63], v[92:93]
	;; [unrolled: 2-line block ×3, first 2 shown]
	v_add_co_u32 v106, vcc_lo, v104, s0
	v_add_co_ci_u32_e64 v107, null, s1, v105, vcc_lo
	global_store_dwordx4 v[102:103], v[2:5], off
	v_fma_f64 v[2:3], s[14:15], v[42:43], -v[98:99]
	v_fma_f64 v[4:5], s[16:17], v[42:43], v[100:101]
	v_add_co_u32 v104, vcc_lo, v106, v8
	v_add_co_ci_u32_e64 v105, null, v107, v9, vcc_lo
	global_store_dwordx4 v[102:103], v[26:29], off offset:256
	global_store_dwordx4 v[102:103], v[78:81], off offset:512
	;; [unrolled: 1-line block ×3, first 2 shown]
	global_store_dwordx4 v[104:105], v[86:89], off
	global_store_dwordx4 v[104:105], v[90:93], off offset:256
	global_store_dwordx4 v[104:105], v[94:97], off offset:512
	v_mul_f64 v[26:27], s[16:17], v[68:69]
	v_mul_f64 v[28:29], s[14:15], v[68:69]
	v_mul_f64 v[78:79], s[16:17], v[60:61]
	v_mul_f64 v[80:81], s[14:15], v[60:61]
	v_mul_f64 v[82:83], s[16:17], v[50:51]
	v_mul_f64 v[84:85], s[14:15], v[50:51]
	v_mul_f64 v[86:87], s[16:17], v[40:41]
	v_mul_f64 v[88:89], s[14:15], v[40:41]
	v_mul_f64 v[90:91], s[16:17], v[20:21]
	v_mul_f64 v[92:93], s[14:15], v[20:21]
	v_mul_f64 v[94:95], s[16:17], v[16:17]
	v_mul_f64 v[96:97], s[14:15], v[16:17]
	global_store_dwordx4 v[104:105], v[2:5], off offset:768
	v_mul_f64 v[2:3], s[16:17], v[76:77]
	v_mul_f64 v[4:5], s[14:15], v[76:77]
	;; [unrolled: 1-line block ×4, first 2 shown]
	v_add_co_u32 v104, vcc_lo, v106, s0
	v_add_co_ci_u32_e64 v105, null, s1, v107, vcc_lo
	v_fma_f64 v[26:27], s[14:15], v[66:67], -v[26:27]
	v_fma_f64 v[28:29], s[16:17], v[66:67], v[28:29]
	v_fma_f64 v[78:79], s[14:15], v[56:57], -v[78:79]
	v_fma_f64 v[80:81], s[16:17], v[56:57], v[80:81]
	;; [unrolled: 2-line block ×6, first 2 shown]
	v_add_co_u32 v106, vcc_lo, v104, s0
	v_fma_f64 v[102:103], s[14:15], v[74:75], -v[2:3]
	v_fma_f64 v[2:3], s[16:17], v[74:75], v[4:5]
	v_fma_f64 v[98:99], s[14:15], v[10:11], -v[98:99]
	v_fma_f64 v[100:101], s[16:17], v[10:11], v[100:101]
	v_add_co_ci_u32_e64 v107, null, s1, v105, vcc_lo
	v_add_co_u32 v4, vcc_lo, v104, v8
	v_add_co_ci_u32_e64 v5, null, v105, v9, vcc_lo
	v_add_co_u32 v8, vcc_lo, v106, v8
	v_add_co_ci_u32_e64 v9, null, v107, v9, vcc_lo
	global_store_dwordx4 v[4:5], v[26:29], off
	global_store_dwordx4 v[4:5], v[78:81], off offset:256
	global_store_dwordx4 v[4:5], v[82:85], off offset:512
	;; [unrolled: 1-line block ×3, first 2 shown]
	global_store_dwordx4 v[8:9], v[90:93], off
	v_add_co_u32 v4, vcc_lo, 0x300, v8
	v_add_co_ci_u32_e64 v5, null, 0, v9, vcc_lo
	global_store_dwordx4 v[8:9], v[94:97], off offset:256
	global_store_dwordx4 v[8:9], v[98:101], off offset:512
	global_store_dwordx2 v[8:9], v[102:103], off offset:768
	s_cbranch_execz .LBB537_7
	s_branch .LBB537_8
.LBB537_6:
                                        ; implicit-def: $vgpr2_vgpr3
                                        ; implicit-def: $vgpr4_vgpr5
.LBB537_7:
	v_mul_lo_u32 v4, v7, s44
	v_mul_lo_u32 v5, v6, s45
	v_mad_u64_u32 v[2:3], null, v6, s44, 0
	s_mul_i32 s1, s47, s8
	s_mul_hi_u32 s4, s46, s8
	s_mul_i32 s0, s46, s8
	s_add_i32 s1, s4, s1
	v_mul_f64 v[26:27], s[16:17], v[52:53]
	s_lshl_b64 s[0:1], s[0:1], 4
	v_add3_u32 v3, v3, v5, v4
	s_add_u32 s0, s42, s0
	v_lshlrev_b64 v[4:5], 4, v[0:1]
	s_addc_u32 s1, s43, s1
	v_mul_f64 v[28:29], s[14:15], v[52:53]
	v_lshlrev_b64 v[2:3], 4, v[2:3]
	v_add_co_u32 v78, vcc_lo, s0, v2
	v_add_co_ci_u32_e64 v79, null, s1, v3, vcc_lo
	s_lshl_b64 s[0:1], s[44:45], 8
	v_add_co_u32 v8, vcc_lo, v78, v4
	v_add_co_ci_u32_e64 v9, null, v79, v5, vcc_lo
	v_fma_f64 v[26:27], s[14:15], v[48:49], -v[26:27]
	global_load_dwordx4 v[0:3], v[8:9], off
	v_fma_f64 v[28:29], s[16:17], v[48:49], v[28:29]
	s_waitcnt vmcnt(0)
	v_mul_f64 v[52:53], s[40:41], v[2:3]
	v_mul_f64 v[2:3], s[38:39], v[2:3]
	v_fma_f64 v[48:49], s[38:39], v[0:1], -v[52:53]
	v_fma_f64 v[2:3], s[40:41], v[0:1], v[2:3]
	v_mul_lo_u32 v0, v7, s50
	v_mul_lo_u32 v1, v6, s51
	v_mad_u64_u32 v[6:7], null, v6, s50, 0
	v_add3_u32 v7, v7, v1, v0
	v_lshlrev_b64 v[6:7], 4, v[6:7]
	v_add_f64 v[0:1], v[26:27], v[48:49]
	v_add_f64 v[2:3], v[28:29], v[2:3]
	v_add_co_u32 v48, vcc_lo, s2, v6
	v_add_co_ci_u32_e64 v49, null, s3, v7, vcc_lo
	v_mul_f64 v[26:27], s[16:17], v[36:37]
	v_add_co_u32 v6, vcc_lo, v48, v4
	v_add_co_ci_u32_e64 v7, null, v49, v5, vcc_lo
	v_mul_f64 v[28:29], s[14:15], v[36:37]
	s_lshl_b64 s[2:3], s[50:51], 8
	global_store_dwordx4 v[6:7], v[0:3], off
	global_load_dwordx4 v[0:3], v[8:9], off offset:256
	v_fma_f64 v[26:27], s[14:15], v[34:35], -v[26:27]
	v_fma_f64 v[28:29], s[16:17], v[34:35], v[28:29]
	s_waitcnt vmcnt(0)
	v_mul_f64 v[36:37], s[40:41], v[2:3]
	v_mul_f64 v[2:3], s[38:39], v[2:3]
	v_fma_f64 v[34:35], s[38:39], v[0:1], -v[36:37]
	v_fma_f64 v[2:3], s[40:41], v[0:1], v[2:3]
	v_add_f64 v[0:1], v[26:27], v[34:35]
	v_add_f64 v[2:3], v[28:29], v[2:3]
	v_mul_f64 v[26:27], s[16:17], v[32:33]
	v_mul_f64 v[28:29], s[14:15], v[32:33]
	global_store_dwordx4 v[6:7], v[0:3], off offset:256
	global_load_dwordx4 v[0:3], v[8:9], off offset:512
	v_fma_f64 v[26:27], s[14:15], v[30:31], -v[26:27]
	v_fma_f64 v[28:29], s[16:17], v[30:31], v[28:29]
	s_waitcnt vmcnt(0)
	v_mul_f64 v[32:33], s[40:41], v[2:3]
	v_mul_f64 v[2:3], s[38:39], v[2:3]
	v_fma_f64 v[30:31], s[38:39], v[0:1], -v[32:33]
	v_fma_f64 v[2:3], s[40:41], v[0:1], v[2:3]
	v_add_f64 v[0:1], v[26:27], v[30:31]
	v_add_f64 v[2:3], v[28:29], v[2:3]
	v_add_co_u32 v28, vcc_lo, v78, s0
	v_add_co_ci_u32_e64 v29, null, s1, v79, vcc_lo
	global_store_dwordx4 v[6:7], v[0:3], off offset:512
	global_load_dwordx4 v[0:3], v[8:9], off offset:768
	v_mul_f64 v[8:9], s[16:17], v[24:25]
	v_mul_f64 v[24:25], s[14:15], v[24:25]
	v_fma_f64 v[8:9], s[14:15], v[22:23], -v[8:9]
	v_fma_f64 v[22:23], s[16:17], v[22:23], v[24:25]
	s_waitcnt vmcnt(0)
	v_mul_f64 v[26:27], s[40:41], v[2:3]
	v_mul_f64 v[2:3], s[38:39], v[2:3]
	v_fma_f64 v[24:25], s[38:39], v[0:1], -v[26:27]
	v_fma_f64 v[2:3], s[40:41], v[0:1], v[2:3]
	v_add_f64 v[0:1], v[8:9], v[24:25]
	v_add_f64 v[2:3], v[22:23], v[2:3]
	v_add_co_u32 v8, vcc_lo, v28, v4
	v_add_co_ci_u32_e64 v9, null, v29, v5, vcc_lo
	v_mul_f64 v[22:23], s[14:15], v[72:73]
	v_add_co_u32 v30, vcc_lo, v48, s2
	v_add_co_ci_u32_e64 v31, null, s3, v49, vcc_lo
	global_store_dwordx4 v[6:7], v[0:3], off offset:768
	global_load_dwordx4 v[0:3], v[8:9], off
	v_mul_f64 v[6:7], s[16:17], v[72:73]
	v_fma_f64 v[22:23], s[16:17], v[70:71], v[22:23]
	v_fma_f64 v[6:7], s[14:15], v[70:71], -v[6:7]
	s_waitcnt vmcnt(0)
	v_mul_f64 v[24:25], s[40:41], v[2:3]
	v_mul_f64 v[2:3], s[38:39], v[2:3]
	v_fma_f64 v[24:25], s[38:39], v[0:1], -v[24:25]
	v_fma_f64 v[2:3], s[40:41], v[0:1], v[2:3]
	v_add_f64 v[0:1], v[6:7], v[24:25]
	v_add_f64 v[2:3], v[22:23], v[2:3]
	v_add_co_u32 v6, vcc_lo, v30, v4
	v_add_co_ci_u32_e64 v7, null, v31, v5, vcc_lo
	v_mul_f64 v[22:23], s[16:17], v[64:65]
	v_mul_f64 v[24:25], s[14:15], v[64:65]
	v_add_co_u32 v28, vcc_lo, v28, s0
	v_add_co_ci_u32_e64 v29, null, s1, v29, vcc_lo
	global_store_dwordx4 v[6:7], v[0:3], off
	global_load_dwordx4 v[0:3], v[8:9], off offset:256
	v_fma_f64 v[22:23], s[14:15], v[62:63], -v[22:23]
	v_fma_f64 v[24:25], s[16:17], v[62:63], v[24:25]
	s_waitcnt vmcnt(0)
	v_mul_f64 v[26:27], s[40:41], v[2:3]
	v_mul_f64 v[2:3], s[38:39], v[2:3]
	v_fma_f64 v[26:27], s[38:39], v[0:1], -v[26:27]
	v_fma_f64 v[2:3], s[40:41], v[0:1], v[2:3]
	v_add_f64 v[0:1], v[22:23], v[26:27]
	v_add_f64 v[2:3], v[24:25], v[2:3]
	v_mul_f64 v[22:23], s[16:17], v[58:59]
	v_mul_f64 v[24:25], s[14:15], v[58:59]
	global_store_dwordx4 v[6:7], v[0:3], off offset:256
	global_load_dwordx4 v[0:3], v[8:9], off offset:512
	v_fma_f64 v[22:23], s[14:15], v[54:55], -v[22:23]
	v_fma_f64 v[24:25], s[16:17], v[54:55], v[24:25]
	s_waitcnt vmcnt(0)
	v_mul_f64 v[26:27], s[40:41], v[2:3]
	v_mul_f64 v[2:3], s[38:39], v[2:3]
	v_fma_f64 v[26:27], s[38:39], v[0:1], -v[26:27]
	v_fma_f64 v[2:3], s[40:41], v[0:1], v[2:3]
	v_add_f64 v[0:1], v[22:23], v[26:27]
	v_add_f64 v[2:3], v[24:25], v[2:3]
	v_mul_f64 v[22:23], s[14:15], v[46:47]
	global_store_dwordx4 v[6:7], v[0:3], off offset:512
	global_load_dwordx4 v[0:3], v[8:9], off offset:768
	v_mul_f64 v[8:9], s[16:17], v[46:47]
	v_fma_f64 v[22:23], s[16:17], v[42:43], v[22:23]
	v_fma_f64 v[8:9], s[14:15], v[42:43], -v[8:9]
	s_waitcnt vmcnt(0)
	v_mul_f64 v[24:25], s[40:41], v[2:3]
	v_mul_f64 v[2:3], s[38:39], v[2:3]
	v_fma_f64 v[24:25], s[38:39], v[0:1], -v[24:25]
	v_fma_f64 v[2:3], s[40:41], v[0:1], v[2:3]
	v_add_f64 v[0:1], v[8:9], v[24:25]
	v_add_f64 v[2:3], v[22:23], v[2:3]
	v_add_co_u32 v8, vcc_lo, v28, v4
	v_add_co_ci_u32_e64 v9, null, v29, v5, vcc_lo
	v_mul_f64 v[22:23], s[14:15], v[68:69]
	v_add_co_u32 v30, vcc_lo, v30, s2
	v_add_co_ci_u32_e64 v31, null, s3, v31, vcc_lo
	global_store_dwordx4 v[6:7], v[0:3], off offset:768
	global_load_dwordx4 v[0:3], v[8:9], off
	v_mul_f64 v[6:7], s[16:17], v[68:69]
	v_fma_f64 v[22:23], s[16:17], v[66:67], v[22:23]
	v_fma_f64 v[6:7], s[14:15], v[66:67], -v[6:7]
	s_waitcnt vmcnt(0)
	v_mul_f64 v[24:25], s[40:41], v[2:3]
	v_mul_f64 v[2:3], s[38:39], v[2:3]
	v_fma_f64 v[24:25], s[38:39], v[0:1], -v[24:25]
	v_fma_f64 v[2:3], s[40:41], v[0:1], v[2:3]
	v_add_f64 v[0:1], v[6:7], v[24:25]
	v_add_f64 v[2:3], v[22:23], v[2:3]
	v_add_co_u32 v6, vcc_lo, v30, v4
	v_add_co_ci_u32_e64 v7, null, v31, v5, vcc_lo
	v_mul_f64 v[22:23], s[16:17], v[60:61]
	v_mul_f64 v[24:25], s[14:15], v[60:61]
	global_store_dwordx4 v[6:7], v[0:3], off
	global_load_dwordx4 v[0:3], v[8:9], off offset:256
	v_fma_f64 v[22:23], s[14:15], v[56:57], -v[22:23]
	v_fma_f64 v[24:25], s[16:17], v[56:57], v[24:25]
	s_waitcnt vmcnt(0)
	v_mul_f64 v[26:27], s[40:41], v[2:3]
	v_mul_f64 v[2:3], s[38:39], v[2:3]
	v_fma_f64 v[26:27], s[38:39], v[0:1], -v[26:27]
	v_fma_f64 v[2:3], s[40:41], v[0:1], v[2:3]
	v_add_f64 v[0:1], v[22:23], v[26:27]
	v_add_f64 v[2:3], v[24:25], v[2:3]
	v_mul_f64 v[22:23], s[16:17], v[50:51]
	v_mul_f64 v[24:25], s[14:15], v[50:51]
	global_store_dwordx4 v[6:7], v[0:3], off offset:256
	global_load_dwordx4 v[0:3], v[8:9], off offset:512
	v_fma_f64 v[22:23], s[14:15], v[44:45], -v[22:23]
	v_fma_f64 v[24:25], s[16:17], v[44:45], v[24:25]
	s_waitcnt vmcnt(0)
	v_mul_f64 v[26:27], s[40:41], v[2:3]
	v_mul_f64 v[2:3], s[38:39], v[2:3]
	v_fma_f64 v[26:27], s[38:39], v[0:1], -v[26:27]
	v_fma_f64 v[2:3], s[40:41], v[0:1], v[2:3]
	v_add_f64 v[0:1], v[22:23], v[26:27]
	v_add_f64 v[2:3], v[24:25], v[2:3]
	v_mul_f64 v[22:23], s[14:15], v[40:41]
	global_store_dwordx4 v[6:7], v[0:3], off offset:512
	global_load_dwordx4 v[0:3], v[8:9], off offset:768
	v_mul_f64 v[8:9], s[16:17], v[40:41]
	v_fma_f64 v[22:23], s[16:17], v[38:39], v[22:23]
	v_fma_f64 v[8:9], s[14:15], v[38:39], -v[8:9]
	s_waitcnt vmcnt(0)
	v_mul_f64 v[24:25], s[40:41], v[2:3]
	v_mul_f64 v[2:3], s[38:39], v[2:3]
	v_fma_f64 v[24:25], s[38:39], v[0:1], -v[24:25]
	v_fma_f64 v[2:3], s[40:41], v[0:1], v[2:3]
	v_add_f64 v[0:1], v[8:9], v[24:25]
	v_add_f64 v[2:3], v[22:23], v[2:3]
	v_add_co_u32 v8, vcc_lo, v28, s0
	v_add_co_ci_u32_e64 v9, null, s1, v29, vcc_lo
	v_add_co_u32 v8, vcc_lo, v8, v4
	v_add_co_ci_u32_e64 v9, null, v9, v5, vcc_lo
	global_store_dwordx4 v[6:7], v[0:3], off offset:768
	global_load_dwordx4 v[0:3], v[8:9], off
	v_mul_f64 v[6:7], s[16:17], v[20:21]
	v_mul_f64 v[20:21], s[14:15], v[20:21]
	v_fma_f64 v[6:7], s[14:15], v[18:19], -v[6:7]
	v_fma_f64 v[18:19], s[16:17], v[18:19], v[20:21]
	s_waitcnt vmcnt(0)
	v_mul_f64 v[22:23], s[40:41], v[2:3]
	v_mul_f64 v[2:3], s[38:39], v[2:3]
	v_fma_f64 v[20:21], s[38:39], v[0:1], -v[22:23]
	v_fma_f64 v[2:3], s[40:41], v[0:1], v[2:3]
	v_add_f64 v[0:1], v[6:7], v[20:21]
	v_add_f64 v[2:3], v[18:19], v[2:3]
	v_add_co_u32 v6, vcc_lo, v30, s2
	v_add_co_ci_u32_e64 v7, null, s3, v31, vcc_lo
	v_add_co_u32 v6, vcc_lo, v6, v4
	v_add_co_ci_u32_e64 v7, null, v7, v5, vcc_lo
	v_mul_f64 v[4:5], s[16:17], v[16:17]
	v_mul_f64 v[16:17], s[14:15], v[16:17]
	global_store_dwordx4 v[6:7], v[0:3], off
	global_load_dwordx4 v[0:3], v[8:9], off offset:256
	v_fma_f64 v[4:5], s[14:15], v[14:15], -v[4:5]
	v_fma_f64 v[14:15], s[16:17], v[14:15], v[16:17]
	s_waitcnt vmcnt(0)
	v_mul_f64 v[18:19], s[40:41], v[2:3]
	v_mul_f64 v[2:3], s[38:39], v[2:3]
	v_fma_f64 v[16:17], s[38:39], v[0:1], -v[18:19]
	v_fma_f64 v[2:3], s[40:41], v[0:1], v[2:3]
	v_add_f64 v[0:1], v[4:5], v[16:17]
	v_add_f64 v[2:3], v[14:15], v[2:3]
	v_mul_f64 v[4:5], s[16:17], v[12:13]
	v_mul_f64 v[12:13], s[14:15], v[12:13]
	global_store_dwordx4 v[6:7], v[0:3], off offset:256
	global_load_dwordx4 v[0:3], v[8:9], off offset:512
	v_fma_f64 v[4:5], s[14:15], v[10:11], -v[4:5]
	v_fma_f64 v[10:11], s[16:17], v[10:11], v[12:13]
	s_waitcnt vmcnt(0)
	v_mul_f64 v[14:15], s[40:41], v[2:3]
	v_mul_f64 v[2:3], s[38:39], v[2:3]
	v_fma_f64 v[12:13], s[38:39], v[0:1], -v[14:15]
	v_fma_f64 v[2:3], s[40:41], v[0:1], v[2:3]
	v_add_f64 v[0:1], v[4:5], v[12:13]
	v_add_f64 v[2:3], v[10:11], v[2:3]
	v_mul_f64 v[4:5], s[16:17], v[76:77]
	global_store_dwordx4 v[6:7], v[0:3], off offset:512
	global_load_dwordx4 v[0:3], v[8:9], off offset:768
	v_mul_f64 v[8:9], s[14:15], v[76:77]
	v_fma_f64 v[4:5], s[14:15], v[74:75], -v[4:5]
	v_fma_f64 v[8:9], s[16:17], v[74:75], v[8:9]
	s_waitcnt vmcnt(0)
	v_mul_f64 v[10:11], s[40:41], v[2:3]
	v_mul_f64 v[2:3], s[38:39], v[2:3]
	v_fma_f64 v[10:11], s[38:39], v[0:1], -v[10:11]
	v_fma_f64 v[0:1], s[40:41], v[0:1], v[2:3]
	v_add_f64 v[10:11], v[4:5], v[10:11]
	v_add_f64 v[2:3], v[8:9], v[0:1]
	v_add_co_u32 v4, vcc_lo, 0x300, v6
	v_add_co_ci_u32_e64 v5, null, 0, v7, vcc_lo
	global_store_dwordx2 v[6:7], v[10:11], off offset:768
.LBB537_8:
	global_store_dwordx2 v[4:5], v[2:3], off offset:8
	s_endpgm
	.section	.rodata,"a",@progbits
	.p2align	6, 0x0
	.amdhsa_kernel _ZN12_GLOBAL__N_127rocblas_gemm_batched_kernelI19rocblas_complex_numIdELi16ELi16ELi64ELi64ELi4ELi64ELi4ELi4ELi64ELc84ELc67EKS2_S3_S2_EEvlllT_PT11_llS6_llS4_PT12_llPT13_lli
		.amdhsa_group_segment_fixed_size 8192
		.amdhsa_private_segment_fixed_size 0
		.amdhsa_kernarg_size 156
		.amdhsa_user_sgpr_count 6
		.amdhsa_user_sgpr_private_segment_buffer 1
		.amdhsa_user_sgpr_dispatch_ptr 0
		.amdhsa_user_sgpr_queue_ptr 0
		.amdhsa_user_sgpr_kernarg_segment_ptr 1
		.amdhsa_user_sgpr_dispatch_id 0
		.amdhsa_user_sgpr_flat_scratch_init 0
		.amdhsa_user_sgpr_private_segment_size 0
		.amdhsa_wavefront_size32 1
		.amdhsa_uses_dynamic_stack 0
		.amdhsa_system_sgpr_private_segment_wavefront_offset 0
		.amdhsa_system_sgpr_workgroup_id_x 1
		.amdhsa_system_sgpr_workgroup_id_y 1
		.amdhsa_system_sgpr_workgroup_id_z 1
		.amdhsa_system_sgpr_workgroup_info 0
		.amdhsa_system_vgpr_workitem_id 1
		.amdhsa_next_free_vgpr 138
		.amdhsa_next_free_sgpr 52
		.amdhsa_reserve_vcc 1
		.amdhsa_reserve_flat_scratch 0
		.amdhsa_float_round_mode_32 0
		.amdhsa_float_round_mode_16_64 0
		.amdhsa_float_denorm_mode_32 3
		.amdhsa_float_denorm_mode_16_64 3
		.amdhsa_dx10_clamp 1
		.amdhsa_ieee_mode 1
		.amdhsa_fp16_overflow 0
		.amdhsa_workgroup_processor_mode 1
		.amdhsa_memory_ordered 1
		.amdhsa_forward_progress 1
		.amdhsa_shared_vgpr_count 0
		.amdhsa_exception_fp_ieee_invalid_op 0
		.amdhsa_exception_fp_denorm_src 0
		.amdhsa_exception_fp_ieee_div_zero 0
		.amdhsa_exception_fp_ieee_overflow 0
		.amdhsa_exception_fp_ieee_underflow 0
		.amdhsa_exception_fp_ieee_inexact 0
		.amdhsa_exception_int_div_zero 0
	.end_amdhsa_kernel
	.section	.text._ZN12_GLOBAL__N_127rocblas_gemm_batched_kernelI19rocblas_complex_numIdELi16ELi16ELi64ELi64ELi4ELi64ELi4ELi4ELi64ELc84ELc67EKS2_S3_S2_EEvlllT_PT11_llS6_llS4_PT12_llPT13_lli,"axG",@progbits,_ZN12_GLOBAL__N_127rocblas_gemm_batched_kernelI19rocblas_complex_numIdELi16ELi16ELi64ELi64ELi4ELi64ELi4ELi4ELi64ELc84ELc67EKS2_S3_S2_EEvlllT_PT11_llS6_llS4_PT12_llPT13_lli,comdat
.Lfunc_end537:
	.size	_ZN12_GLOBAL__N_127rocblas_gemm_batched_kernelI19rocblas_complex_numIdELi16ELi16ELi64ELi64ELi4ELi64ELi4ELi4ELi64ELc84ELc67EKS2_S3_S2_EEvlllT_PT11_llS6_llS4_PT12_llPT13_lli, .Lfunc_end537-_ZN12_GLOBAL__N_127rocblas_gemm_batched_kernelI19rocblas_complex_numIdELi16ELi16ELi64ELi64ELi4ELi64ELi4ELi4ELi64ELc84ELc67EKS2_S3_S2_EEvlllT_PT11_llS6_llS4_PT12_llPT13_lli
                                        ; -- End function
	.set _ZN12_GLOBAL__N_127rocblas_gemm_batched_kernelI19rocblas_complex_numIdELi16ELi16ELi64ELi64ELi4ELi64ELi4ELi4ELi64ELc84ELc67EKS2_S3_S2_EEvlllT_PT11_llS6_llS4_PT12_llPT13_lli.num_vgpr, 138
	.set _ZN12_GLOBAL__N_127rocblas_gemm_batched_kernelI19rocblas_complex_numIdELi16ELi16ELi64ELi64ELi4ELi64ELi4ELi4ELi64ELc84ELc67EKS2_S3_S2_EEvlllT_PT11_llS6_llS4_PT12_llPT13_lli.num_agpr, 0
	.set _ZN12_GLOBAL__N_127rocblas_gemm_batched_kernelI19rocblas_complex_numIdELi16ELi16ELi64ELi64ELi4ELi64ELi4ELi4ELi64ELc84ELc67EKS2_S3_S2_EEvlllT_PT11_llS6_llS4_PT12_llPT13_lli.numbered_sgpr, 52
	.set _ZN12_GLOBAL__N_127rocblas_gemm_batched_kernelI19rocblas_complex_numIdELi16ELi16ELi64ELi64ELi4ELi64ELi4ELi4ELi64ELc84ELc67EKS2_S3_S2_EEvlllT_PT11_llS6_llS4_PT12_llPT13_lli.num_named_barrier, 0
	.set _ZN12_GLOBAL__N_127rocblas_gemm_batched_kernelI19rocblas_complex_numIdELi16ELi16ELi64ELi64ELi4ELi64ELi4ELi4ELi64ELc84ELc67EKS2_S3_S2_EEvlllT_PT11_llS6_llS4_PT12_llPT13_lli.private_seg_size, 0
	.set _ZN12_GLOBAL__N_127rocblas_gemm_batched_kernelI19rocblas_complex_numIdELi16ELi16ELi64ELi64ELi4ELi64ELi4ELi4ELi64ELc84ELc67EKS2_S3_S2_EEvlllT_PT11_llS6_llS4_PT12_llPT13_lli.uses_vcc, 1
	.set _ZN12_GLOBAL__N_127rocblas_gemm_batched_kernelI19rocblas_complex_numIdELi16ELi16ELi64ELi64ELi4ELi64ELi4ELi4ELi64ELc84ELc67EKS2_S3_S2_EEvlllT_PT11_llS6_llS4_PT12_llPT13_lli.uses_flat_scratch, 0
	.set _ZN12_GLOBAL__N_127rocblas_gemm_batched_kernelI19rocblas_complex_numIdELi16ELi16ELi64ELi64ELi4ELi64ELi4ELi4ELi64ELc84ELc67EKS2_S3_S2_EEvlllT_PT11_llS6_llS4_PT12_llPT13_lli.has_dyn_sized_stack, 0
	.set _ZN12_GLOBAL__N_127rocblas_gemm_batched_kernelI19rocblas_complex_numIdELi16ELi16ELi64ELi64ELi4ELi64ELi4ELi4ELi64ELc84ELc67EKS2_S3_S2_EEvlllT_PT11_llS6_llS4_PT12_llPT13_lli.has_recursion, 0
	.set _ZN12_GLOBAL__N_127rocblas_gemm_batched_kernelI19rocblas_complex_numIdELi16ELi16ELi64ELi64ELi4ELi64ELi4ELi4ELi64ELc84ELc67EKS2_S3_S2_EEvlllT_PT11_llS6_llS4_PT12_llPT13_lli.has_indirect_call, 0
	.section	.AMDGPU.csdata,"",@progbits
; Kernel info:
; codeLenInByte = 7408
; TotalNumSgprs: 54
; NumVgprs: 138
; ScratchSize: 0
; MemoryBound: 0
; FloatMode: 240
; IeeeMode: 1
; LDSByteSize: 8192 bytes/workgroup (compile time only)
; SGPRBlocks: 0
; VGPRBlocks: 17
; NumSGPRsForWavesPerEU: 54
; NumVGPRsForWavesPerEU: 138
; Occupancy: 7
; WaveLimiterHint : 1
; COMPUTE_PGM_RSRC2:SCRATCH_EN: 0
; COMPUTE_PGM_RSRC2:USER_SGPR: 6
; COMPUTE_PGM_RSRC2:TRAP_HANDLER: 0
; COMPUTE_PGM_RSRC2:TGID_X_EN: 1
; COMPUTE_PGM_RSRC2:TGID_Y_EN: 1
; COMPUTE_PGM_RSRC2:TGID_Z_EN: 1
; COMPUTE_PGM_RSRC2:TIDIG_COMP_CNT: 1
	.section	.text._ZN12_GLOBAL__N_127rocblas_gemm_batched_kernelI19rocblas_complex_numIdELi16ELi16ELi32ELi32ELi8ELi32ELi8ELi8ELi32ELc78ELc78EKS2_S3_S2_EEvlllT_PT11_llS6_llS4_PT12_llPT13_lli,"axG",@progbits,_ZN12_GLOBAL__N_127rocblas_gemm_batched_kernelI19rocblas_complex_numIdELi16ELi16ELi32ELi32ELi8ELi32ELi8ELi8ELi32ELc78ELc78EKS2_S3_S2_EEvlllT_PT11_llS6_llS4_PT12_llPT13_lli,comdat
	.globl	_ZN12_GLOBAL__N_127rocblas_gemm_batched_kernelI19rocblas_complex_numIdELi16ELi16ELi32ELi32ELi8ELi32ELi8ELi8ELi32ELc78ELc78EKS2_S3_S2_EEvlllT_PT11_llS6_llS4_PT12_llPT13_lli ; -- Begin function _ZN12_GLOBAL__N_127rocblas_gemm_batched_kernelI19rocblas_complex_numIdELi16ELi16ELi32ELi32ELi8ELi32ELi8ELi8ELi32ELc78ELc78EKS2_S3_S2_EEvlllT_PT11_llS6_llS4_PT12_llPT13_lli
	.p2align	8
	.type	_ZN12_GLOBAL__N_127rocblas_gemm_batched_kernelI19rocblas_complex_numIdELi16ELi16ELi32ELi32ELi8ELi32ELi8ELi8ELi32ELc78ELc78EKS2_S3_S2_EEvlllT_PT11_llS6_llS4_PT12_llPT13_lli,@function
_ZN12_GLOBAL__N_127rocblas_gemm_batched_kernelI19rocblas_complex_numIdELi16ELi16ELi32ELi32ELi8ELi32ELi8ELi8ELi32ELc78ELc78EKS2_S3_S2_EEvlllT_PT11_llS6_llS4_PT12_llPT13_lli: ; @_ZN12_GLOBAL__N_127rocblas_gemm_batched_kernelI19rocblas_complex_numIdELi16ELi16ELi32ELi32ELi8ELi32ELi8ELi8ELi32ELc78ELc78EKS2_S3_S2_EEvlllT_PT11_llS6_llS4_PT12_llPT13_lli
; %bb.0:
	s_clause 0x1
	s_load_dwordx16 s[12:27], s[4:5], 0x10
	s_load_dwordx16 s[36:51], s[4:5], 0x50
	s_mov_b32 s2, s7
	s_ashr_i32 s7, s6, 31
	s_ashr_i32 s3, s2, 31
	s_lshl_b64 s[0:1], s[6:7], 5
	s_lshl_b64 s[2:3], s[2:3], 5
	s_waitcnt lgkmcnt(0)
	v_cmp_lt_i64_e64 s9, s[12:13], 1
	s_and_b32 vcc_lo, exec_lo, s9
	s_cbranch_vccnz .LBB538_3
; %bb.1:
	v_lshl_add_u32 v2, v1, 4, v0
	v_and_b32_e32 v3, 7, v0
	s_mul_i32 s6, s23, s8
	s_mul_hi_u32 s7, s22, s8
	v_mov_b32_e32 v12, 0
	v_lshrrev_b32_e32 v4, 5, v2
	v_lshrrev_b32_e32 v5, 3, v2
	v_lshlrev_b32_e32 v7, 4, v3
	v_and_b32_e32 v6, 31, v2
	s_add_i32 s7, s7, s6
	v_mad_u64_u32 v[2:3], null, s20, v4, s[0:1]
	v_lshl_or_b32 v9, v5, 7, v7
	v_add_co_u32 v5, s6, v5, s2
	v_lshlrev_b32_e32 v8, 4, v6
	v_add_co_ci_u32_e64 v10, null, 0, s3, s6
	v_add_nc_u32_e32 v24, 0x1000, v9
	s_mul_i32 s6, s22, s8
	v_lshl_or_b32 v23, v4, 9, v8
	v_mad_u64_u32 v[3:4], null, s21, v4, v[3:4]
	v_mul_lo_u32 v8, s27, v5
	v_mul_lo_u32 v9, s26, v10
	v_mad_u64_u32 v[4:5], null, s26, v5, 0
	v_add_co_u32 v2, vcc_lo, v2, v6
	s_lshl_b64 s[6:7], s[6:7], 4
	v_add_co_ci_u32_e64 v3, null, 0, v3, vcc_lo
	s_add_u32 s9, s18, s6
	v_add3_u32 v5, v5, v9, v8
	s_addc_u32 s10, s19, s7
	s_mul_i32 s6, s37, s8
	s_mul_hi_u32 s7, s36, s8
	v_lshlrev_b64 v[2:3], 4, v[2:3]
	v_lshlrev_b64 v[4:5], 4, v[4:5]
	s_add_i32 s7, s7, s6
	s_mul_i32 s6, s36, s8
	v_mov_b32_e32 v8, 0
	s_lshl_b64 s[6:7], s[6:7], 4
	v_mov_b32_e32 v10, 0
	v_add_co_u32 v4, vcc_lo, v4, s6
	v_add_co_ci_u32_e64 v5, null, s7, v5, vcc_lo
	v_add_co_u32 v18, vcc_lo, s9, v2
	v_add_co_ci_u32_e64 v19, null, s10, v3, vcc_lo
	;; [unrolled: 2-line block ×3, first 2 shown]
	v_mov_b32_e32 v4, 0
	v_add_co_u32 v20, vcc_lo, s24, v20
	v_mov_b32_e32 v2, 0
	v_mov_b32_e32 v6, 0
	;; [unrolled: 1-line block ×4, first 2 shown]
	v_lshlrev_b32_e32 v22, 4, v0
	v_lshl_add_u32 v25, v1, 7, 0x1000
	v_mov_b32_e32 v5, 0
	v_mov_b32_e32 v3, 0
	;; [unrolled: 1-line block ×8, first 2 shown]
	v_add_co_ci_u32_e64 v21, null, s25, v21, vcc_lo
	s_lshl_b64 s[6:7], s[20:21], 7
	s_mov_b64 s[10:11], 0
.LBB538_2:                              ; =>This Inner Loop Header: Depth=1
	global_load_dwordx4 v[26:29], v[18:19], off
	global_load_dwordx4 v[30:33], v[20:21], off
	s_add_u32 s10, s10, 8
	s_addc_u32 s11, s11, 0
	v_add_co_u32 v18, vcc_lo, v18, s6
	v_cmp_lt_i64_e64 s9, s[10:11], s[12:13]
	v_add_co_ci_u32_e64 v19, null, s7, v19, vcc_lo
	v_add_co_u32 v20, vcc_lo, 0x80, v20
	v_add_co_ci_u32_e64 v21, null, 0, v21, vcc_lo
	s_and_b32 vcc_lo, exec_lo, s9
	s_waitcnt vmcnt(1)
	ds_write2_b64 v23, v[26:27], v[28:29] offset1:1
	s_waitcnt vmcnt(0)
	ds_write2_b64 v24, v[30:31], v[32:33] offset1:1
	s_waitcnt lgkmcnt(0)
	s_barrier
	buffer_gl0_inv
	ds_read_b128 v[26:29], v22
	ds_read_b128 v[30:33], v22 offset:256
	ds_read_b128 v[34:37], v25
	ds_read_b128 v[38:41], v25 offset:16
	ds_read_b128 v[42:45], v25 offset:2048
	;; [unrolled: 1-line block ×28, first 2 shown]
	s_waitcnt lgkmcnt(28)
	v_mul_f64 v[150:151], v[36:37], v[28:29]
	v_mul_f64 v[154:155], v[36:37], v[32:33]
	;; [unrolled: 1-line block ×4, first 2 shown]
	v_fma_f64 v[150:151], v[34:35], v[26:27], -v[150:151]
	v_fma_f64 v[34:35], v[34:35], v[30:31], -v[154:155]
	s_waitcnt lgkmcnt(26)
	v_mul_f64 v[154:155], v[44:45], v[28:29]
	v_mul_f64 v[28:29], v[42:43], v[28:29]
	v_fma_f64 v[152:153], v[36:37], v[26:27], v[152:153]
	v_fma_f64 v[36:37], v[36:37], v[30:31], v[156:157]
	v_add_f64 v[14:15], v[14:15], v[150:151]
	v_add_f64 v[10:11], v[10:11], v[34:35]
	v_fma_f64 v[154:155], v[42:43], v[26:27], -v[154:155]
	v_fma_f64 v[156:157], v[44:45], v[26:27], v[28:29]
	v_mul_f64 v[26:27], v[44:45], v[32:33]
	v_mul_f64 v[28:29], v[42:43], v[32:33]
	v_add_f64 v[16:17], v[152:153], v[16:17]
	v_add_f64 v[12:13], v[36:37], v[12:13]
	s_waitcnt lgkmcnt(16)
	v_mul_f64 v[34:35], v[64:65], v[84:85]
	v_mul_f64 v[36:37], v[62:63], v[84:85]
	s_waitcnt lgkmcnt(15)
	v_mul_f64 v[150:151], v[62:63], v[88:89]
	s_waitcnt lgkmcnt(12)
	v_mul_f64 v[152:153], v[98:99], v[96:97]
	v_add_f64 v[6:7], v[6:7], v[154:155]
	v_add_f64 v[8:9], v[156:157], v[8:9]
	v_fma_f64 v[32:33], v[42:43], v[30:31], -v[26:27]
	v_fma_f64 v[30:31], v[44:45], v[30:31], v[28:29]
	v_mul_f64 v[26:27], v[40:41], v[52:53]
	v_mul_f64 v[28:29], v[38:39], v[52:53]
	v_mul_f64 v[42:43], v[40:41], v[56:57]
	v_mul_f64 v[44:45], v[38:39], v[56:57]
	v_fma_f64 v[34:35], v[62:63], v[82:83], -v[34:35]
	v_fma_f64 v[36:37], v[64:65], v[82:83], v[36:37]
	v_add_f64 v[2:3], v[2:3], v[32:33]
	v_add_f64 v[4:5], v[30:31], v[4:5]
	v_fma_f64 v[158:159], v[38:39], v[50:51], -v[26:27]
	v_fma_f64 v[160:161], v[40:41], v[50:51], v[28:29]
	v_mul_f64 v[26:27], v[48:49], v[52:53]
	v_mul_f64 v[28:29], v[46:47], v[52:53]
	v_fma_f64 v[38:39], v[38:39], v[54:55], -v[42:43]
	v_fma_f64 v[40:41], v[40:41], v[54:55], v[44:45]
	v_mul_f64 v[52:53], v[58:59], v[72:73]
	v_mul_f64 v[30:31], v[80:81], v[84:85]
	;; [unrolled: 1-line block ×4, first 2 shown]
	v_add_f64 v[14:15], v[14:15], v[158:159]
	v_add_f64 v[16:17], v[160:161], v[16:17]
	v_fma_f64 v[42:43], v[46:47], v[50:51], -v[26:27]
	v_fma_f64 v[44:45], v[48:49], v[50:51], v[28:29]
	v_mul_f64 v[26:27], v[48:49], v[56:57]
	v_mul_f64 v[28:29], v[46:47], v[56:57]
	;; [unrolled: 1-line block ×3, first 2 shown]
	v_fma_f64 v[52:53], v[60:61], v[70:71], v[52:53]
	v_add_f64 v[10:11], v[10:11], v[38:39]
	v_add_f64 v[12:13], v[40:41], v[12:13]
	s_waitcnt lgkmcnt(10)
	v_mul_f64 v[38:39], v[108:109], v[92:93]
	v_mul_f64 v[40:41], v[106:107], v[92:93]
	v_fma_f64 v[30:31], v[78:79], v[82:83], -v[30:31]
	v_fma_f64 v[32:33], v[80:81], v[82:83], v[32:33]
	s_waitcnt lgkmcnt(8)
	v_mul_f64 v[82:83], v[112:113], v[116:117]
	v_add_f64 v[6:7], v[6:7], v[42:43]
	v_add_f64 v[8:9], v[44:45], v[8:9]
	v_fma_f64 v[46:47], v[46:47], v[54:55], -v[26:27]
	v_fma_f64 v[48:49], v[48:49], v[54:55], v[28:29]
	v_mul_f64 v[26:27], v[60:61], v[68:69]
	v_mul_f64 v[28:29], v[58:59], v[68:69]
	v_fma_f64 v[50:51], v[58:59], v[70:71], -v[50:51]
	v_mul_f64 v[42:43], v[108:109], v[96:97]
	v_mul_f64 v[44:45], v[106:107], v[96:97]
	v_add_f64 v[12:13], v[52:53], v[12:13]
	s_waitcnt lgkmcnt(7)
	v_mul_f64 v[52:53], v[110:111], v[120:121]
	v_fma_f64 v[38:39], v[106:107], v[90:91], -v[38:39]
	v_fma_f64 v[40:41], v[108:109], v[90:91], v[40:41]
	v_add_f64 v[2:3], v[2:3], v[46:47]
	v_add_f64 v[4:5], v[48:49], v[4:5]
	v_fma_f64 v[54:55], v[58:59], v[66:67], -v[26:27]
	v_fma_f64 v[56:57], v[60:61], v[66:67], v[28:29]
	v_mul_f64 v[26:27], v[76:77], v[68:69]
	v_mul_f64 v[28:29], v[74:75], v[68:69]
	;; [unrolled: 1-line block ×3, first 2 shown]
	v_add_f64 v[10:11], v[10:11], v[50:51]
	v_mul_f64 v[46:47], v[104:105], v[116:117]
	v_mul_f64 v[48:49], v[102:103], v[116:117]
	;; [unrolled: 1-line block ×3, first 2 shown]
	v_fma_f64 v[42:43], v[106:107], v[94:95], -v[42:43]
	v_fma_f64 v[44:45], v[108:109], v[94:95], v[44:45]
	v_fma_f64 v[52:53], v[112:113], v[118:119], v[52:53]
	v_add_f64 v[14:15], v[14:15], v[54:55]
	v_add_f64 v[16:17], v[56:57], v[16:17]
	v_fma_f64 v[58:59], v[74:75], v[66:67], -v[26:27]
	v_fma_f64 v[60:61], v[76:77], v[66:67], v[28:29]
	v_mul_f64 v[66:67], v[76:77], v[72:73]
	v_mul_f64 v[72:73], v[64:65], v[88:89]
	v_fma_f64 v[68:69], v[76:77], v[70:71], v[68:69]
	v_mul_f64 v[76:77], v[100:101], v[92:93]
	v_fma_f64 v[64:65], v[64:65], v[86:87], v[150:151]
	v_mul_f64 v[92:93], v[102:103], v[120:121]
	s_waitcnt lgkmcnt(4)
	v_mul_f64 v[54:55], v[132:133], v[124:125]
	v_mul_f64 v[56:57], v[130:131], v[124:125]
	v_fma_f64 v[46:47], v[102:103], v[114:115], -v[46:47]
	v_fma_f64 v[48:49], v[104:105], v[114:115], v[48:49]
	v_fma_f64 v[50:51], v[110:111], v[118:119], -v[50:51]
	ds_read_b128 v[26:29], v22 offset:3840
	s_waitcnt lgkmcnt(0)
	s_barrier
	buffer_gl0_inv
	v_add_f64 v[14:15], v[14:15], v[34:35]
	v_add_f64 v[16:17], v[36:37], v[16:17]
	;; [unrolled: 1-line block ×4, first 2 shown]
	v_fma_f64 v[66:67], v[74:75], v[70:71], -v[66:67]
	v_mul_f64 v[70:71], v[80:81], v[88:89]
	v_mul_f64 v[74:75], v[78:79], v[88:89]
	;; [unrolled: 1-line block ×3, first 2 shown]
	v_fma_f64 v[62:63], v[62:63], v[86:87], -v[72:73]
	v_add_f64 v[4:5], v[68:69], v[4:5]
	v_mul_f64 v[72:73], v[104:105], v[120:121]
	v_mul_f64 v[96:97], v[110:111], v[116:117]
	v_fma_f64 v[68:69], v[100:101], v[90:91], v[84:85]
	v_add_f64 v[12:13], v[64:65], v[12:13]
	v_mul_f64 v[58:59], v[132:133], v[128:129]
	v_mul_f64 v[60:61], v[130:131], v[128:129]
	;; [unrolled: 1-line block ×5, first 2 shown]
	v_fma_f64 v[54:55], v[130:131], v[122:123], -v[54:55]
	v_fma_f64 v[56:57], v[132:133], v[122:123], v[56:57]
	v_add_f64 v[6:7], v[6:7], v[30:31]
	v_add_f64 v[8:9], v[32:33], v[8:9]
	;; [unrolled: 1-line block ×3, first 2 shown]
	v_fma_f64 v[70:71], v[78:79], v[86:87], -v[70:71]
	v_fma_f64 v[74:75], v[80:81], v[86:87], v[74:75]
	v_fma_f64 v[66:67], v[98:99], v[90:91], -v[76:77]
	v_fma_f64 v[76:77], v[98:99], v[94:95], -v[88:89]
	v_fma_f64 v[78:79], v[100:101], v[94:95], v[152:153]
	v_add_f64 v[10:11], v[10:11], v[62:63]
	v_mul_f64 v[30:31], v[140:141], v[124:125]
	v_mul_f64 v[32:33], v[138:139], v[124:125]
	v_fma_f64 v[80:81], v[112:113], v[114:115], v[96:97]
	v_add_f64 v[16:17], v[68:69], v[16:17]
	v_mul_f64 v[62:63], v[136:137], v[148:149]
	v_fma_f64 v[58:59], v[130:131], v[126:127], -v[58:59]
	v_fma_f64 v[60:61], v[132:133], v[126:127], v[60:61]
	v_fma_f64 v[34:35], v[138:139], v[126:127], -v[34:35]
	v_fma_f64 v[36:37], v[140:141], v[126:127], v[36:37]
	v_add_f64 v[6:7], v[6:7], v[38:39]
	v_add_f64 v[8:9], v[40:41], v[8:9]
	v_mul_f64 v[38:39], v[136:137], v[28:29]
	v_add_f64 v[2:3], v[2:3], v[70:71]
	v_add_f64 v[4:5], v[74:75], v[4:5]
	v_fma_f64 v[70:71], v[102:103], v[118:119], -v[72:73]
	v_fma_f64 v[72:73], v[104:105], v[118:119], v[92:93]
	v_fma_f64 v[74:75], v[110:111], v[114:115], -v[82:83]
	v_add_f64 v[14:15], v[14:15], v[66:67]
	v_add_f64 v[10:11], v[10:11], v[76:77]
	v_add_f64 v[12:13], v[78:79], v[12:13]
	v_mul_f64 v[40:41], v[134:135], v[28:29]
	v_mul_f64 v[66:67], v[144:145], v[28:29]
	;; [unrolled: 1-line block ×3, first 2 shown]
	v_fma_f64 v[30:31], v[138:139], v[122:123], -v[30:31]
	v_fma_f64 v[32:33], v[140:141], v[122:123], v[32:33]
	v_add_f64 v[16:17], v[48:49], v[16:17]
	v_fma_f64 v[48:49], v[136:137], v[146:147], v[64:65]
	v_add_f64 v[8:9], v[80:81], v[8:9]
	v_fma_f64 v[38:39], v[134:135], v[26:27], -v[38:39]
	v_add_f64 v[2:3], v[2:3], v[42:43]
	v_add_f64 v[4:5], v[44:45], v[4:5]
	v_mul_f64 v[42:43], v[144:145], v[148:149]
	v_mul_f64 v[44:45], v[142:143], v[148:149]
	v_add_f64 v[6:7], v[6:7], v[74:75]
	v_add_f64 v[14:15], v[14:15], v[46:47]
	;; [unrolled: 1-line block ×4, first 2 shown]
	v_fma_f64 v[46:47], v[134:135], v[146:147], -v[62:63]
	v_fma_f64 v[40:41], v[136:137], v[26:27], v[40:41]
	v_add_f64 v[16:17], v[56:57], v[16:17]
	v_add_f64 v[8:9], v[32:33], v[8:9]
	;; [unrolled: 1-line block ×4, first 2 shown]
	v_fma_f64 v[42:43], v[142:143], v[146:147], -v[42:43]
	v_fma_f64 v[44:45], v[144:145], v[146:147], v[44:45]
	v_fma_f64 v[50:51], v[142:143], v[26:27], -v[66:67]
	v_fma_f64 v[26:27], v[144:145], v[26:27], v[28:29]
	v_add_f64 v[14:15], v[14:15], v[54:55]
	v_add_f64 v[10:11], v[10:11], v[58:59]
	;; [unrolled: 1-line block ×14, first 2 shown]
	s_cbranch_vccnz .LBB538_2
	s_branch .LBB538_4
.LBB538_3:
	v_mov_b32_e32 v14, 0
	v_mov_b32_e32 v16, 0
	;; [unrolled: 1-line block ×16, first 2 shown]
.LBB538_4:
	s_load_dwordx2 s[4:5], s[4:5], 0x90
	v_cmp_neq_f64_e64 s6, s[38:39], 0
	v_cmp_neq_f64_e64 s7, s[40:41], 0
	v_add_co_u32 v22, s2, s2, v1
	v_add_co_u32 v0, s0, s0, v0
	v_add_co_ci_u32_e64 v23, null, s3, 0, s2
	v_add_co_ci_u32_e64 v1, null, s1, 0, s0
	s_waitcnt lgkmcnt(0)
	s_mul_i32 s5, s5, s8
	s_mul_hi_u32 s9, s4, s8
	s_mul_i32 s4, s4, s8
	s_add_i32 s5, s9, s5
	s_lshl_b64 s[4:5], s[4:5], 4
	s_add_u32 s2, s48, s4
	s_addc_u32 s3, s49, s5
	s_or_b32 s4, s6, s7
	s_and_b32 vcc_lo, exec_lo, s4
	s_cbranch_vccnz .LBB538_6
; %bb.5:
	v_mul_f64 v[20:21], s[16:17], v[16:17]
	v_mul_f64 v[26:27], s[14:15], v[16:17]
	;; [unrolled: 1-line block ×4, first 2 shown]
	v_mul_lo_u32 v24, v23, s50
	v_mul_lo_u32 v25, v22, s51
	v_mad_u64_u32 v[18:19], null, v22, s50, 0
	v_mul_f64 v[28:29], s[16:17], v[12:13]
	v_mul_f64 v[30:31], s[14:15], v[12:13]
	;; [unrolled: 1-line block ×4, first 2 shown]
	s_lshl_b64 s[0:1], s[50:51], 8
	v_lshlrev_b64 v[40:41], 4, v[0:1]
	v_add3_u32 v19, v19, v25, v24
	v_lshlrev_b64 v[18:19], 4, v[18:19]
	v_fma_f64 v[24:25], s[14:15], v[14:15], -v[20:21]
	v_fma_f64 v[26:27], s[16:17], v[14:15], v[26:27]
	v_fma_f64 v[36:37], s[14:15], v[2:3], -v[36:37]
	v_add_co_u32 v42, vcc_lo, s2, v18
	v_add_co_ci_u32_e64 v43, null, s3, v19, vcc_lo
	v_fma_f64 v[18:19], s[16:17], v[2:3], v[38:39]
	v_fma_f64 v[28:29], s[14:15], v[10:11], -v[28:29]
	v_fma_f64 v[30:31], s[16:17], v[10:11], v[30:31]
	v_fma_f64 v[32:33], s[14:15], v[6:7], -v[32:33]
	v_fma_f64 v[34:35], s[16:17], v[6:7], v[34:35]
	v_add_co_u32 v20, vcc_lo, v42, s0
	v_add_co_ci_u32_e64 v21, null, s1, v43, vcc_lo
	v_add_co_u32 v38, vcc_lo, v20, v40
	v_add_co_ci_u32_e64 v39, null, v21, v41, vcc_lo
	;; [unrolled: 2-line block ×4, first 2 shown]
	global_store_dwordx4 v[40:41], v[24:27], off
	global_store_dwordx4 v[40:41], v[28:31], off offset:256
	global_store_dwordx4 v[38:39], v[32:35], off
	global_store_dwordx2 v[38:39], v[36:37], off offset:256
	s_cbranch_execz .LBB538_7
	s_branch .LBB538_8
.LBB538_6:
                                        ; implicit-def: $vgpr18_vgpr19
                                        ; implicit-def: $vgpr20_vgpr21
.LBB538_7:
	v_mul_lo_u32 v20, v23, s44
	v_mul_lo_u32 v21, v22, s45
	v_mad_u64_u32 v[18:19], null, v22, s44, 0
	s_mul_i32 s1, s47, s8
	s_mul_hi_u32 s4, s46, s8
	s_mul_i32 s0, s46, s8
	s_add_i32 s1, s4, s1
	v_lshlrev_b64 v[0:1], 4, v[0:1]
	s_lshl_b64 s[0:1], s[0:1], 4
	v_add3_u32 v19, v19, v21, v20
	s_add_u32 s0, s42, s0
	s_addc_u32 s1, s43, s1
	v_mul_f64 v[26:27], s[16:17], v[16:17]
	v_mul_f64 v[16:17], s[14:15], v[16:17]
	v_lshlrev_b64 v[18:19], 4, v[18:19]
	v_mul_lo_u32 v23, v23, s50
	v_add_co_u32 v30, vcc_lo, s0, v18
	v_add_co_ci_u32_e64 v31, null, s1, v19, vcc_lo
	s_lshl_b64 s[0:1], s[44:45], 8
	v_add_co_u32 v24, vcc_lo, v30, v0
	v_add_co_ci_u32_e64 v25, null, v31, v1, vcc_lo
	global_load_dwordx4 v[18:21], v[24:25], off
	v_fma_f64 v[26:27], s[14:15], v[14:15], -v[26:27]
	v_fma_f64 v[16:17], s[16:17], v[14:15], v[16:17]
	s_waitcnt vmcnt(0)
	v_mul_f64 v[28:29], s[40:41], v[20:21]
	v_mul_f64 v[20:21], s[38:39], v[20:21]
	v_fma_f64 v[14:15], s[38:39], v[18:19], -v[28:29]
	v_fma_f64 v[18:19], s[40:41], v[18:19], v[20:21]
	v_mul_lo_u32 v28, v22, s51
	v_mad_u64_u32 v[20:21], null, v22, s50, 0
	v_add3_u32 v21, v21, v28, v23
	v_add_f64 v[14:15], v[26:27], v[14:15]
	v_add_f64 v[16:17], v[16:17], v[18:19]
	v_lshlrev_b64 v[18:19], 4, v[20:21]
	v_mul_f64 v[20:21], s[16:17], v[12:13]
	v_mul_f64 v[12:13], s[14:15], v[12:13]
	v_add_co_u32 v26, vcc_lo, s2, v18
	v_add_co_ci_u32_e64 v27, null, s3, v19, vcc_lo
	v_add_co_u32 v18, vcc_lo, v26, v0
	v_add_co_ci_u32_e64 v19, null, v27, v1, vcc_lo
	global_store_dwordx4 v[18:19], v[14:17], off
	global_load_dwordx4 v[14:17], v[24:25], off offset:256
	v_fma_f64 v[20:21], s[14:15], v[10:11], -v[20:21]
	v_fma_f64 v[12:13], s[16:17], v[10:11], v[12:13]
	s_waitcnt vmcnt(0)
	v_mul_f64 v[22:23], s[40:41], v[16:17]
	v_mul_f64 v[16:17], s[38:39], v[16:17]
	v_fma_f64 v[10:11], s[38:39], v[14:15], -v[22:23]
	v_fma_f64 v[14:15], s[40:41], v[14:15], v[16:17]
	v_mul_f64 v[16:17], s[16:17], v[8:9]
	v_mul_f64 v[8:9], s[14:15], v[8:9]
	v_add_f64 v[10:11], v[20:21], v[10:11]
	v_add_f64 v[12:13], v[12:13], v[14:15]
	v_add_co_u32 v14, vcc_lo, v30, s0
	v_add_co_ci_u32_e64 v15, null, s1, v31, vcc_lo
	v_fma_f64 v[16:17], s[14:15], v[6:7], -v[16:17]
	v_add_co_u32 v14, vcc_lo, v14, v0
	v_add_co_ci_u32_e64 v15, null, v15, v1, vcc_lo
	v_fma_f64 v[8:9], s[16:17], v[6:7], v[8:9]
	s_lshl_b64 s[0:1], s[50:51], 8
	global_store_dwordx4 v[18:19], v[10:13], off offset:256
	global_load_dwordx4 v[10:13], v[14:15], off
	s_waitcnt vmcnt(0)
	v_mul_f64 v[18:19], s[40:41], v[12:13]
	v_mul_f64 v[12:13], s[38:39], v[12:13]
	v_fma_f64 v[6:7], s[38:39], v[10:11], -v[18:19]
	v_fma_f64 v[10:11], s[40:41], v[10:11], v[12:13]
	v_add_f64 v[6:7], v[16:17], v[6:7]
	v_add_f64 v[8:9], v[8:9], v[10:11]
	v_add_co_u32 v10, vcc_lo, v26, s0
	v_add_co_ci_u32_e64 v11, null, s1, v27, vcc_lo
	v_add_co_u32 v0, vcc_lo, v10, v0
	v_add_co_ci_u32_e64 v1, null, v11, v1, vcc_lo
	v_mul_f64 v[10:11], s[16:17], v[4:5]
	v_mul_f64 v[4:5], s[14:15], v[4:5]
	v_add_co_u32 v20, vcc_lo, 0x100, v0
	v_add_co_ci_u32_e64 v21, null, 0, v1, vcc_lo
	global_store_dwordx4 v[0:1], v[6:9], off
	global_load_dwordx4 v[6:9], v[14:15], off offset:256
	v_fma_f64 v[10:11], s[14:15], v[2:3], -v[10:11]
	v_fma_f64 v[2:3], s[16:17], v[2:3], v[4:5]
	s_waitcnt vmcnt(0)
	v_mul_f64 v[12:13], s[40:41], v[8:9]
	v_mul_f64 v[8:9], s[38:39], v[8:9]
	v_fma_f64 v[4:5], s[38:39], v[6:7], -v[12:13]
	v_fma_f64 v[6:7], s[40:41], v[6:7], v[8:9]
	v_add_f64 v[4:5], v[10:11], v[4:5]
	v_add_f64 v[18:19], v[2:3], v[6:7]
	global_store_dwordx2 v[0:1], v[4:5], off offset:256
.LBB538_8:
	global_store_dwordx2 v[20:21], v[18:19], off offset:8
	s_endpgm
	.section	.rodata,"a",@progbits
	.p2align	6, 0x0
	.amdhsa_kernel _ZN12_GLOBAL__N_127rocblas_gemm_batched_kernelI19rocblas_complex_numIdELi16ELi16ELi32ELi32ELi8ELi32ELi8ELi8ELi32ELc78ELc78EKS2_S3_S2_EEvlllT_PT11_llS6_llS4_PT12_llPT13_lli
		.amdhsa_group_segment_fixed_size 8192
		.amdhsa_private_segment_fixed_size 0
		.amdhsa_kernarg_size 156
		.amdhsa_user_sgpr_count 6
		.amdhsa_user_sgpr_private_segment_buffer 1
		.amdhsa_user_sgpr_dispatch_ptr 0
		.amdhsa_user_sgpr_queue_ptr 0
		.amdhsa_user_sgpr_kernarg_segment_ptr 1
		.amdhsa_user_sgpr_dispatch_id 0
		.amdhsa_user_sgpr_flat_scratch_init 0
		.amdhsa_user_sgpr_private_segment_size 0
		.amdhsa_wavefront_size32 1
		.amdhsa_uses_dynamic_stack 0
		.amdhsa_system_sgpr_private_segment_wavefront_offset 0
		.amdhsa_system_sgpr_workgroup_id_x 1
		.amdhsa_system_sgpr_workgroup_id_y 1
		.amdhsa_system_sgpr_workgroup_id_z 1
		.amdhsa_system_sgpr_workgroup_info 0
		.amdhsa_system_vgpr_workitem_id 1
		.amdhsa_next_free_vgpr 162
		.amdhsa_next_free_sgpr 52
		.amdhsa_reserve_vcc 1
		.amdhsa_reserve_flat_scratch 0
		.amdhsa_float_round_mode_32 0
		.amdhsa_float_round_mode_16_64 0
		.amdhsa_float_denorm_mode_32 3
		.amdhsa_float_denorm_mode_16_64 3
		.amdhsa_dx10_clamp 1
		.amdhsa_ieee_mode 1
		.amdhsa_fp16_overflow 0
		.amdhsa_workgroup_processor_mode 1
		.amdhsa_memory_ordered 1
		.amdhsa_forward_progress 1
		.amdhsa_shared_vgpr_count 0
		.amdhsa_exception_fp_ieee_invalid_op 0
		.amdhsa_exception_fp_denorm_src 0
		.amdhsa_exception_fp_ieee_div_zero 0
		.amdhsa_exception_fp_ieee_overflow 0
		.amdhsa_exception_fp_ieee_underflow 0
		.amdhsa_exception_fp_ieee_inexact 0
		.amdhsa_exception_int_div_zero 0
	.end_amdhsa_kernel
	.section	.text._ZN12_GLOBAL__N_127rocblas_gemm_batched_kernelI19rocblas_complex_numIdELi16ELi16ELi32ELi32ELi8ELi32ELi8ELi8ELi32ELc78ELc78EKS2_S3_S2_EEvlllT_PT11_llS6_llS4_PT12_llPT13_lli,"axG",@progbits,_ZN12_GLOBAL__N_127rocblas_gemm_batched_kernelI19rocblas_complex_numIdELi16ELi16ELi32ELi32ELi8ELi32ELi8ELi8ELi32ELc78ELc78EKS2_S3_S2_EEvlllT_PT11_llS6_llS4_PT12_llPT13_lli,comdat
.Lfunc_end538:
	.size	_ZN12_GLOBAL__N_127rocblas_gemm_batched_kernelI19rocblas_complex_numIdELi16ELi16ELi32ELi32ELi8ELi32ELi8ELi8ELi32ELc78ELc78EKS2_S3_S2_EEvlllT_PT11_llS6_llS4_PT12_llPT13_lli, .Lfunc_end538-_ZN12_GLOBAL__N_127rocblas_gemm_batched_kernelI19rocblas_complex_numIdELi16ELi16ELi32ELi32ELi8ELi32ELi8ELi8ELi32ELc78ELc78EKS2_S3_S2_EEvlllT_PT11_llS6_llS4_PT12_llPT13_lli
                                        ; -- End function
	.set _ZN12_GLOBAL__N_127rocblas_gemm_batched_kernelI19rocblas_complex_numIdELi16ELi16ELi32ELi32ELi8ELi32ELi8ELi8ELi32ELc78ELc78EKS2_S3_S2_EEvlllT_PT11_llS6_llS4_PT12_llPT13_lli.num_vgpr, 162
	.set _ZN12_GLOBAL__N_127rocblas_gemm_batched_kernelI19rocblas_complex_numIdELi16ELi16ELi32ELi32ELi8ELi32ELi8ELi8ELi32ELc78ELc78EKS2_S3_S2_EEvlllT_PT11_llS6_llS4_PT12_llPT13_lli.num_agpr, 0
	.set _ZN12_GLOBAL__N_127rocblas_gemm_batched_kernelI19rocblas_complex_numIdELi16ELi16ELi32ELi32ELi8ELi32ELi8ELi8ELi32ELc78ELc78EKS2_S3_S2_EEvlllT_PT11_llS6_llS4_PT12_llPT13_lli.numbered_sgpr, 52
	.set _ZN12_GLOBAL__N_127rocblas_gemm_batched_kernelI19rocblas_complex_numIdELi16ELi16ELi32ELi32ELi8ELi32ELi8ELi8ELi32ELc78ELc78EKS2_S3_S2_EEvlllT_PT11_llS6_llS4_PT12_llPT13_lli.num_named_barrier, 0
	.set _ZN12_GLOBAL__N_127rocblas_gemm_batched_kernelI19rocblas_complex_numIdELi16ELi16ELi32ELi32ELi8ELi32ELi8ELi8ELi32ELc78ELc78EKS2_S3_S2_EEvlllT_PT11_llS6_llS4_PT12_llPT13_lli.private_seg_size, 0
	.set _ZN12_GLOBAL__N_127rocblas_gemm_batched_kernelI19rocblas_complex_numIdELi16ELi16ELi32ELi32ELi8ELi32ELi8ELi8ELi32ELc78ELc78EKS2_S3_S2_EEvlllT_PT11_llS6_llS4_PT12_llPT13_lli.uses_vcc, 1
	.set _ZN12_GLOBAL__N_127rocblas_gemm_batched_kernelI19rocblas_complex_numIdELi16ELi16ELi32ELi32ELi8ELi32ELi8ELi8ELi32ELc78ELc78EKS2_S3_S2_EEvlllT_PT11_llS6_llS4_PT12_llPT13_lli.uses_flat_scratch, 0
	.set _ZN12_GLOBAL__N_127rocblas_gemm_batched_kernelI19rocblas_complex_numIdELi16ELi16ELi32ELi32ELi8ELi32ELi8ELi8ELi32ELc78ELc78EKS2_S3_S2_EEvlllT_PT11_llS6_llS4_PT12_llPT13_lli.has_dyn_sized_stack, 0
	.set _ZN12_GLOBAL__N_127rocblas_gemm_batched_kernelI19rocblas_complex_numIdELi16ELi16ELi32ELi32ELi8ELi32ELi8ELi8ELi32ELc78ELc78EKS2_S3_S2_EEvlllT_PT11_llS6_llS4_PT12_llPT13_lli.has_recursion, 0
	.set _ZN12_GLOBAL__N_127rocblas_gemm_batched_kernelI19rocblas_complex_numIdELi16ELi16ELi32ELi32ELi8ELi32ELi8ELi8ELi32ELc78ELc78EKS2_S3_S2_EEvlllT_PT11_llS6_llS4_PT12_llPT13_lli.has_indirect_call, 0
	.section	.AMDGPU.csdata,"",@progbits
; Kernel info:
; codeLenInByte = 3528
; TotalNumSgprs: 54
; NumVgprs: 162
; ScratchSize: 0
; MemoryBound: 0
; FloatMode: 240
; IeeeMode: 1
; LDSByteSize: 8192 bytes/workgroup (compile time only)
; SGPRBlocks: 0
; VGPRBlocks: 20
; NumSGPRsForWavesPerEU: 54
; NumVGPRsForWavesPerEU: 162
; Occupancy: 5
; WaveLimiterHint : 1
; COMPUTE_PGM_RSRC2:SCRATCH_EN: 0
; COMPUTE_PGM_RSRC2:USER_SGPR: 6
; COMPUTE_PGM_RSRC2:TRAP_HANDLER: 0
; COMPUTE_PGM_RSRC2:TGID_X_EN: 1
; COMPUTE_PGM_RSRC2:TGID_Y_EN: 1
; COMPUTE_PGM_RSRC2:TGID_Z_EN: 1
; COMPUTE_PGM_RSRC2:TIDIG_COMP_CNT: 1
	.section	.text._ZN12_GLOBAL__N_127rocblas_gemm_batched_kernelI19rocblas_complex_numIdELi16ELi16ELi32ELi32ELi8ELi32ELi8ELi8ELi32ELc84ELc78EKS2_S3_S2_EEvlllT_PT11_llS6_llS4_PT12_llPT13_lli,"axG",@progbits,_ZN12_GLOBAL__N_127rocblas_gemm_batched_kernelI19rocblas_complex_numIdELi16ELi16ELi32ELi32ELi8ELi32ELi8ELi8ELi32ELc84ELc78EKS2_S3_S2_EEvlllT_PT11_llS6_llS4_PT12_llPT13_lli,comdat
	.globl	_ZN12_GLOBAL__N_127rocblas_gemm_batched_kernelI19rocblas_complex_numIdELi16ELi16ELi32ELi32ELi8ELi32ELi8ELi8ELi32ELc84ELc78EKS2_S3_S2_EEvlllT_PT11_llS6_llS4_PT12_llPT13_lli ; -- Begin function _ZN12_GLOBAL__N_127rocblas_gemm_batched_kernelI19rocblas_complex_numIdELi16ELi16ELi32ELi32ELi8ELi32ELi8ELi8ELi32ELc84ELc78EKS2_S3_S2_EEvlllT_PT11_llS6_llS4_PT12_llPT13_lli
	.p2align	8
	.type	_ZN12_GLOBAL__N_127rocblas_gemm_batched_kernelI19rocblas_complex_numIdELi16ELi16ELi32ELi32ELi8ELi32ELi8ELi8ELi32ELc84ELc78EKS2_S3_S2_EEvlllT_PT11_llS6_llS4_PT12_llPT13_lli,@function
_ZN12_GLOBAL__N_127rocblas_gemm_batched_kernelI19rocblas_complex_numIdELi16ELi16ELi32ELi32ELi8ELi32ELi8ELi8ELi32ELc84ELc78EKS2_S3_S2_EEvlllT_PT11_llS6_llS4_PT12_llPT13_lli: ; @_ZN12_GLOBAL__N_127rocblas_gemm_batched_kernelI19rocblas_complex_numIdELi16ELi16ELi32ELi32ELi8ELi32ELi8ELi8ELi32ELc84ELc78EKS2_S3_S2_EEvlllT_PT11_llS6_llS4_PT12_llPT13_lli
; %bb.0:
	s_clause 0x1
	s_load_dwordx16 s[12:27], s[4:5], 0x10
	s_load_dwordx16 s[36:51], s[4:5], 0x50
	s_mov_b32 s2, s7
	s_ashr_i32 s7, s6, 31
	s_ashr_i32 s3, s2, 31
	s_lshl_b64 s[0:1], s[6:7], 5
	s_lshl_b64 s[2:3], s[2:3], 5
	s_waitcnt lgkmcnt(0)
	v_cmp_lt_i64_e64 s9, s[12:13], 1
	s_and_b32 vcc_lo, exec_lo, s9
	s_cbranch_vccnz .LBB539_3
; %bb.1:
	v_lshl_add_u32 v2, v1, 4, v0
	v_and_b32_e32 v4, 7, v0
	s_mul_hi_u32 s7, s22, s8
	v_mov_b32_e32 v12, 0
	v_mov_b32_e32 v16, 0
	v_and_b32_e32 v3, 31, v2
	v_lshrrev_b32_e32 v5, 3, v2
	v_lshlrev_b32_e32 v9, 4, v4
	v_lshrrev_b32_e32 v8, 5, v2
	v_mov_b32_e32 v14, 0
	v_add_co_u32 v6, s6, s0, v3
	v_add_co_ci_u32_e64 v7, null, s1, 0, s6
	v_lshlrev_b32_e32 v4, 4, v3
	v_mul_lo_u32 v10, s21, v6
	v_mad_u64_u32 v[2:3], null, s20, v6, 0
	v_mul_lo_u32 v7, s20, v7
	v_lshl_or_b32 v6, v5, 7, v9
	v_add_co_u32 v5, s6, v5, s2
	v_add_co_ci_u32_e64 v11, null, 0, s3, s6
	v_lshl_or_b32 v23, v8, 9, v4
	v_add_nc_u32_e32 v24, 0x1000, v6
	v_add3_u32 v3, v3, v7, v10
	v_mul_lo_u32 v6, s27, v5
	v_mul_lo_u32 v7, s26, v11
	v_mad_u64_u32 v[4:5], null, s26, v5, 0
	s_mul_i32 s6, s23, s8
	v_lshlrev_b64 v[2:3], 4, v[2:3]
	s_add_i32 s7, s7, s6
	s_mul_i32 s6, s22, s8
	v_lshlrev_b32_e32 v8, 4, v8
	s_lshl_b64 s[6:7], s[6:7], 4
	v_add3_u32 v5, v5, v7, v6
	v_add_co_u32 v6, vcc_lo, v2, s6
	v_add_co_ci_u32_e64 v7, null, s7, v3, vcc_lo
	s_mul_i32 s6, s37, s8
	s_mul_hi_u32 s7, s36, s8
	v_lshlrev_b64 v[2:3], 4, v[4:5]
	s_add_i32 s7, s7, s6
	s_mul_i32 s6, s36, s8
	v_add_co_u32 v4, vcc_lo, v6, v8
	s_lshl_b64 s[6:7], s[6:7], 4
	v_add_co_ci_u32_e64 v5, null, 0, v7, vcc_lo
	v_add_co_u32 v2, vcc_lo, v2, s6
	v_add_co_ci_u32_e64 v3, null, s7, v3, vcc_lo
	v_add_co_u32 v18, vcc_lo, s18, v4
	;; [unrolled: 2-line block ×3, first 2 shown]
	v_add_co_ci_u32_e64 v21, null, 0, v3, vcc_lo
	v_mov_b32_e32 v4, 0
	v_add_co_u32 v20, vcc_lo, s24, v20
	v_mov_b32_e32 v2, 0
	v_mov_b32_e32 v8, 0
	;; [unrolled: 1-line block ×4, first 2 shown]
	v_lshlrev_b32_e32 v22, 4, v0
	v_lshl_add_u32 v25, v1, 7, 0x1000
	v_mov_b32_e32 v5, 0
	v_mov_b32_e32 v3, 0
	;; [unrolled: 1-line block ×8, first 2 shown]
	v_add_co_ci_u32_e64 v21, null, s25, v21, vcc_lo
	s_mov_b64 s[6:7], 0
.LBB539_2:                              ; =>This Inner Loop Header: Depth=1
	global_load_dwordx4 v[26:29], v[18:19], off
	global_load_dwordx4 v[30:33], v[20:21], off
	s_add_u32 s6, s6, 8
	s_addc_u32 s7, s7, 0
	v_add_co_u32 v18, vcc_lo, 0x80, v18
	v_cmp_lt_i64_e64 s9, s[6:7], s[12:13]
	v_add_co_ci_u32_e64 v19, null, 0, v19, vcc_lo
	v_add_co_u32 v20, vcc_lo, 0x80, v20
	v_add_co_ci_u32_e64 v21, null, 0, v21, vcc_lo
	s_and_b32 vcc_lo, exec_lo, s9
	s_waitcnt vmcnt(1)
	ds_write2_b64 v23, v[26:27], v[28:29] offset1:1
	s_waitcnt vmcnt(0)
	ds_write2_b64 v24, v[30:31], v[32:33] offset1:1
	s_waitcnt lgkmcnt(0)
	s_barrier
	buffer_gl0_inv
	ds_read_b128 v[26:29], v22
	ds_read_b128 v[30:33], v22 offset:256
	ds_read_b128 v[34:37], v25
	ds_read_b128 v[38:41], v25 offset:16
	ds_read_b128 v[42:45], v25 offset:2048
	;; [unrolled: 1-line block ×28, first 2 shown]
	s_waitcnt lgkmcnt(28)
	v_mul_f64 v[150:151], v[36:37], v[28:29]
	v_mul_f64 v[154:155], v[36:37], v[32:33]
	;; [unrolled: 1-line block ×4, first 2 shown]
	v_fma_f64 v[150:151], v[34:35], v[26:27], -v[150:151]
	v_fma_f64 v[34:35], v[34:35], v[30:31], -v[154:155]
	s_waitcnt lgkmcnt(26)
	v_mul_f64 v[154:155], v[44:45], v[28:29]
	v_mul_f64 v[28:29], v[42:43], v[28:29]
	v_fma_f64 v[152:153], v[36:37], v[26:27], v[152:153]
	v_fma_f64 v[36:37], v[36:37], v[30:31], v[156:157]
	v_add_f64 v[14:15], v[14:15], v[150:151]
	v_add_f64 v[10:11], v[10:11], v[34:35]
	v_fma_f64 v[154:155], v[42:43], v[26:27], -v[154:155]
	v_fma_f64 v[156:157], v[44:45], v[26:27], v[28:29]
	v_mul_f64 v[26:27], v[44:45], v[32:33]
	v_mul_f64 v[28:29], v[42:43], v[32:33]
	v_add_f64 v[16:17], v[152:153], v[16:17]
	v_add_f64 v[12:13], v[36:37], v[12:13]
	s_waitcnt lgkmcnt(16)
	v_mul_f64 v[34:35], v[64:65], v[84:85]
	v_mul_f64 v[36:37], v[62:63], v[84:85]
	s_waitcnt lgkmcnt(15)
	v_mul_f64 v[150:151], v[62:63], v[88:89]
	s_waitcnt lgkmcnt(12)
	v_mul_f64 v[152:153], v[98:99], v[96:97]
	v_add_f64 v[6:7], v[6:7], v[154:155]
	v_add_f64 v[8:9], v[156:157], v[8:9]
	v_fma_f64 v[32:33], v[42:43], v[30:31], -v[26:27]
	v_fma_f64 v[30:31], v[44:45], v[30:31], v[28:29]
	v_mul_f64 v[26:27], v[40:41], v[52:53]
	v_mul_f64 v[28:29], v[38:39], v[52:53]
	;; [unrolled: 1-line block ×4, first 2 shown]
	v_fma_f64 v[34:35], v[62:63], v[82:83], -v[34:35]
	v_fma_f64 v[36:37], v[64:65], v[82:83], v[36:37]
	v_add_f64 v[2:3], v[2:3], v[32:33]
	v_add_f64 v[4:5], v[30:31], v[4:5]
	v_fma_f64 v[158:159], v[38:39], v[50:51], -v[26:27]
	v_fma_f64 v[160:161], v[40:41], v[50:51], v[28:29]
	v_mul_f64 v[26:27], v[48:49], v[52:53]
	v_mul_f64 v[28:29], v[46:47], v[52:53]
	v_fma_f64 v[38:39], v[38:39], v[54:55], -v[42:43]
	v_fma_f64 v[40:41], v[40:41], v[54:55], v[44:45]
	v_mul_f64 v[52:53], v[58:59], v[72:73]
	v_mul_f64 v[30:31], v[80:81], v[84:85]
	;; [unrolled: 1-line block ×4, first 2 shown]
	v_add_f64 v[14:15], v[14:15], v[158:159]
	v_add_f64 v[16:17], v[160:161], v[16:17]
	v_fma_f64 v[42:43], v[46:47], v[50:51], -v[26:27]
	v_fma_f64 v[44:45], v[48:49], v[50:51], v[28:29]
	v_mul_f64 v[26:27], v[48:49], v[56:57]
	v_mul_f64 v[28:29], v[46:47], v[56:57]
	v_mul_f64 v[50:51], v[60:61], v[72:73]
	v_fma_f64 v[52:53], v[60:61], v[70:71], v[52:53]
	v_add_f64 v[10:11], v[10:11], v[38:39]
	v_add_f64 v[12:13], v[40:41], v[12:13]
	s_waitcnt lgkmcnt(10)
	v_mul_f64 v[38:39], v[108:109], v[92:93]
	v_mul_f64 v[40:41], v[106:107], v[92:93]
	v_fma_f64 v[30:31], v[78:79], v[82:83], -v[30:31]
	v_fma_f64 v[32:33], v[80:81], v[82:83], v[32:33]
	s_waitcnt lgkmcnt(8)
	v_mul_f64 v[82:83], v[112:113], v[116:117]
	v_add_f64 v[6:7], v[6:7], v[42:43]
	v_add_f64 v[8:9], v[44:45], v[8:9]
	v_fma_f64 v[46:47], v[46:47], v[54:55], -v[26:27]
	v_fma_f64 v[48:49], v[48:49], v[54:55], v[28:29]
	v_mul_f64 v[26:27], v[60:61], v[68:69]
	v_mul_f64 v[28:29], v[58:59], v[68:69]
	v_fma_f64 v[50:51], v[58:59], v[70:71], -v[50:51]
	v_mul_f64 v[42:43], v[108:109], v[96:97]
	v_mul_f64 v[44:45], v[106:107], v[96:97]
	v_add_f64 v[12:13], v[52:53], v[12:13]
	s_waitcnt lgkmcnt(7)
	v_mul_f64 v[52:53], v[110:111], v[120:121]
	v_fma_f64 v[38:39], v[106:107], v[90:91], -v[38:39]
	v_fma_f64 v[40:41], v[108:109], v[90:91], v[40:41]
	v_add_f64 v[2:3], v[2:3], v[46:47]
	v_add_f64 v[4:5], v[48:49], v[4:5]
	v_fma_f64 v[54:55], v[58:59], v[66:67], -v[26:27]
	v_fma_f64 v[56:57], v[60:61], v[66:67], v[28:29]
	v_mul_f64 v[26:27], v[76:77], v[68:69]
	v_mul_f64 v[28:29], v[74:75], v[68:69]
	;; [unrolled: 1-line block ×3, first 2 shown]
	v_add_f64 v[10:11], v[10:11], v[50:51]
	v_mul_f64 v[46:47], v[104:105], v[116:117]
	v_mul_f64 v[48:49], v[102:103], v[116:117]
	v_mul_f64 v[50:51], v[112:113], v[120:121]
	v_fma_f64 v[42:43], v[106:107], v[94:95], -v[42:43]
	v_fma_f64 v[44:45], v[108:109], v[94:95], v[44:45]
	v_fma_f64 v[52:53], v[112:113], v[118:119], v[52:53]
	v_add_f64 v[14:15], v[14:15], v[54:55]
	v_add_f64 v[16:17], v[56:57], v[16:17]
	v_fma_f64 v[58:59], v[74:75], v[66:67], -v[26:27]
	v_fma_f64 v[60:61], v[76:77], v[66:67], v[28:29]
	v_mul_f64 v[66:67], v[76:77], v[72:73]
	v_mul_f64 v[72:73], v[64:65], v[88:89]
	v_fma_f64 v[68:69], v[76:77], v[70:71], v[68:69]
	v_mul_f64 v[76:77], v[100:101], v[92:93]
	v_fma_f64 v[64:65], v[64:65], v[86:87], v[150:151]
	v_mul_f64 v[92:93], v[102:103], v[120:121]
	s_waitcnt lgkmcnt(4)
	v_mul_f64 v[54:55], v[132:133], v[124:125]
	v_mul_f64 v[56:57], v[130:131], v[124:125]
	v_fma_f64 v[46:47], v[102:103], v[114:115], -v[46:47]
	v_fma_f64 v[48:49], v[104:105], v[114:115], v[48:49]
	v_fma_f64 v[50:51], v[110:111], v[118:119], -v[50:51]
	ds_read_b128 v[26:29], v22 offset:3840
	s_waitcnt lgkmcnt(0)
	s_barrier
	buffer_gl0_inv
	v_add_f64 v[14:15], v[14:15], v[34:35]
	v_add_f64 v[16:17], v[36:37], v[16:17]
	;; [unrolled: 1-line block ×4, first 2 shown]
	v_fma_f64 v[66:67], v[74:75], v[70:71], -v[66:67]
	v_mul_f64 v[70:71], v[80:81], v[88:89]
	v_mul_f64 v[74:75], v[78:79], v[88:89]
	;; [unrolled: 1-line block ×3, first 2 shown]
	v_fma_f64 v[62:63], v[62:63], v[86:87], -v[72:73]
	v_add_f64 v[4:5], v[68:69], v[4:5]
	v_mul_f64 v[72:73], v[104:105], v[120:121]
	v_mul_f64 v[96:97], v[110:111], v[116:117]
	v_fma_f64 v[68:69], v[100:101], v[90:91], v[84:85]
	v_add_f64 v[12:13], v[64:65], v[12:13]
	v_mul_f64 v[58:59], v[132:133], v[128:129]
	v_mul_f64 v[60:61], v[130:131], v[128:129]
	;; [unrolled: 1-line block ×5, first 2 shown]
	v_fma_f64 v[54:55], v[130:131], v[122:123], -v[54:55]
	v_fma_f64 v[56:57], v[132:133], v[122:123], v[56:57]
	v_add_f64 v[6:7], v[6:7], v[30:31]
	v_add_f64 v[8:9], v[32:33], v[8:9]
	;; [unrolled: 1-line block ×3, first 2 shown]
	v_fma_f64 v[70:71], v[78:79], v[86:87], -v[70:71]
	v_fma_f64 v[74:75], v[80:81], v[86:87], v[74:75]
	v_fma_f64 v[66:67], v[98:99], v[90:91], -v[76:77]
	v_fma_f64 v[76:77], v[98:99], v[94:95], -v[88:89]
	v_fma_f64 v[78:79], v[100:101], v[94:95], v[152:153]
	v_add_f64 v[10:11], v[10:11], v[62:63]
	v_mul_f64 v[30:31], v[140:141], v[124:125]
	v_mul_f64 v[32:33], v[138:139], v[124:125]
	v_fma_f64 v[80:81], v[112:113], v[114:115], v[96:97]
	v_add_f64 v[16:17], v[68:69], v[16:17]
	v_mul_f64 v[62:63], v[136:137], v[148:149]
	v_fma_f64 v[58:59], v[130:131], v[126:127], -v[58:59]
	v_fma_f64 v[60:61], v[132:133], v[126:127], v[60:61]
	v_fma_f64 v[34:35], v[138:139], v[126:127], -v[34:35]
	v_fma_f64 v[36:37], v[140:141], v[126:127], v[36:37]
	v_add_f64 v[6:7], v[6:7], v[38:39]
	v_add_f64 v[8:9], v[40:41], v[8:9]
	v_mul_f64 v[38:39], v[136:137], v[28:29]
	v_add_f64 v[2:3], v[2:3], v[70:71]
	v_add_f64 v[4:5], v[74:75], v[4:5]
	v_fma_f64 v[70:71], v[102:103], v[118:119], -v[72:73]
	v_fma_f64 v[72:73], v[104:105], v[118:119], v[92:93]
	v_fma_f64 v[74:75], v[110:111], v[114:115], -v[82:83]
	v_add_f64 v[14:15], v[14:15], v[66:67]
	v_add_f64 v[10:11], v[10:11], v[76:77]
	;; [unrolled: 1-line block ×3, first 2 shown]
	v_mul_f64 v[40:41], v[134:135], v[28:29]
	v_mul_f64 v[66:67], v[144:145], v[28:29]
	;; [unrolled: 1-line block ×3, first 2 shown]
	v_fma_f64 v[30:31], v[138:139], v[122:123], -v[30:31]
	v_fma_f64 v[32:33], v[140:141], v[122:123], v[32:33]
	v_add_f64 v[16:17], v[48:49], v[16:17]
	v_fma_f64 v[48:49], v[136:137], v[146:147], v[64:65]
	v_add_f64 v[8:9], v[80:81], v[8:9]
	v_fma_f64 v[38:39], v[134:135], v[26:27], -v[38:39]
	v_add_f64 v[2:3], v[2:3], v[42:43]
	v_add_f64 v[4:5], v[44:45], v[4:5]
	v_mul_f64 v[42:43], v[144:145], v[148:149]
	v_mul_f64 v[44:45], v[142:143], v[148:149]
	v_add_f64 v[6:7], v[6:7], v[74:75]
	v_add_f64 v[14:15], v[14:15], v[46:47]
	;; [unrolled: 1-line block ×4, first 2 shown]
	v_fma_f64 v[46:47], v[134:135], v[146:147], -v[62:63]
	v_fma_f64 v[40:41], v[136:137], v[26:27], v[40:41]
	v_add_f64 v[16:17], v[56:57], v[16:17]
	v_add_f64 v[8:9], v[32:33], v[8:9]
	;; [unrolled: 1-line block ×4, first 2 shown]
	v_fma_f64 v[42:43], v[142:143], v[146:147], -v[42:43]
	v_fma_f64 v[44:45], v[144:145], v[146:147], v[44:45]
	v_fma_f64 v[50:51], v[142:143], v[26:27], -v[66:67]
	v_fma_f64 v[26:27], v[144:145], v[26:27], v[28:29]
	v_add_f64 v[14:15], v[14:15], v[54:55]
	v_add_f64 v[10:11], v[10:11], v[58:59]
	;; [unrolled: 1-line block ×14, first 2 shown]
	s_cbranch_vccnz .LBB539_2
	s_branch .LBB539_4
.LBB539_3:
	v_mov_b32_e32 v14, 0
	v_mov_b32_e32 v16, 0
	;; [unrolled: 1-line block ×16, first 2 shown]
.LBB539_4:
	s_load_dwordx2 s[4:5], s[4:5], 0x90
	v_cmp_neq_f64_e64 s6, s[38:39], 0
	v_cmp_neq_f64_e64 s7, s[40:41], 0
	v_add_co_u32 v22, s2, s2, v1
	v_add_co_u32 v0, s0, s0, v0
	v_add_co_ci_u32_e64 v23, null, s3, 0, s2
	v_add_co_ci_u32_e64 v1, null, s1, 0, s0
	s_waitcnt lgkmcnt(0)
	s_mul_i32 s5, s5, s8
	s_mul_hi_u32 s9, s4, s8
	s_mul_i32 s4, s4, s8
	s_add_i32 s5, s9, s5
	s_lshl_b64 s[4:5], s[4:5], 4
	s_add_u32 s2, s48, s4
	s_addc_u32 s3, s49, s5
	s_or_b32 s4, s6, s7
	s_and_b32 vcc_lo, exec_lo, s4
	s_cbranch_vccnz .LBB539_6
; %bb.5:
	v_mul_f64 v[20:21], s[16:17], v[16:17]
	v_mul_f64 v[26:27], s[14:15], v[16:17]
	;; [unrolled: 1-line block ×4, first 2 shown]
	v_mul_lo_u32 v24, v23, s50
	v_mul_lo_u32 v25, v22, s51
	v_mad_u64_u32 v[18:19], null, v22, s50, 0
	v_mul_f64 v[28:29], s[16:17], v[12:13]
	v_mul_f64 v[30:31], s[14:15], v[12:13]
	;; [unrolled: 1-line block ×4, first 2 shown]
	s_lshl_b64 s[0:1], s[50:51], 8
	v_lshlrev_b64 v[40:41], 4, v[0:1]
	v_add3_u32 v19, v19, v25, v24
	v_lshlrev_b64 v[18:19], 4, v[18:19]
	v_fma_f64 v[24:25], s[14:15], v[14:15], -v[20:21]
	v_fma_f64 v[26:27], s[16:17], v[14:15], v[26:27]
	v_fma_f64 v[36:37], s[14:15], v[2:3], -v[36:37]
	v_add_co_u32 v42, vcc_lo, s2, v18
	v_add_co_ci_u32_e64 v43, null, s3, v19, vcc_lo
	v_fma_f64 v[18:19], s[16:17], v[2:3], v[38:39]
	v_fma_f64 v[28:29], s[14:15], v[10:11], -v[28:29]
	v_fma_f64 v[30:31], s[16:17], v[10:11], v[30:31]
	v_fma_f64 v[32:33], s[14:15], v[6:7], -v[32:33]
	v_fma_f64 v[34:35], s[16:17], v[6:7], v[34:35]
	v_add_co_u32 v20, vcc_lo, v42, s0
	v_add_co_ci_u32_e64 v21, null, s1, v43, vcc_lo
	v_add_co_u32 v38, vcc_lo, v20, v40
	v_add_co_ci_u32_e64 v39, null, v21, v41, vcc_lo
	;; [unrolled: 2-line block ×4, first 2 shown]
	global_store_dwordx4 v[40:41], v[24:27], off
	global_store_dwordx4 v[40:41], v[28:31], off offset:256
	global_store_dwordx4 v[38:39], v[32:35], off
	global_store_dwordx2 v[38:39], v[36:37], off offset:256
	s_cbranch_execz .LBB539_7
	s_branch .LBB539_8
.LBB539_6:
                                        ; implicit-def: $vgpr18_vgpr19
                                        ; implicit-def: $vgpr20_vgpr21
.LBB539_7:
	v_mul_lo_u32 v20, v23, s44
	v_mul_lo_u32 v21, v22, s45
	v_mad_u64_u32 v[18:19], null, v22, s44, 0
	s_mul_i32 s1, s47, s8
	s_mul_hi_u32 s4, s46, s8
	s_mul_i32 s0, s46, s8
	s_add_i32 s1, s4, s1
	v_lshlrev_b64 v[0:1], 4, v[0:1]
	s_lshl_b64 s[0:1], s[0:1], 4
	v_add3_u32 v19, v19, v21, v20
	s_add_u32 s0, s42, s0
	s_addc_u32 s1, s43, s1
	v_mul_f64 v[26:27], s[16:17], v[16:17]
	v_mul_f64 v[16:17], s[14:15], v[16:17]
	v_lshlrev_b64 v[18:19], 4, v[18:19]
	v_mul_lo_u32 v23, v23, s50
	v_add_co_u32 v30, vcc_lo, s0, v18
	v_add_co_ci_u32_e64 v31, null, s1, v19, vcc_lo
	s_lshl_b64 s[0:1], s[44:45], 8
	v_add_co_u32 v24, vcc_lo, v30, v0
	v_add_co_ci_u32_e64 v25, null, v31, v1, vcc_lo
	global_load_dwordx4 v[18:21], v[24:25], off
	v_fma_f64 v[26:27], s[14:15], v[14:15], -v[26:27]
	v_fma_f64 v[16:17], s[16:17], v[14:15], v[16:17]
	s_waitcnt vmcnt(0)
	v_mul_f64 v[28:29], s[40:41], v[20:21]
	v_mul_f64 v[20:21], s[38:39], v[20:21]
	v_fma_f64 v[14:15], s[38:39], v[18:19], -v[28:29]
	v_fma_f64 v[18:19], s[40:41], v[18:19], v[20:21]
	v_mul_lo_u32 v28, v22, s51
	v_mad_u64_u32 v[20:21], null, v22, s50, 0
	v_add3_u32 v21, v21, v28, v23
	v_add_f64 v[14:15], v[26:27], v[14:15]
	v_add_f64 v[16:17], v[16:17], v[18:19]
	v_lshlrev_b64 v[18:19], 4, v[20:21]
	v_mul_f64 v[20:21], s[16:17], v[12:13]
	v_mul_f64 v[12:13], s[14:15], v[12:13]
	v_add_co_u32 v26, vcc_lo, s2, v18
	v_add_co_ci_u32_e64 v27, null, s3, v19, vcc_lo
	v_add_co_u32 v18, vcc_lo, v26, v0
	v_add_co_ci_u32_e64 v19, null, v27, v1, vcc_lo
	global_store_dwordx4 v[18:19], v[14:17], off
	global_load_dwordx4 v[14:17], v[24:25], off offset:256
	v_fma_f64 v[20:21], s[14:15], v[10:11], -v[20:21]
	v_fma_f64 v[12:13], s[16:17], v[10:11], v[12:13]
	s_waitcnt vmcnt(0)
	v_mul_f64 v[22:23], s[40:41], v[16:17]
	v_mul_f64 v[16:17], s[38:39], v[16:17]
	v_fma_f64 v[10:11], s[38:39], v[14:15], -v[22:23]
	v_fma_f64 v[14:15], s[40:41], v[14:15], v[16:17]
	v_mul_f64 v[16:17], s[16:17], v[8:9]
	v_mul_f64 v[8:9], s[14:15], v[8:9]
	v_add_f64 v[10:11], v[20:21], v[10:11]
	v_add_f64 v[12:13], v[12:13], v[14:15]
	v_add_co_u32 v14, vcc_lo, v30, s0
	v_add_co_ci_u32_e64 v15, null, s1, v31, vcc_lo
	v_fma_f64 v[16:17], s[14:15], v[6:7], -v[16:17]
	v_add_co_u32 v14, vcc_lo, v14, v0
	v_add_co_ci_u32_e64 v15, null, v15, v1, vcc_lo
	v_fma_f64 v[8:9], s[16:17], v[6:7], v[8:9]
	s_lshl_b64 s[0:1], s[50:51], 8
	global_store_dwordx4 v[18:19], v[10:13], off offset:256
	global_load_dwordx4 v[10:13], v[14:15], off
	s_waitcnt vmcnt(0)
	v_mul_f64 v[18:19], s[40:41], v[12:13]
	v_mul_f64 v[12:13], s[38:39], v[12:13]
	v_fma_f64 v[6:7], s[38:39], v[10:11], -v[18:19]
	v_fma_f64 v[10:11], s[40:41], v[10:11], v[12:13]
	v_add_f64 v[6:7], v[16:17], v[6:7]
	v_add_f64 v[8:9], v[8:9], v[10:11]
	v_add_co_u32 v10, vcc_lo, v26, s0
	v_add_co_ci_u32_e64 v11, null, s1, v27, vcc_lo
	v_add_co_u32 v0, vcc_lo, v10, v0
	v_add_co_ci_u32_e64 v1, null, v11, v1, vcc_lo
	v_mul_f64 v[10:11], s[16:17], v[4:5]
	v_mul_f64 v[4:5], s[14:15], v[4:5]
	v_add_co_u32 v20, vcc_lo, 0x100, v0
	v_add_co_ci_u32_e64 v21, null, 0, v1, vcc_lo
	global_store_dwordx4 v[0:1], v[6:9], off
	global_load_dwordx4 v[6:9], v[14:15], off offset:256
	v_fma_f64 v[10:11], s[14:15], v[2:3], -v[10:11]
	v_fma_f64 v[2:3], s[16:17], v[2:3], v[4:5]
	s_waitcnt vmcnt(0)
	v_mul_f64 v[12:13], s[40:41], v[8:9]
	v_mul_f64 v[8:9], s[38:39], v[8:9]
	v_fma_f64 v[4:5], s[38:39], v[6:7], -v[12:13]
	v_fma_f64 v[6:7], s[40:41], v[6:7], v[8:9]
	v_add_f64 v[4:5], v[10:11], v[4:5]
	v_add_f64 v[18:19], v[2:3], v[6:7]
	global_store_dwordx2 v[0:1], v[4:5], off offset:256
.LBB539_8:
	global_store_dwordx2 v[20:21], v[18:19], off offset:8
	s_endpgm
	.section	.rodata,"a",@progbits
	.p2align	6, 0x0
	.amdhsa_kernel _ZN12_GLOBAL__N_127rocblas_gemm_batched_kernelI19rocblas_complex_numIdELi16ELi16ELi32ELi32ELi8ELi32ELi8ELi8ELi32ELc84ELc78EKS2_S3_S2_EEvlllT_PT11_llS6_llS4_PT12_llPT13_lli
		.amdhsa_group_segment_fixed_size 8192
		.amdhsa_private_segment_fixed_size 0
		.amdhsa_kernarg_size 156
		.amdhsa_user_sgpr_count 6
		.amdhsa_user_sgpr_private_segment_buffer 1
		.amdhsa_user_sgpr_dispatch_ptr 0
		.amdhsa_user_sgpr_queue_ptr 0
		.amdhsa_user_sgpr_kernarg_segment_ptr 1
		.amdhsa_user_sgpr_dispatch_id 0
		.amdhsa_user_sgpr_flat_scratch_init 0
		.amdhsa_user_sgpr_private_segment_size 0
		.amdhsa_wavefront_size32 1
		.amdhsa_uses_dynamic_stack 0
		.amdhsa_system_sgpr_private_segment_wavefront_offset 0
		.amdhsa_system_sgpr_workgroup_id_x 1
		.amdhsa_system_sgpr_workgroup_id_y 1
		.amdhsa_system_sgpr_workgroup_id_z 1
		.amdhsa_system_sgpr_workgroup_info 0
		.amdhsa_system_vgpr_workitem_id 1
		.amdhsa_next_free_vgpr 162
		.amdhsa_next_free_sgpr 52
		.amdhsa_reserve_vcc 1
		.amdhsa_reserve_flat_scratch 0
		.amdhsa_float_round_mode_32 0
		.amdhsa_float_round_mode_16_64 0
		.amdhsa_float_denorm_mode_32 3
		.amdhsa_float_denorm_mode_16_64 3
		.amdhsa_dx10_clamp 1
		.amdhsa_ieee_mode 1
		.amdhsa_fp16_overflow 0
		.amdhsa_workgroup_processor_mode 1
		.amdhsa_memory_ordered 1
		.amdhsa_forward_progress 1
		.amdhsa_shared_vgpr_count 0
		.amdhsa_exception_fp_ieee_invalid_op 0
		.amdhsa_exception_fp_denorm_src 0
		.amdhsa_exception_fp_ieee_div_zero 0
		.amdhsa_exception_fp_ieee_overflow 0
		.amdhsa_exception_fp_ieee_underflow 0
		.amdhsa_exception_fp_ieee_inexact 0
		.amdhsa_exception_int_div_zero 0
	.end_amdhsa_kernel
	.section	.text._ZN12_GLOBAL__N_127rocblas_gemm_batched_kernelI19rocblas_complex_numIdELi16ELi16ELi32ELi32ELi8ELi32ELi8ELi8ELi32ELc84ELc78EKS2_S3_S2_EEvlllT_PT11_llS6_llS4_PT12_llPT13_lli,"axG",@progbits,_ZN12_GLOBAL__N_127rocblas_gemm_batched_kernelI19rocblas_complex_numIdELi16ELi16ELi32ELi32ELi8ELi32ELi8ELi8ELi32ELc84ELc78EKS2_S3_S2_EEvlllT_PT11_llS6_llS4_PT12_llPT13_lli,comdat
.Lfunc_end539:
	.size	_ZN12_GLOBAL__N_127rocblas_gemm_batched_kernelI19rocblas_complex_numIdELi16ELi16ELi32ELi32ELi8ELi32ELi8ELi8ELi32ELc84ELc78EKS2_S3_S2_EEvlllT_PT11_llS6_llS4_PT12_llPT13_lli, .Lfunc_end539-_ZN12_GLOBAL__N_127rocblas_gemm_batched_kernelI19rocblas_complex_numIdELi16ELi16ELi32ELi32ELi8ELi32ELi8ELi8ELi32ELc84ELc78EKS2_S3_S2_EEvlllT_PT11_llS6_llS4_PT12_llPT13_lli
                                        ; -- End function
	.set _ZN12_GLOBAL__N_127rocblas_gemm_batched_kernelI19rocblas_complex_numIdELi16ELi16ELi32ELi32ELi8ELi32ELi8ELi8ELi32ELc84ELc78EKS2_S3_S2_EEvlllT_PT11_llS6_llS4_PT12_llPT13_lli.num_vgpr, 162
	.set _ZN12_GLOBAL__N_127rocblas_gemm_batched_kernelI19rocblas_complex_numIdELi16ELi16ELi32ELi32ELi8ELi32ELi8ELi8ELi32ELc84ELc78EKS2_S3_S2_EEvlllT_PT11_llS6_llS4_PT12_llPT13_lli.num_agpr, 0
	.set _ZN12_GLOBAL__N_127rocblas_gemm_batched_kernelI19rocblas_complex_numIdELi16ELi16ELi32ELi32ELi8ELi32ELi8ELi8ELi32ELc84ELc78EKS2_S3_S2_EEvlllT_PT11_llS6_llS4_PT12_llPT13_lli.numbered_sgpr, 52
	.set _ZN12_GLOBAL__N_127rocblas_gemm_batched_kernelI19rocblas_complex_numIdELi16ELi16ELi32ELi32ELi8ELi32ELi8ELi8ELi32ELc84ELc78EKS2_S3_S2_EEvlllT_PT11_llS6_llS4_PT12_llPT13_lli.num_named_barrier, 0
	.set _ZN12_GLOBAL__N_127rocblas_gemm_batched_kernelI19rocblas_complex_numIdELi16ELi16ELi32ELi32ELi8ELi32ELi8ELi8ELi32ELc84ELc78EKS2_S3_S2_EEvlllT_PT11_llS6_llS4_PT12_llPT13_lli.private_seg_size, 0
	.set _ZN12_GLOBAL__N_127rocblas_gemm_batched_kernelI19rocblas_complex_numIdELi16ELi16ELi32ELi32ELi8ELi32ELi8ELi8ELi32ELc84ELc78EKS2_S3_S2_EEvlllT_PT11_llS6_llS4_PT12_llPT13_lli.uses_vcc, 1
	.set _ZN12_GLOBAL__N_127rocblas_gemm_batched_kernelI19rocblas_complex_numIdELi16ELi16ELi32ELi32ELi8ELi32ELi8ELi8ELi32ELc84ELc78EKS2_S3_S2_EEvlllT_PT11_llS6_llS4_PT12_llPT13_lli.uses_flat_scratch, 0
	.set _ZN12_GLOBAL__N_127rocblas_gemm_batched_kernelI19rocblas_complex_numIdELi16ELi16ELi32ELi32ELi8ELi32ELi8ELi8ELi32ELc84ELc78EKS2_S3_S2_EEvlllT_PT11_llS6_llS4_PT12_llPT13_lli.has_dyn_sized_stack, 0
	.set _ZN12_GLOBAL__N_127rocblas_gemm_batched_kernelI19rocblas_complex_numIdELi16ELi16ELi32ELi32ELi8ELi32ELi8ELi8ELi32ELc84ELc78EKS2_S3_S2_EEvlllT_PT11_llS6_llS4_PT12_llPT13_lli.has_recursion, 0
	.set _ZN12_GLOBAL__N_127rocblas_gemm_batched_kernelI19rocblas_complex_numIdELi16ELi16ELi32ELi32ELi8ELi32ELi8ELi8ELi32ELc84ELc78EKS2_S3_S2_EEvlllT_PT11_llS6_llS4_PT12_llPT13_lli.has_indirect_call, 0
	.section	.AMDGPU.csdata,"",@progbits
; Kernel info:
; codeLenInByte = 3572
; TotalNumSgprs: 54
; NumVgprs: 162
; ScratchSize: 0
; MemoryBound: 0
; FloatMode: 240
; IeeeMode: 1
; LDSByteSize: 8192 bytes/workgroup (compile time only)
; SGPRBlocks: 0
; VGPRBlocks: 20
; NumSGPRsForWavesPerEU: 54
; NumVGPRsForWavesPerEU: 162
; Occupancy: 5
; WaveLimiterHint : 1
; COMPUTE_PGM_RSRC2:SCRATCH_EN: 0
; COMPUTE_PGM_RSRC2:USER_SGPR: 6
; COMPUTE_PGM_RSRC2:TRAP_HANDLER: 0
; COMPUTE_PGM_RSRC2:TGID_X_EN: 1
; COMPUTE_PGM_RSRC2:TGID_Y_EN: 1
; COMPUTE_PGM_RSRC2:TGID_Z_EN: 1
; COMPUTE_PGM_RSRC2:TIDIG_COMP_CNT: 1
	.section	.text._ZN12_GLOBAL__N_127rocblas_gemm_batched_kernelI19rocblas_complex_numIdELi16ELi16ELi32ELi32ELi8ELi32ELi8ELi8ELi32ELc78ELc84EKS2_S3_S2_EEvlllT_PT11_llS6_llS4_PT12_llPT13_lli,"axG",@progbits,_ZN12_GLOBAL__N_127rocblas_gemm_batched_kernelI19rocblas_complex_numIdELi16ELi16ELi32ELi32ELi8ELi32ELi8ELi8ELi32ELc78ELc84EKS2_S3_S2_EEvlllT_PT11_llS6_llS4_PT12_llPT13_lli,comdat
	.globl	_ZN12_GLOBAL__N_127rocblas_gemm_batched_kernelI19rocblas_complex_numIdELi16ELi16ELi32ELi32ELi8ELi32ELi8ELi8ELi32ELc78ELc84EKS2_S3_S2_EEvlllT_PT11_llS6_llS4_PT12_llPT13_lli ; -- Begin function _ZN12_GLOBAL__N_127rocblas_gemm_batched_kernelI19rocblas_complex_numIdELi16ELi16ELi32ELi32ELi8ELi32ELi8ELi8ELi32ELc78ELc84EKS2_S3_S2_EEvlllT_PT11_llS6_llS4_PT12_llPT13_lli
	.p2align	8
	.type	_ZN12_GLOBAL__N_127rocblas_gemm_batched_kernelI19rocblas_complex_numIdELi16ELi16ELi32ELi32ELi8ELi32ELi8ELi8ELi32ELc78ELc84EKS2_S3_S2_EEvlllT_PT11_llS6_llS4_PT12_llPT13_lli,@function
_ZN12_GLOBAL__N_127rocblas_gemm_batched_kernelI19rocblas_complex_numIdELi16ELi16ELi32ELi32ELi8ELi32ELi8ELi8ELi32ELc78ELc84EKS2_S3_S2_EEvlllT_PT11_llS6_llS4_PT12_llPT13_lli: ; @_ZN12_GLOBAL__N_127rocblas_gemm_batched_kernelI19rocblas_complex_numIdELi16ELi16ELi32ELi32ELi8ELi32ELi8ELi8ELi32ELc78ELc84EKS2_S3_S2_EEvlllT_PT11_llS6_llS4_PT12_llPT13_lli
; %bb.0:
	s_clause 0x1
	s_load_dwordx16 s[12:27], s[4:5], 0x10
	s_load_dwordx16 s[36:51], s[4:5], 0x50
	s_mov_b32 s2, s7
	s_ashr_i32 s7, s6, 31
	s_ashr_i32 s3, s2, 31
	s_lshl_b64 s[0:1], s[6:7], 5
	s_lshl_b64 s[2:3], s[2:3], 5
	s_waitcnt lgkmcnt(0)
	v_cmp_lt_i64_e64 s9, s[12:13], 1
	s_and_b32 vcc_lo, exec_lo, s9
	s_cbranch_vccnz .LBB540_3
; %bb.1:
	v_lshl_add_u32 v8, v1, 4, v0
	v_and_b32_e32 v9, 7, v0
	s_mul_i32 s7, s23, s8
	s_mul_hi_u32 s9, s22, s8
	s_mul_i32 s10, s37, s8
	v_lshrrev_b32_e32 v11, 3, v8
	v_lshrrev_b32_e32 v10, 5, v8
	s_add_i32 s7, s9, s7
	s_mul_hi_u32 s11, s36, s8
	v_mov_b32_e32 v12, 0
	v_add_co_u32 v4, s6, v11, s2
	v_add_co_ci_u32_e64 v5, null, 0, s3, s6
	v_mad_u64_u32 v[2:3], null, s20, v10, s[0:1]
	s_mul_i32 s6, s22, s8
	v_mad_u64_u32 v[4:5], null, s26, v9, v[4:5]
	s_lshl_b64 s[6:7], s[6:7], 4
	v_mov_b32_e32 v16, 0
	s_add_u32 s6, s18, s6
	s_addc_u32 s7, s19, s7
	s_add_i32 s11, s11, s10
	s_mul_i32 s10, s36, s8
	v_mad_u64_u32 v[6:7], null, s21, v10, v[3:4]
	v_and_b32_e32 v7, 31, v8
	v_mov_b32_e32 v3, v5
	v_lshlrev_b32_e32 v8, 4, v9
	s_lshl_b64 s[10:11], s[10:11], 4
	v_mov_b32_e32 v14, 0
	v_add_co_u32 v5, vcc_lo, v2, v7
	v_mad_u64_u32 v[2:3], null, s27, v9, v[3:4]
	v_add_co_ci_u32_e64 v6, null, 0, v6, vcc_lo
	v_lshlrev_b32_e32 v3, 4, v7
	v_lshl_or_b32 v8, v11, 7, v8
	v_lshlrev_b32_e32 v22, 4, v0
	v_lshlrev_b64 v[6:7], 4, v[5:6]
	v_mov_b32_e32 v5, v2
	v_lshl_or_b32 v24, v10, 9, v3
	v_add_nc_u32_e32 v25, 0x1000, v8
	v_mov_b32_e32 v2, 0
	v_mov_b32_e32 v8, 0
	v_lshlrev_b64 v[20:21], 4, v[4:5]
	v_add_co_u32 v18, vcc_lo, s6, v6
	v_add_co_ci_u32_e64 v19, null, s7, v7, vcc_lo
	s_lshl_b64 s[6:7], s[20:21], 7
	s_add_u32 s9, s24, s10
	s_addc_u32 s10, s25, s11
	v_add_co_u32 v20, vcc_lo, s9, v20
	v_mov_b32_e32 v4, 0
	v_mov_b32_e32 v6, 0
	;; [unrolled: 1-line block ×3, first 2 shown]
	v_lshl_add_u32 v23, v1, 7, 0x1000
	v_mov_b32_e32 v5, 0
	v_mov_b32_e32 v3, 0
	;; [unrolled: 1-line block ×8, first 2 shown]
	v_add_co_ci_u32_e64 v21, null, s10, v21, vcc_lo
	s_lshl_b64 s[10:11], s[26:27], 7
	s_mov_b64 s[18:19], 0
.LBB540_2:                              ; =>This Inner Loop Header: Depth=1
	global_load_dwordx4 v[26:29], v[18:19], off
	global_load_dwordx4 v[30:33], v[20:21], off
	s_add_u32 s18, s18, 8
	s_addc_u32 s19, s19, 0
	v_add_co_u32 v18, vcc_lo, v18, s6
	v_cmp_lt_i64_e64 s9, s[18:19], s[12:13]
	v_add_co_ci_u32_e64 v19, null, s7, v19, vcc_lo
	v_add_co_u32 v20, vcc_lo, v20, s10
	v_add_co_ci_u32_e64 v21, null, s11, v21, vcc_lo
	s_and_b32 vcc_lo, exec_lo, s9
	s_waitcnt vmcnt(1)
	ds_write2_b64 v24, v[26:27], v[28:29] offset1:1
	s_waitcnt vmcnt(0)
	ds_write2_b64 v25, v[30:31], v[32:33] offset1:1
	s_waitcnt lgkmcnt(0)
	s_barrier
	buffer_gl0_inv
	ds_read_b128 v[26:29], v22
	ds_read_b128 v[30:33], v22 offset:256
	ds_read_b128 v[34:37], v23
	ds_read_b128 v[38:41], v23 offset:16
	ds_read_b128 v[42:45], v23 offset:2048
	;; [unrolled: 1-line block ×28, first 2 shown]
	s_waitcnt lgkmcnt(28)
	v_mul_f64 v[150:151], v[36:37], v[28:29]
	v_mul_f64 v[154:155], v[36:37], v[32:33]
	;; [unrolled: 1-line block ×4, first 2 shown]
	v_fma_f64 v[150:151], v[34:35], v[26:27], -v[150:151]
	v_fma_f64 v[34:35], v[34:35], v[30:31], -v[154:155]
	s_waitcnt lgkmcnt(26)
	v_mul_f64 v[154:155], v[44:45], v[28:29]
	v_mul_f64 v[28:29], v[42:43], v[28:29]
	v_fma_f64 v[152:153], v[36:37], v[26:27], v[152:153]
	v_fma_f64 v[36:37], v[36:37], v[30:31], v[156:157]
	v_add_f64 v[14:15], v[14:15], v[150:151]
	v_add_f64 v[10:11], v[10:11], v[34:35]
	v_fma_f64 v[154:155], v[42:43], v[26:27], -v[154:155]
	v_fma_f64 v[156:157], v[44:45], v[26:27], v[28:29]
	v_mul_f64 v[26:27], v[44:45], v[32:33]
	v_mul_f64 v[28:29], v[42:43], v[32:33]
	v_add_f64 v[16:17], v[152:153], v[16:17]
	v_add_f64 v[12:13], v[36:37], v[12:13]
	s_waitcnt lgkmcnt(16)
	v_mul_f64 v[34:35], v[64:65], v[84:85]
	v_mul_f64 v[36:37], v[62:63], v[84:85]
	s_waitcnt lgkmcnt(15)
	v_mul_f64 v[150:151], v[62:63], v[88:89]
	s_waitcnt lgkmcnt(12)
	v_mul_f64 v[152:153], v[98:99], v[96:97]
	v_add_f64 v[6:7], v[6:7], v[154:155]
	v_add_f64 v[8:9], v[156:157], v[8:9]
	v_fma_f64 v[32:33], v[42:43], v[30:31], -v[26:27]
	v_fma_f64 v[30:31], v[44:45], v[30:31], v[28:29]
	v_mul_f64 v[26:27], v[40:41], v[52:53]
	v_mul_f64 v[28:29], v[38:39], v[52:53]
	;; [unrolled: 1-line block ×4, first 2 shown]
	v_fma_f64 v[34:35], v[62:63], v[82:83], -v[34:35]
	v_fma_f64 v[36:37], v[64:65], v[82:83], v[36:37]
	v_add_f64 v[2:3], v[2:3], v[32:33]
	v_add_f64 v[4:5], v[30:31], v[4:5]
	v_fma_f64 v[158:159], v[38:39], v[50:51], -v[26:27]
	v_fma_f64 v[160:161], v[40:41], v[50:51], v[28:29]
	v_mul_f64 v[26:27], v[48:49], v[52:53]
	v_mul_f64 v[28:29], v[46:47], v[52:53]
	v_fma_f64 v[38:39], v[38:39], v[54:55], -v[42:43]
	v_fma_f64 v[40:41], v[40:41], v[54:55], v[44:45]
	v_mul_f64 v[52:53], v[58:59], v[72:73]
	v_mul_f64 v[30:31], v[80:81], v[84:85]
	;; [unrolled: 1-line block ×4, first 2 shown]
	v_add_f64 v[14:15], v[14:15], v[158:159]
	v_add_f64 v[16:17], v[160:161], v[16:17]
	v_fma_f64 v[42:43], v[46:47], v[50:51], -v[26:27]
	v_fma_f64 v[44:45], v[48:49], v[50:51], v[28:29]
	v_mul_f64 v[26:27], v[48:49], v[56:57]
	v_mul_f64 v[28:29], v[46:47], v[56:57]
	;; [unrolled: 1-line block ×3, first 2 shown]
	v_fma_f64 v[52:53], v[60:61], v[70:71], v[52:53]
	v_add_f64 v[10:11], v[10:11], v[38:39]
	v_add_f64 v[12:13], v[40:41], v[12:13]
	s_waitcnt lgkmcnt(10)
	v_mul_f64 v[38:39], v[108:109], v[92:93]
	v_mul_f64 v[40:41], v[106:107], v[92:93]
	v_fma_f64 v[30:31], v[78:79], v[82:83], -v[30:31]
	v_fma_f64 v[32:33], v[80:81], v[82:83], v[32:33]
	s_waitcnt lgkmcnt(8)
	v_mul_f64 v[82:83], v[112:113], v[116:117]
	v_add_f64 v[6:7], v[6:7], v[42:43]
	v_add_f64 v[8:9], v[44:45], v[8:9]
	v_fma_f64 v[46:47], v[46:47], v[54:55], -v[26:27]
	v_fma_f64 v[48:49], v[48:49], v[54:55], v[28:29]
	v_mul_f64 v[26:27], v[60:61], v[68:69]
	v_mul_f64 v[28:29], v[58:59], v[68:69]
	v_fma_f64 v[50:51], v[58:59], v[70:71], -v[50:51]
	v_mul_f64 v[42:43], v[108:109], v[96:97]
	v_mul_f64 v[44:45], v[106:107], v[96:97]
	v_add_f64 v[12:13], v[52:53], v[12:13]
	s_waitcnt lgkmcnt(7)
	v_mul_f64 v[52:53], v[110:111], v[120:121]
	v_fma_f64 v[38:39], v[106:107], v[90:91], -v[38:39]
	v_fma_f64 v[40:41], v[108:109], v[90:91], v[40:41]
	v_add_f64 v[2:3], v[2:3], v[46:47]
	v_add_f64 v[4:5], v[48:49], v[4:5]
	v_fma_f64 v[54:55], v[58:59], v[66:67], -v[26:27]
	v_fma_f64 v[56:57], v[60:61], v[66:67], v[28:29]
	v_mul_f64 v[26:27], v[76:77], v[68:69]
	v_mul_f64 v[28:29], v[74:75], v[68:69]
	;; [unrolled: 1-line block ×3, first 2 shown]
	v_add_f64 v[10:11], v[10:11], v[50:51]
	v_mul_f64 v[46:47], v[104:105], v[116:117]
	v_mul_f64 v[48:49], v[102:103], v[116:117]
	;; [unrolled: 1-line block ×3, first 2 shown]
	v_fma_f64 v[42:43], v[106:107], v[94:95], -v[42:43]
	v_fma_f64 v[44:45], v[108:109], v[94:95], v[44:45]
	v_fma_f64 v[52:53], v[112:113], v[118:119], v[52:53]
	v_add_f64 v[14:15], v[14:15], v[54:55]
	v_add_f64 v[16:17], v[56:57], v[16:17]
	v_fma_f64 v[58:59], v[74:75], v[66:67], -v[26:27]
	v_fma_f64 v[60:61], v[76:77], v[66:67], v[28:29]
	v_mul_f64 v[66:67], v[76:77], v[72:73]
	v_mul_f64 v[72:73], v[64:65], v[88:89]
	v_fma_f64 v[68:69], v[76:77], v[70:71], v[68:69]
	v_mul_f64 v[76:77], v[100:101], v[92:93]
	v_fma_f64 v[64:65], v[64:65], v[86:87], v[150:151]
	v_mul_f64 v[92:93], v[102:103], v[120:121]
	s_waitcnt lgkmcnt(4)
	v_mul_f64 v[54:55], v[132:133], v[124:125]
	v_mul_f64 v[56:57], v[130:131], v[124:125]
	v_fma_f64 v[46:47], v[102:103], v[114:115], -v[46:47]
	v_fma_f64 v[48:49], v[104:105], v[114:115], v[48:49]
	v_fma_f64 v[50:51], v[110:111], v[118:119], -v[50:51]
	ds_read_b128 v[26:29], v22 offset:3840
	s_waitcnt lgkmcnt(0)
	s_barrier
	buffer_gl0_inv
	v_add_f64 v[14:15], v[14:15], v[34:35]
	v_add_f64 v[16:17], v[36:37], v[16:17]
	;; [unrolled: 1-line block ×4, first 2 shown]
	v_fma_f64 v[66:67], v[74:75], v[70:71], -v[66:67]
	v_mul_f64 v[70:71], v[80:81], v[88:89]
	v_mul_f64 v[74:75], v[78:79], v[88:89]
	;; [unrolled: 1-line block ×3, first 2 shown]
	v_fma_f64 v[62:63], v[62:63], v[86:87], -v[72:73]
	v_add_f64 v[4:5], v[68:69], v[4:5]
	v_mul_f64 v[72:73], v[104:105], v[120:121]
	v_mul_f64 v[96:97], v[110:111], v[116:117]
	v_fma_f64 v[68:69], v[100:101], v[90:91], v[84:85]
	v_add_f64 v[12:13], v[64:65], v[12:13]
	v_mul_f64 v[58:59], v[132:133], v[128:129]
	v_mul_f64 v[60:61], v[130:131], v[128:129]
	;; [unrolled: 1-line block ×5, first 2 shown]
	v_fma_f64 v[54:55], v[130:131], v[122:123], -v[54:55]
	v_fma_f64 v[56:57], v[132:133], v[122:123], v[56:57]
	v_add_f64 v[6:7], v[6:7], v[30:31]
	v_add_f64 v[8:9], v[32:33], v[8:9]
	;; [unrolled: 1-line block ×3, first 2 shown]
	v_fma_f64 v[70:71], v[78:79], v[86:87], -v[70:71]
	v_fma_f64 v[74:75], v[80:81], v[86:87], v[74:75]
	v_fma_f64 v[66:67], v[98:99], v[90:91], -v[76:77]
	v_fma_f64 v[76:77], v[98:99], v[94:95], -v[88:89]
	v_fma_f64 v[78:79], v[100:101], v[94:95], v[152:153]
	v_add_f64 v[10:11], v[10:11], v[62:63]
	v_mul_f64 v[30:31], v[140:141], v[124:125]
	v_mul_f64 v[32:33], v[138:139], v[124:125]
	v_fma_f64 v[80:81], v[112:113], v[114:115], v[96:97]
	v_add_f64 v[16:17], v[68:69], v[16:17]
	v_mul_f64 v[62:63], v[136:137], v[148:149]
	v_fma_f64 v[58:59], v[130:131], v[126:127], -v[58:59]
	v_fma_f64 v[60:61], v[132:133], v[126:127], v[60:61]
	v_fma_f64 v[34:35], v[138:139], v[126:127], -v[34:35]
	v_fma_f64 v[36:37], v[140:141], v[126:127], v[36:37]
	v_add_f64 v[6:7], v[6:7], v[38:39]
	v_add_f64 v[8:9], v[40:41], v[8:9]
	v_mul_f64 v[38:39], v[136:137], v[28:29]
	v_add_f64 v[2:3], v[2:3], v[70:71]
	v_add_f64 v[4:5], v[74:75], v[4:5]
	v_fma_f64 v[70:71], v[102:103], v[118:119], -v[72:73]
	v_fma_f64 v[72:73], v[104:105], v[118:119], v[92:93]
	v_fma_f64 v[74:75], v[110:111], v[114:115], -v[82:83]
	v_add_f64 v[14:15], v[14:15], v[66:67]
	v_add_f64 v[10:11], v[10:11], v[76:77]
	;; [unrolled: 1-line block ×3, first 2 shown]
	v_mul_f64 v[40:41], v[134:135], v[28:29]
	v_mul_f64 v[66:67], v[144:145], v[28:29]
	;; [unrolled: 1-line block ×3, first 2 shown]
	v_fma_f64 v[30:31], v[138:139], v[122:123], -v[30:31]
	v_fma_f64 v[32:33], v[140:141], v[122:123], v[32:33]
	v_add_f64 v[16:17], v[48:49], v[16:17]
	v_fma_f64 v[48:49], v[136:137], v[146:147], v[64:65]
	v_add_f64 v[8:9], v[80:81], v[8:9]
	v_fma_f64 v[38:39], v[134:135], v[26:27], -v[38:39]
	v_add_f64 v[2:3], v[2:3], v[42:43]
	v_add_f64 v[4:5], v[44:45], v[4:5]
	v_mul_f64 v[42:43], v[144:145], v[148:149]
	v_mul_f64 v[44:45], v[142:143], v[148:149]
	v_add_f64 v[6:7], v[6:7], v[74:75]
	v_add_f64 v[14:15], v[14:15], v[46:47]
	;; [unrolled: 1-line block ×4, first 2 shown]
	v_fma_f64 v[46:47], v[134:135], v[146:147], -v[62:63]
	v_fma_f64 v[40:41], v[136:137], v[26:27], v[40:41]
	v_add_f64 v[16:17], v[56:57], v[16:17]
	v_add_f64 v[8:9], v[32:33], v[8:9]
	;; [unrolled: 1-line block ×4, first 2 shown]
	v_fma_f64 v[42:43], v[142:143], v[146:147], -v[42:43]
	v_fma_f64 v[44:45], v[144:145], v[146:147], v[44:45]
	v_fma_f64 v[50:51], v[142:143], v[26:27], -v[66:67]
	v_fma_f64 v[26:27], v[144:145], v[26:27], v[28:29]
	v_add_f64 v[14:15], v[14:15], v[54:55]
	v_add_f64 v[10:11], v[10:11], v[58:59]
	;; [unrolled: 1-line block ×14, first 2 shown]
	s_cbranch_vccnz .LBB540_2
	s_branch .LBB540_4
.LBB540_3:
	v_mov_b32_e32 v14, 0
	v_mov_b32_e32 v16, 0
	;; [unrolled: 1-line block ×16, first 2 shown]
.LBB540_4:
	s_load_dwordx2 s[4:5], s[4:5], 0x90
	v_cmp_neq_f64_e64 s6, s[38:39], 0
	v_cmp_neq_f64_e64 s7, s[40:41], 0
	v_add_co_u32 v22, s2, s2, v1
	v_add_co_u32 v0, s0, s0, v0
	v_add_co_ci_u32_e64 v23, null, s3, 0, s2
	v_add_co_ci_u32_e64 v1, null, s1, 0, s0
	s_waitcnt lgkmcnt(0)
	s_mul_i32 s5, s5, s8
	s_mul_hi_u32 s9, s4, s8
	s_mul_i32 s4, s4, s8
	s_add_i32 s5, s9, s5
	s_lshl_b64 s[4:5], s[4:5], 4
	s_add_u32 s2, s48, s4
	s_addc_u32 s3, s49, s5
	s_or_b32 s4, s6, s7
	s_and_b32 vcc_lo, exec_lo, s4
	s_cbranch_vccnz .LBB540_6
; %bb.5:
	v_mul_f64 v[20:21], s[16:17], v[16:17]
	v_mul_f64 v[26:27], s[14:15], v[16:17]
	v_mul_f64 v[36:37], s[16:17], v[4:5]
	v_mul_f64 v[38:39], s[14:15], v[4:5]
	v_mul_lo_u32 v24, v23, s50
	v_mul_lo_u32 v25, v22, s51
	v_mad_u64_u32 v[18:19], null, v22, s50, 0
	v_mul_f64 v[28:29], s[16:17], v[12:13]
	v_mul_f64 v[30:31], s[14:15], v[12:13]
	;; [unrolled: 1-line block ×4, first 2 shown]
	s_lshl_b64 s[0:1], s[50:51], 8
	v_lshlrev_b64 v[40:41], 4, v[0:1]
	v_add3_u32 v19, v19, v25, v24
	v_lshlrev_b64 v[18:19], 4, v[18:19]
	v_fma_f64 v[24:25], s[14:15], v[14:15], -v[20:21]
	v_fma_f64 v[26:27], s[16:17], v[14:15], v[26:27]
	v_fma_f64 v[36:37], s[14:15], v[2:3], -v[36:37]
	v_add_co_u32 v42, vcc_lo, s2, v18
	v_add_co_ci_u32_e64 v43, null, s3, v19, vcc_lo
	v_fma_f64 v[18:19], s[16:17], v[2:3], v[38:39]
	v_fma_f64 v[28:29], s[14:15], v[10:11], -v[28:29]
	v_fma_f64 v[30:31], s[16:17], v[10:11], v[30:31]
	v_fma_f64 v[32:33], s[14:15], v[6:7], -v[32:33]
	v_fma_f64 v[34:35], s[16:17], v[6:7], v[34:35]
	v_add_co_u32 v20, vcc_lo, v42, s0
	v_add_co_ci_u32_e64 v21, null, s1, v43, vcc_lo
	v_add_co_u32 v38, vcc_lo, v20, v40
	v_add_co_ci_u32_e64 v39, null, v21, v41, vcc_lo
	v_add_co_u32 v40, vcc_lo, v42, v40
	v_add_co_ci_u32_e64 v41, null, v43, v41, vcc_lo
	v_add_co_u32 v20, vcc_lo, 0x100, v38
	v_add_co_ci_u32_e64 v21, null, 0, v39, vcc_lo
	global_store_dwordx4 v[40:41], v[24:27], off
	global_store_dwordx4 v[40:41], v[28:31], off offset:256
	global_store_dwordx4 v[38:39], v[32:35], off
	global_store_dwordx2 v[38:39], v[36:37], off offset:256
	s_cbranch_execz .LBB540_7
	s_branch .LBB540_8
.LBB540_6:
                                        ; implicit-def: $vgpr18_vgpr19
                                        ; implicit-def: $vgpr20_vgpr21
.LBB540_7:
	v_mul_lo_u32 v20, v23, s44
	v_mul_lo_u32 v21, v22, s45
	v_mad_u64_u32 v[18:19], null, v22, s44, 0
	s_mul_i32 s1, s47, s8
	s_mul_hi_u32 s4, s46, s8
	s_mul_i32 s0, s46, s8
	s_add_i32 s1, s4, s1
	v_lshlrev_b64 v[0:1], 4, v[0:1]
	s_lshl_b64 s[0:1], s[0:1], 4
	v_add3_u32 v19, v19, v21, v20
	s_add_u32 s0, s42, s0
	s_addc_u32 s1, s43, s1
	v_mul_f64 v[26:27], s[16:17], v[16:17]
	v_mul_f64 v[16:17], s[14:15], v[16:17]
	v_lshlrev_b64 v[18:19], 4, v[18:19]
	v_mul_lo_u32 v23, v23, s50
	v_add_co_u32 v30, vcc_lo, s0, v18
	v_add_co_ci_u32_e64 v31, null, s1, v19, vcc_lo
	s_lshl_b64 s[0:1], s[44:45], 8
	v_add_co_u32 v24, vcc_lo, v30, v0
	v_add_co_ci_u32_e64 v25, null, v31, v1, vcc_lo
	global_load_dwordx4 v[18:21], v[24:25], off
	v_fma_f64 v[26:27], s[14:15], v[14:15], -v[26:27]
	v_fma_f64 v[16:17], s[16:17], v[14:15], v[16:17]
	s_waitcnt vmcnt(0)
	v_mul_f64 v[28:29], s[40:41], v[20:21]
	v_mul_f64 v[20:21], s[38:39], v[20:21]
	v_fma_f64 v[14:15], s[38:39], v[18:19], -v[28:29]
	v_fma_f64 v[18:19], s[40:41], v[18:19], v[20:21]
	v_mul_lo_u32 v28, v22, s51
	v_mad_u64_u32 v[20:21], null, v22, s50, 0
	v_add3_u32 v21, v21, v28, v23
	v_add_f64 v[14:15], v[26:27], v[14:15]
	v_add_f64 v[16:17], v[16:17], v[18:19]
	v_lshlrev_b64 v[18:19], 4, v[20:21]
	v_mul_f64 v[20:21], s[16:17], v[12:13]
	v_mul_f64 v[12:13], s[14:15], v[12:13]
	v_add_co_u32 v26, vcc_lo, s2, v18
	v_add_co_ci_u32_e64 v27, null, s3, v19, vcc_lo
	v_add_co_u32 v18, vcc_lo, v26, v0
	v_add_co_ci_u32_e64 v19, null, v27, v1, vcc_lo
	global_store_dwordx4 v[18:19], v[14:17], off
	global_load_dwordx4 v[14:17], v[24:25], off offset:256
	v_fma_f64 v[20:21], s[14:15], v[10:11], -v[20:21]
	v_fma_f64 v[12:13], s[16:17], v[10:11], v[12:13]
	s_waitcnt vmcnt(0)
	v_mul_f64 v[22:23], s[40:41], v[16:17]
	v_mul_f64 v[16:17], s[38:39], v[16:17]
	v_fma_f64 v[10:11], s[38:39], v[14:15], -v[22:23]
	v_fma_f64 v[14:15], s[40:41], v[14:15], v[16:17]
	v_mul_f64 v[16:17], s[16:17], v[8:9]
	v_mul_f64 v[8:9], s[14:15], v[8:9]
	v_add_f64 v[10:11], v[20:21], v[10:11]
	v_add_f64 v[12:13], v[12:13], v[14:15]
	v_add_co_u32 v14, vcc_lo, v30, s0
	v_add_co_ci_u32_e64 v15, null, s1, v31, vcc_lo
	v_fma_f64 v[16:17], s[14:15], v[6:7], -v[16:17]
	v_add_co_u32 v14, vcc_lo, v14, v0
	v_add_co_ci_u32_e64 v15, null, v15, v1, vcc_lo
	v_fma_f64 v[8:9], s[16:17], v[6:7], v[8:9]
	s_lshl_b64 s[0:1], s[50:51], 8
	global_store_dwordx4 v[18:19], v[10:13], off offset:256
	global_load_dwordx4 v[10:13], v[14:15], off
	s_waitcnt vmcnt(0)
	v_mul_f64 v[18:19], s[40:41], v[12:13]
	v_mul_f64 v[12:13], s[38:39], v[12:13]
	v_fma_f64 v[6:7], s[38:39], v[10:11], -v[18:19]
	v_fma_f64 v[10:11], s[40:41], v[10:11], v[12:13]
	v_add_f64 v[6:7], v[16:17], v[6:7]
	v_add_f64 v[8:9], v[8:9], v[10:11]
	v_add_co_u32 v10, vcc_lo, v26, s0
	v_add_co_ci_u32_e64 v11, null, s1, v27, vcc_lo
	v_add_co_u32 v0, vcc_lo, v10, v0
	v_add_co_ci_u32_e64 v1, null, v11, v1, vcc_lo
	v_mul_f64 v[10:11], s[16:17], v[4:5]
	v_mul_f64 v[4:5], s[14:15], v[4:5]
	v_add_co_u32 v20, vcc_lo, 0x100, v0
	v_add_co_ci_u32_e64 v21, null, 0, v1, vcc_lo
	global_store_dwordx4 v[0:1], v[6:9], off
	global_load_dwordx4 v[6:9], v[14:15], off offset:256
	v_fma_f64 v[10:11], s[14:15], v[2:3], -v[10:11]
	v_fma_f64 v[2:3], s[16:17], v[2:3], v[4:5]
	s_waitcnt vmcnt(0)
	v_mul_f64 v[12:13], s[40:41], v[8:9]
	v_mul_f64 v[8:9], s[38:39], v[8:9]
	v_fma_f64 v[4:5], s[38:39], v[6:7], -v[12:13]
	v_fma_f64 v[6:7], s[40:41], v[6:7], v[8:9]
	v_add_f64 v[4:5], v[10:11], v[4:5]
	v_add_f64 v[18:19], v[2:3], v[6:7]
	global_store_dwordx2 v[0:1], v[4:5], off offset:256
.LBB540_8:
	global_store_dwordx2 v[20:21], v[18:19], off offset:8
	s_endpgm
	.section	.rodata,"a",@progbits
	.p2align	6, 0x0
	.amdhsa_kernel _ZN12_GLOBAL__N_127rocblas_gemm_batched_kernelI19rocblas_complex_numIdELi16ELi16ELi32ELi32ELi8ELi32ELi8ELi8ELi32ELc78ELc84EKS2_S3_S2_EEvlllT_PT11_llS6_llS4_PT12_llPT13_lli
		.amdhsa_group_segment_fixed_size 8192
		.amdhsa_private_segment_fixed_size 0
		.amdhsa_kernarg_size 156
		.amdhsa_user_sgpr_count 6
		.amdhsa_user_sgpr_private_segment_buffer 1
		.amdhsa_user_sgpr_dispatch_ptr 0
		.amdhsa_user_sgpr_queue_ptr 0
		.amdhsa_user_sgpr_kernarg_segment_ptr 1
		.amdhsa_user_sgpr_dispatch_id 0
		.amdhsa_user_sgpr_flat_scratch_init 0
		.amdhsa_user_sgpr_private_segment_size 0
		.amdhsa_wavefront_size32 1
		.amdhsa_uses_dynamic_stack 0
		.amdhsa_system_sgpr_private_segment_wavefront_offset 0
		.amdhsa_system_sgpr_workgroup_id_x 1
		.amdhsa_system_sgpr_workgroup_id_y 1
		.amdhsa_system_sgpr_workgroup_id_z 1
		.amdhsa_system_sgpr_workgroup_info 0
		.amdhsa_system_vgpr_workitem_id 1
		.amdhsa_next_free_vgpr 162
		.amdhsa_next_free_sgpr 52
		.amdhsa_reserve_vcc 1
		.amdhsa_reserve_flat_scratch 0
		.amdhsa_float_round_mode_32 0
		.amdhsa_float_round_mode_16_64 0
		.amdhsa_float_denorm_mode_32 3
		.amdhsa_float_denorm_mode_16_64 3
		.amdhsa_dx10_clamp 1
		.amdhsa_ieee_mode 1
		.amdhsa_fp16_overflow 0
		.amdhsa_workgroup_processor_mode 1
		.amdhsa_memory_ordered 1
		.amdhsa_forward_progress 1
		.amdhsa_shared_vgpr_count 0
		.amdhsa_exception_fp_ieee_invalid_op 0
		.amdhsa_exception_fp_denorm_src 0
		.amdhsa_exception_fp_ieee_div_zero 0
		.amdhsa_exception_fp_ieee_overflow 0
		.amdhsa_exception_fp_ieee_underflow 0
		.amdhsa_exception_fp_ieee_inexact 0
		.amdhsa_exception_int_div_zero 0
	.end_amdhsa_kernel
	.section	.text._ZN12_GLOBAL__N_127rocblas_gemm_batched_kernelI19rocblas_complex_numIdELi16ELi16ELi32ELi32ELi8ELi32ELi8ELi8ELi32ELc78ELc84EKS2_S3_S2_EEvlllT_PT11_llS6_llS4_PT12_llPT13_lli,"axG",@progbits,_ZN12_GLOBAL__N_127rocblas_gemm_batched_kernelI19rocblas_complex_numIdELi16ELi16ELi32ELi32ELi8ELi32ELi8ELi8ELi32ELc78ELc84EKS2_S3_S2_EEvlllT_PT11_llS6_llS4_PT12_llPT13_lli,comdat
.Lfunc_end540:
	.size	_ZN12_GLOBAL__N_127rocblas_gemm_batched_kernelI19rocblas_complex_numIdELi16ELi16ELi32ELi32ELi8ELi32ELi8ELi8ELi32ELc78ELc84EKS2_S3_S2_EEvlllT_PT11_llS6_llS4_PT12_llPT13_lli, .Lfunc_end540-_ZN12_GLOBAL__N_127rocblas_gemm_batched_kernelI19rocblas_complex_numIdELi16ELi16ELi32ELi32ELi8ELi32ELi8ELi8ELi32ELc78ELc84EKS2_S3_S2_EEvlllT_PT11_llS6_llS4_PT12_llPT13_lli
                                        ; -- End function
	.set _ZN12_GLOBAL__N_127rocblas_gemm_batched_kernelI19rocblas_complex_numIdELi16ELi16ELi32ELi32ELi8ELi32ELi8ELi8ELi32ELc78ELc84EKS2_S3_S2_EEvlllT_PT11_llS6_llS4_PT12_llPT13_lli.num_vgpr, 162
	.set _ZN12_GLOBAL__N_127rocblas_gemm_batched_kernelI19rocblas_complex_numIdELi16ELi16ELi32ELi32ELi8ELi32ELi8ELi8ELi32ELc78ELc84EKS2_S3_S2_EEvlllT_PT11_llS6_llS4_PT12_llPT13_lli.num_agpr, 0
	.set _ZN12_GLOBAL__N_127rocblas_gemm_batched_kernelI19rocblas_complex_numIdELi16ELi16ELi32ELi32ELi8ELi32ELi8ELi8ELi32ELc78ELc84EKS2_S3_S2_EEvlllT_PT11_llS6_llS4_PT12_llPT13_lli.numbered_sgpr, 52
	.set _ZN12_GLOBAL__N_127rocblas_gemm_batched_kernelI19rocblas_complex_numIdELi16ELi16ELi32ELi32ELi8ELi32ELi8ELi8ELi32ELc78ELc84EKS2_S3_S2_EEvlllT_PT11_llS6_llS4_PT12_llPT13_lli.num_named_barrier, 0
	.set _ZN12_GLOBAL__N_127rocblas_gemm_batched_kernelI19rocblas_complex_numIdELi16ELi16ELi32ELi32ELi8ELi32ELi8ELi8ELi32ELc78ELc84EKS2_S3_S2_EEvlllT_PT11_llS6_llS4_PT12_llPT13_lli.private_seg_size, 0
	.set _ZN12_GLOBAL__N_127rocblas_gemm_batched_kernelI19rocblas_complex_numIdELi16ELi16ELi32ELi32ELi8ELi32ELi8ELi8ELi32ELc78ELc84EKS2_S3_S2_EEvlllT_PT11_llS6_llS4_PT12_llPT13_lli.uses_vcc, 1
	.set _ZN12_GLOBAL__N_127rocblas_gemm_batched_kernelI19rocblas_complex_numIdELi16ELi16ELi32ELi32ELi8ELi32ELi8ELi8ELi32ELc78ELc84EKS2_S3_S2_EEvlllT_PT11_llS6_llS4_PT12_llPT13_lli.uses_flat_scratch, 0
	.set _ZN12_GLOBAL__N_127rocblas_gemm_batched_kernelI19rocblas_complex_numIdELi16ELi16ELi32ELi32ELi8ELi32ELi8ELi8ELi32ELc78ELc84EKS2_S3_S2_EEvlllT_PT11_llS6_llS4_PT12_llPT13_lli.has_dyn_sized_stack, 0
	.set _ZN12_GLOBAL__N_127rocblas_gemm_batched_kernelI19rocblas_complex_numIdELi16ELi16ELi32ELi32ELi8ELi32ELi8ELi8ELi32ELc78ELc84EKS2_S3_S2_EEvlllT_PT11_llS6_llS4_PT12_llPT13_lli.has_recursion, 0
	.set _ZN12_GLOBAL__N_127rocblas_gemm_batched_kernelI19rocblas_complex_numIdELi16ELi16ELi32ELi32ELi8ELi32ELi8ELi8ELi32ELc78ELc84EKS2_S3_S2_EEvlllT_PT11_llS6_llS4_PT12_llPT13_lli.has_indirect_call, 0
	.section	.AMDGPU.csdata,"",@progbits
; Kernel info:
; codeLenInByte = 3496
; TotalNumSgprs: 54
; NumVgprs: 162
; ScratchSize: 0
; MemoryBound: 0
; FloatMode: 240
; IeeeMode: 1
; LDSByteSize: 8192 bytes/workgroup (compile time only)
; SGPRBlocks: 0
; VGPRBlocks: 20
; NumSGPRsForWavesPerEU: 54
; NumVGPRsForWavesPerEU: 162
; Occupancy: 5
; WaveLimiterHint : 1
; COMPUTE_PGM_RSRC2:SCRATCH_EN: 0
; COMPUTE_PGM_RSRC2:USER_SGPR: 6
; COMPUTE_PGM_RSRC2:TRAP_HANDLER: 0
; COMPUTE_PGM_RSRC2:TGID_X_EN: 1
; COMPUTE_PGM_RSRC2:TGID_Y_EN: 1
; COMPUTE_PGM_RSRC2:TGID_Z_EN: 1
; COMPUTE_PGM_RSRC2:TIDIG_COMP_CNT: 1
	.section	.text._ZN12_GLOBAL__N_127rocblas_gemm_batched_kernelI19rocblas_complex_numIdELi16ELi16ELi32ELi32ELi8ELi32ELi8ELi8ELi32ELc84ELc84EKS2_S3_S2_EEvlllT_PT11_llS6_llS4_PT12_llPT13_lli,"axG",@progbits,_ZN12_GLOBAL__N_127rocblas_gemm_batched_kernelI19rocblas_complex_numIdELi16ELi16ELi32ELi32ELi8ELi32ELi8ELi8ELi32ELc84ELc84EKS2_S3_S2_EEvlllT_PT11_llS6_llS4_PT12_llPT13_lli,comdat
	.globl	_ZN12_GLOBAL__N_127rocblas_gemm_batched_kernelI19rocblas_complex_numIdELi16ELi16ELi32ELi32ELi8ELi32ELi8ELi8ELi32ELc84ELc84EKS2_S3_S2_EEvlllT_PT11_llS6_llS4_PT12_llPT13_lli ; -- Begin function _ZN12_GLOBAL__N_127rocblas_gemm_batched_kernelI19rocblas_complex_numIdELi16ELi16ELi32ELi32ELi8ELi32ELi8ELi8ELi32ELc84ELc84EKS2_S3_S2_EEvlllT_PT11_llS6_llS4_PT12_llPT13_lli
	.p2align	8
	.type	_ZN12_GLOBAL__N_127rocblas_gemm_batched_kernelI19rocblas_complex_numIdELi16ELi16ELi32ELi32ELi8ELi32ELi8ELi8ELi32ELc84ELc84EKS2_S3_S2_EEvlllT_PT11_llS6_llS4_PT12_llPT13_lli,@function
_ZN12_GLOBAL__N_127rocblas_gemm_batched_kernelI19rocblas_complex_numIdELi16ELi16ELi32ELi32ELi8ELi32ELi8ELi8ELi32ELc84ELc84EKS2_S3_S2_EEvlllT_PT11_llS6_llS4_PT12_llPT13_lli: ; @_ZN12_GLOBAL__N_127rocblas_gemm_batched_kernelI19rocblas_complex_numIdELi16ELi16ELi32ELi32ELi8ELi32ELi8ELi8ELi32ELc84ELc84EKS2_S3_S2_EEvlllT_PT11_llS6_llS4_PT12_llPT13_lli
; %bb.0:
	s_clause 0x1
	s_load_dwordx16 s[12:27], s[4:5], 0x10
	s_load_dwordx16 s[36:51], s[4:5], 0x50
	s_mov_b32 s2, s7
	s_ashr_i32 s7, s6, 31
	s_ashr_i32 s3, s2, 31
	s_lshl_b64 s[0:1], s[6:7], 5
	s_lshl_b64 s[2:3], s[2:3], 5
	s_waitcnt lgkmcnt(0)
	v_cmp_lt_i64_e64 s9, s[12:13], 1
	s_and_b32 vcc_lo, exec_lo, s9
	s_cbranch_vccnz .LBB541_3
; %bb.1:
	v_lshl_add_u32 v6, v1, 4, v0
	v_and_b32_e32 v7, 7, v0
	s_mul_i32 s7, s23, s8
	s_mul_hi_u32 s9, s22, s8
	v_mov_b32_e32 v16, 0
	v_lshrrev_b32_e32 v8, 3, v6
	v_and_b32_e32 v9, 31, v6
	v_lshrrev_b32_e32 v12, 5, v6
	v_lshlrev_b32_e32 v13, 4, v7
	s_add_i32 s7, s9, s7
	v_add_co_u32 v2, s6, v8, s2
	v_add_co_ci_u32_e64 v3, null, 0, s3, s6
	v_add_co_u32 v4, s6, s0, v9
	v_add_co_ci_u32_e64 v5, null, s1, 0, s6
	v_mad_u64_u32 v[2:3], null, s26, v7, v[2:3]
	v_mul_lo_u32 v10, s21, v4
	v_mul_lo_u32 v11, s20, v5
	v_mad_u64_u32 v[4:5], null, s20, v4, 0
	s_mul_i32 s6, s22, s8
	v_mov_b32_e32 v14, 0
	s_lshl_b64 s[6:7], s[6:7], 4
	v_lshlrev_b32_e32 v22, 4, v0
	v_lshl_add_u32 v23, v1, 7, 0x1000
	v_mov_b32_e32 v17, 0
	v_add3_u32 v5, v5, v11, v10
	v_mad_u64_u32 v[6:7], null, s27, v7, v[3:4]
	v_lshlrev_b32_e32 v3, 4, v9
	v_lshl_or_b32 v7, v8, 7, v13
	v_lshlrev_b64 v[4:5], 4, v[4:5]
	v_mov_b32_e32 v8, 0
	v_mov_b32_e32 v10, 0
	v_lshl_or_b32 v24, v12, 9, v3
	v_mov_b32_e32 v3, v6
	v_lshlrev_b32_e32 v6, 4, v12
	v_add_co_u32 v4, vcc_lo, v4, s6
	v_add_co_ci_u32_e64 v5, null, s7, v5, vcc_lo
	s_mul_i32 s6, s37, s8
	s_mul_hi_u32 s7, s36, s8
	v_add_co_u32 v4, vcc_lo, v4, v6
	s_add_i32 s7, s7, s6
	s_mul_i32 s6, s36, s8
	v_lshlrev_b64 v[20:21], 4, v[2:3]
	v_add_co_ci_u32_e64 v5, null, 0, v5, vcc_lo
	s_lshl_b64 s[6:7], s[6:7], 4
	v_add_co_u32 v18, vcc_lo, s18, v4
	s_add_u32 s6, s24, s6
	v_add_co_ci_u32_e64 v19, null, s19, v5, vcc_lo
	s_addc_u32 s7, s25, s7
	v_add_co_u32 v20, vcc_lo, s6, v20
	v_add_nc_u32_e32 v25, 0x1000, v7
	v_mov_b32_e32 v4, 0
	v_mov_b32_e32 v2, 0
	;; [unrolled: 1-line block ×11, first 2 shown]
	v_add_co_ci_u32_e64 v21, null, s7, v21, vcc_lo
	s_lshl_b64 s[6:7], s[26:27], 7
	s_mov_b64 s[10:11], 0
.LBB541_2:                              ; =>This Inner Loop Header: Depth=1
	global_load_dwordx4 v[26:29], v[18:19], off
	global_load_dwordx4 v[30:33], v[20:21], off
	s_add_u32 s10, s10, 8
	s_addc_u32 s11, s11, 0
	v_add_co_u32 v18, vcc_lo, 0x80, v18
	v_cmp_lt_i64_e64 s9, s[10:11], s[12:13]
	v_add_co_ci_u32_e64 v19, null, 0, v19, vcc_lo
	v_add_co_u32 v20, vcc_lo, v20, s6
	v_add_co_ci_u32_e64 v21, null, s7, v21, vcc_lo
	s_and_b32 vcc_lo, exec_lo, s9
	s_waitcnt vmcnt(1)
	ds_write2_b64 v24, v[26:27], v[28:29] offset1:1
	s_waitcnt vmcnt(0)
	ds_write2_b64 v25, v[30:31], v[32:33] offset1:1
	s_waitcnt lgkmcnt(0)
	s_barrier
	buffer_gl0_inv
	ds_read_b128 v[26:29], v22
	ds_read_b128 v[30:33], v22 offset:256
	ds_read_b128 v[34:37], v23
	ds_read_b128 v[38:41], v23 offset:16
	ds_read_b128 v[42:45], v23 offset:2048
	;; [unrolled: 1-line block ×28, first 2 shown]
	s_waitcnt lgkmcnt(28)
	v_mul_f64 v[150:151], v[36:37], v[28:29]
	v_mul_f64 v[154:155], v[36:37], v[32:33]
	;; [unrolled: 1-line block ×4, first 2 shown]
	v_fma_f64 v[150:151], v[34:35], v[26:27], -v[150:151]
	v_fma_f64 v[34:35], v[34:35], v[30:31], -v[154:155]
	s_waitcnt lgkmcnt(26)
	v_mul_f64 v[154:155], v[44:45], v[28:29]
	v_mul_f64 v[28:29], v[42:43], v[28:29]
	v_fma_f64 v[152:153], v[36:37], v[26:27], v[152:153]
	v_fma_f64 v[36:37], v[36:37], v[30:31], v[156:157]
	v_add_f64 v[14:15], v[14:15], v[150:151]
	v_add_f64 v[10:11], v[10:11], v[34:35]
	v_fma_f64 v[154:155], v[42:43], v[26:27], -v[154:155]
	v_fma_f64 v[156:157], v[44:45], v[26:27], v[28:29]
	v_mul_f64 v[26:27], v[44:45], v[32:33]
	v_mul_f64 v[28:29], v[42:43], v[32:33]
	v_add_f64 v[16:17], v[152:153], v[16:17]
	v_add_f64 v[12:13], v[36:37], v[12:13]
	s_waitcnt lgkmcnt(16)
	v_mul_f64 v[34:35], v[64:65], v[84:85]
	v_mul_f64 v[36:37], v[62:63], v[84:85]
	s_waitcnt lgkmcnt(15)
	v_mul_f64 v[150:151], v[62:63], v[88:89]
	s_waitcnt lgkmcnt(12)
	v_mul_f64 v[152:153], v[98:99], v[96:97]
	v_add_f64 v[6:7], v[6:7], v[154:155]
	v_add_f64 v[8:9], v[156:157], v[8:9]
	v_fma_f64 v[32:33], v[42:43], v[30:31], -v[26:27]
	v_fma_f64 v[30:31], v[44:45], v[30:31], v[28:29]
	v_mul_f64 v[26:27], v[40:41], v[52:53]
	v_mul_f64 v[28:29], v[38:39], v[52:53]
	;; [unrolled: 1-line block ×4, first 2 shown]
	v_fma_f64 v[34:35], v[62:63], v[82:83], -v[34:35]
	v_fma_f64 v[36:37], v[64:65], v[82:83], v[36:37]
	v_add_f64 v[2:3], v[2:3], v[32:33]
	v_add_f64 v[4:5], v[30:31], v[4:5]
	v_fma_f64 v[158:159], v[38:39], v[50:51], -v[26:27]
	v_fma_f64 v[160:161], v[40:41], v[50:51], v[28:29]
	v_mul_f64 v[26:27], v[48:49], v[52:53]
	v_mul_f64 v[28:29], v[46:47], v[52:53]
	v_fma_f64 v[38:39], v[38:39], v[54:55], -v[42:43]
	v_fma_f64 v[40:41], v[40:41], v[54:55], v[44:45]
	v_mul_f64 v[52:53], v[58:59], v[72:73]
	v_mul_f64 v[30:31], v[80:81], v[84:85]
	;; [unrolled: 1-line block ×4, first 2 shown]
	v_add_f64 v[14:15], v[14:15], v[158:159]
	v_add_f64 v[16:17], v[160:161], v[16:17]
	v_fma_f64 v[42:43], v[46:47], v[50:51], -v[26:27]
	v_fma_f64 v[44:45], v[48:49], v[50:51], v[28:29]
	v_mul_f64 v[26:27], v[48:49], v[56:57]
	v_mul_f64 v[28:29], v[46:47], v[56:57]
	;; [unrolled: 1-line block ×3, first 2 shown]
	v_fma_f64 v[52:53], v[60:61], v[70:71], v[52:53]
	v_add_f64 v[10:11], v[10:11], v[38:39]
	v_add_f64 v[12:13], v[40:41], v[12:13]
	s_waitcnt lgkmcnt(10)
	v_mul_f64 v[38:39], v[108:109], v[92:93]
	v_mul_f64 v[40:41], v[106:107], v[92:93]
	v_fma_f64 v[30:31], v[78:79], v[82:83], -v[30:31]
	v_fma_f64 v[32:33], v[80:81], v[82:83], v[32:33]
	s_waitcnt lgkmcnt(8)
	v_mul_f64 v[82:83], v[112:113], v[116:117]
	v_add_f64 v[6:7], v[6:7], v[42:43]
	v_add_f64 v[8:9], v[44:45], v[8:9]
	v_fma_f64 v[46:47], v[46:47], v[54:55], -v[26:27]
	v_fma_f64 v[48:49], v[48:49], v[54:55], v[28:29]
	v_mul_f64 v[26:27], v[60:61], v[68:69]
	v_mul_f64 v[28:29], v[58:59], v[68:69]
	v_fma_f64 v[50:51], v[58:59], v[70:71], -v[50:51]
	v_mul_f64 v[42:43], v[108:109], v[96:97]
	v_mul_f64 v[44:45], v[106:107], v[96:97]
	v_add_f64 v[12:13], v[52:53], v[12:13]
	s_waitcnt lgkmcnt(7)
	v_mul_f64 v[52:53], v[110:111], v[120:121]
	v_fma_f64 v[38:39], v[106:107], v[90:91], -v[38:39]
	v_fma_f64 v[40:41], v[108:109], v[90:91], v[40:41]
	v_add_f64 v[2:3], v[2:3], v[46:47]
	v_add_f64 v[4:5], v[48:49], v[4:5]
	v_fma_f64 v[54:55], v[58:59], v[66:67], -v[26:27]
	v_fma_f64 v[56:57], v[60:61], v[66:67], v[28:29]
	v_mul_f64 v[26:27], v[76:77], v[68:69]
	v_mul_f64 v[28:29], v[74:75], v[68:69]
	;; [unrolled: 1-line block ×3, first 2 shown]
	v_add_f64 v[10:11], v[10:11], v[50:51]
	v_mul_f64 v[46:47], v[104:105], v[116:117]
	v_mul_f64 v[48:49], v[102:103], v[116:117]
	;; [unrolled: 1-line block ×3, first 2 shown]
	v_fma_f64 v[42:43], v[106:107], v[94:95], -v[42:43]
	v_fma_f64 v[44:45], v[108:109], v[94:95], v[44:45]
	v_fma_f64 v[52:53], v[112:113], v[118:119], v[52:53]
	v_add_f64 v[14:15], v[14:15], v[54:55]
	v_add_f64 v[16:17], v[56:57], v[16:17]
	v_fma_f64 v[58:59], v[74:75], v[66:67], -v[26:27]
	v_fma_f64 v[60:61], v[76:77], v[66:67], v[28:29]
	v_mul_f64 v[66:67], v[76:77], v[72:73]
	v_mul_f64 v[72:73], v[64:65], v[88:89]
	v_fma_f64 v[68:69], v[76:77], v[70:71], v[68:69]
	v_mul_f64 v[76:77], v[100:101], v[92:93]
	v_fma_f64 v[64:65], v[64:65], v[86:87], v[150:151]
	v_mul_f64 v[92:93], v[102:103], v[120:121]
	s_waitcnt lgkmcnt(4)
	v_mul_f64 v[54:55], v[132:133], v[124:125]
	v_mul_f64 v[56:57], v[130:131], v[124:125]
	v_fma_f64 v[46:47], v[102:103], v[114:115], -v[46:47]
	v_fma_f64 v[48:49], v[104:105], v[114:115], v[48:49]
	v_fma_f64 v[50:51], v[110:111], v[118:119], -v[50:51]
	ds_read_b128 v[26:29], v22 offset:3840
	s_waitcnt lgkmcnt(0)
	s_barrier
	buffer_gl0_inv
	v_add_f64 v[14:15], v[14:15], v[34:35]
	v_add_f64 v[16:17], v[36:37], v[16:17]
	;; [unrolled: 1-line block ×4, first 2 shown]
	v_fma_f64 v[66:67], v[74:75], v[70:71], -v[66:67]
	v_mul_f64 v[70:71], v[80:81], v[88:89]
	v_mul_f64 v[74:75], v[78:79], v[88:89]
	;; [unrolled: 1-line block ×3, first 2 shown]
	v_fma_f64 v[62:63], v[62:63], v[86:87], -v[72:73]
	v_add_f64 v[4:5], v[68:69], v[4:5]
	v_mul_f64 v[72:73], v[104:105], v[120:121]
	v_mul_f64 v[96:97], v[110:111], v[116:117]
	v_fma_f64 v[68:69], v[100:101], v[90:91], v[84:85]
	v_add_f64 v[12:13], v[64:65], v[12:13]
	v_mul_f64 v[58:59], v[132:133], v[128:129]
	v_mul_f64 v[60:61], v[130:131], v[128:129]
	;; [unrolled: 1-line block ×5, first 2 shown]
	v_fma_f64 v[54:55], v[130:131], v[122:123], -v[54:55]
	v_fma_f64 v[56:57], v[132:133], v[122:123], v[56:57]
	v_add_f64 v[6:7], v[6:7], v[30:31]
	v_add_f64 v[8:9], v[32:33], v[8:9]
	;; [unrolled: 1-line block ×3, first 2 shown]
	v_fma_f64 v[70:71], v[78:79], v[86:87], -v[70:71]
	v_fma_f64 v[74:75], v[80:81], v[86:87], v[74:75]
	v_fma_f64 v[66:67], v[98:99], v[90:91], -v[76:77]
	v_fma_f64 v[76:77], v[98:99], v[94:95], -v[88:89]
	v_fma_f64 v[78:79], v[100:101], v[94:95], v[152:153]
	v_add_f64 v[10:11], v[10:11], v[62:63]
	v_mul_f64 v[30:31], v[140:141], v[124:125]
	v_mul_f64 v[32:33], v[138:139], v[124:125]
	v_fma_f64 v[80:81], v[112:113], v[114:115], v[96:97]
	v_add_f64 v[16:17], v[68:69], v[16:17]
	v_mul_f64 v[62:63], v[136:137], v[148:149]
	v_fma_f64 v[58:59], v[130:131], v[126:127], -v[58:59]
	v_fma_f64 v[60:61], v[132:133], v[126:127], v[60:61]
	v_fma_f64 v[34:35], v[138:139], v[126:127], -v[34:35]
	v_fma_f64 v[36:37], v[140:141], v[126:127], v[36:37]
	v_add_f64 v[6:7], v[6:7], v[38:39]
	v_add_f64 v[8:9], v[40:41], v[8:9]
	v_mul_f64 v[38:39], v[136:137], v[28:29]
	v_add_f64 v[2:3], v[2:3], v[70:71]
	v_add_f64 v[4:5], v[74:75], v[4:5]
	v_fma_f64 v[70:71], v[102:103], v[118:119], -v[72:73]
	v_fma_f64 v[72:73], v[104:105], v[118:119], v[92:93]
	v_fma_f64 v[74:75], v[110:111], v[114:115], -v[82:83]
	v_add_f64 v[14:15], v[14:15], v[66:67]
	v_add_f64 v[10:11], v[10:11], v[76:77]
	;; [unrolled: 1-line block ×3, first 2 shown]
	v_mul_f64 v[40:41], v[134:135], v[28:29]
	v_mul_f64 v[66:67], v[144:145], v[28:29]
	;; [unrolled: 1-line block ×3, first 2 shown]
	v_fma_f64 v[30:31], v[138:139], v[122:123], -v[30:31]
	v_fma_f64 v[32:33], v[140:141], v[122:123], v[32:33]
	v_add_f64 v[16:17], v[48:49], v[16:17]
	v_fma_f64 v[48:49], v[136:137], v[146:147], v[64:65]
	v_add_f64 v[8:9], v[80:81], v[8:9]
	v_fma_f64 v[38:39], v[134:135], v[26:27], -v[38:39]
	v_add_f64 v[2:3], v[2:3], v[42:43]
	v_add_f64 v[4:5], v[44:45], v[4:5]
	v_mul_f64 v[42:43], v[144:145], v[148:149]
	v_mul_f64 v[44:45], v[142:143], v[148:149]
	v_add_f64 v[6:7], v[6:7], v[74:75]
	v_add_f64 v[14:15], v[14:15], v[46:47]
	;; [unrolled: 1-line block ×4, first 2 shown]
	v_fma_f64 v[46:47], v[134:135], v[146:147], -v[62:63]
	v_fma_f64 v[40:41], v[136:137], v[26:27], v[40:41]
	v_add_f64 v[16:17], v[56:57], v[16:17]
	v_add_f64 v[8:9], v[32:33], v[8:9]
	;; [unrolled: 1-line block ×4, first 2 shown]
	v_fma_f64 v[42:43], v[142:143], v[146:147], -v[42:43]
	v_fma_f64 v[44:45], v[144:145], v[146:147], v[44:45]
	v_fma_f64 v[50:51], v[142:143], v[26:27], -v[66:67]
	v_fma_f64 v[26:27], v[144:145], v[26:27], v[28:29]
	v_add_f64 v[14:15], v[14:15], v[54:55]
	v_add_f64 v[10:11], v[10:11], v[58:59]
	;; [unrolled: 1-line block ×14, first 2 shown]
	s_cbranch_vccnz .LBB541_2
	s_branch .LBB541_4
.LBB541_3:
	v_mov_b32_e32 v14, 0
	v_mov_b32_e32 v16, 0
	;; [unrolled: 1-line block ×16, first 2 shown]
.LBB541_4:
	s_load_dwordx2 s[4:5], s[4:5], 0x90
	v_cmp_neq_f64_e64 s6, s[38:39], 0
	v_cmp_neq_f64_e64 s7, s[40:41], 0
	v_add_co_u32 v22, s2, s2, v1
	v_add_co_u32 v0, s0, s0, v0
	v_add_co_ci_u32_e64 v23, null, s3, 0, s2
	v_add_co_ci_u32_e64 v1, null, s1, 0, s0
	s_waitcnt lgkmcnt(0)
	s_mul_i32 s5, s5, s8
	s_mul_hi_u32 s9, s4, s8
	s_mul_i32 s4, s4, s8
	s_add_i32 s5, s9, s5
	s_lshl_b64 s[4:5], s[4:5], 4
	s_add_u32 s2, s48, s4
	s_addc_u32 s3, s49, s5
	s_or_b32 s4, s6, s7
	s_and_b32 vcc_lo, exec_lo, s4
	s_cbranch_vccnz .LBB541_6
; %bb.5:
	v_mul_f64 v[20:21], s[16:17], v[16:17]
	v_mul_f64 v[26:27], s[14:15], v[16:17]
	;; [unrolled: 1-line block ×4, first 2 shown]
	v_mul_lo_u32 v24, v23, s50
	v_mul_lo_u32 v25, v22, s51
	v_mad_u64_u32 v[18:19], null, v22, s50, 0
	v_mul_f64 v[28:29], s[16:17], v[12:13]
	v_mul_f64 v[30:31], s[14:15], v[12:13]
	;; [unrolled: 1-line block ×4, first 2 shown]
	s_lshl_b64 s[0:1], s[50:51], 8
	v_lshlrev_b64 v[40:41], 4, v[0:1]
	v_add3_u32 v19, v19, v25, v24
	v_lshlrev_b64 v[18:19], 4, v[18:19]
	v_fma_f64 v[24:25], s[14:15], v[14:15], -v[20:21]
	v_fma_f64 v[26:27], s[16:17], v[14:15], v[26:27]
	v_fma_f64 v[36:37], s[14:15], v[2:3], -v[36:37]
	v_add_co_u32 v42, vcc_lo, s2, v18
	v_add_co_ci_u32_e64 v43, null, s3, v19, vcc_lo
	v_fma_f64 v[18:19], s[16:17], v[2:3], v[38:39]
	v_fma_f64 v[28:29], s[14:15], v[10:11], -v[28:29]
	v_fma_f64 v[30:31], s[16:17], v[10:11], v[30:31]
	v_fma_f64 v[32:33], s[14:15], v[6:7], -v[32:33]
	v_fma_f64 v[34:35], s[16:17], v[6:7], v[34:35]
	v_add_co_u32 v20, vcc_lo, v42, s0
	v_add_co_ci_u32_e64 v21, null, s1, v43, vcc_lo
	v_add_co_u32 v38, vcc_lo, v20, v40
	v_add_co_ci_u32_e64 v39, null, v21, v41, vcc_lo
	;; [unrolled: 2-line block ×4, first 2 shown]
	global_store_dwordx4 v[40:41], v[24:27], off
	global_store_dwordx4 v[40:41], v[28:31], off offset:256
	global_store_dwordx4 v[38:39], v[32:35], off
	global_store_dwordx2 v[38:39], v[36:37], off offset:256
	s_cbranch_execz .LBB541_7
	s_branch .LBB541_8
.LBB541_6:
                                        ; implicit-def: $vgpr18_vgpr19
                                        ; implicit-def: $vgpr20_vgpr21
.LBB541_7:
	v_mul_lo_u32 v20, v23, s44
	v_mul_lo_u32 v21, v22, s45
	v_mad_u64_u32 v[18:19], null, v22, s44, 0
	s_mul_i32 s1, s47, s8
	s_mul_hi_u32 s4, s46, s8
	s_mul_i32 s0, s46, s8
	s_add_i32 s1, s4, s1
	v_lshlrev_b64 v[0:1], 4, v[0:1]
	s_lshl_b64 s[0:1], s[0:1], 4
	v_add3_u32 v19, v19, v21, v20
	s_add_u32 s0, s42, s0
	s_addc_u32 s1, s43, s1
	v_mul_f64 v[26:27], s[16:17], v[16:17]
	v_mul_f64 v[16:17], s[14:15], v[16:17]
	v_lshlrev_b64 v[18:19], 4, v[18:19]
	v_mul_lo_u32 v23, v23, s50
	v_add_co_u32 v30, vcc_lo, s0, v18
	v_add_co_ci_u32_e64 v31, null, s1, v19, vcc_lo
	s_lshl_b64 s[0:1], s[44:45], 8
	v_add_co_u32 v24, vcc_lo, v30, v0
	v_add_co_ci_u32_e64 v25, null, v31, v1, vcc_lo
	global_load_dwordx4 v[18:21], v[24:25], off
	v_fma_f64 v[26:27], s[14:15], v[14:15], -v[26:27]
	v_fma_f64 v[16:17], s[16:17], v[14:15], v[16:17]
	s_waitcnt vmcnt(0)
	v_mul_f64 v[28:29], s[40:41], v[20:21]
	v_mul_f64 v[20:21], s[38:39], v[20:21]
	v_fma_f64 v[14:15], s[38:39], v[18:19], -v[28:29]
	v_fma_f64 v[18:19], s[40:41], v[18:19], v[20:21]
	v_mul_lo_u32 v28, v22, s51
	v_mad_u64_u32 v[20:21], null, v22, s50, 0
	v_add3_u32 v21, v21, v28, v23
	v_add_f64 v[14:15], v[26:27], v[14:15]
	v_add_f64 v[16:17], v[16:17], v[18:19]
	v_lshlrev_b64 v[18:19], 4, v[20:21]
	v_mul_f64 v[20:21], s[16:17], v[12:13]
	v_mul_f64 v[12:13], s[14:15], v[12:13]
	v_add_co_u32 v26, vcc_lo, s2, v18
	v_add_co_ci_u32_e64 v27, null, s3, v19, vcc_lo
	v_add_co_u32 v18, vcc_lo, v26, v0
	v_add_co_ci_u32_e64 v19, null, v27, v1, vcc_lo
	global_store_dwordx4 v[18:19], v[14:17], off
	global_load_dwordx4 v[14:17], v[24:25], off offset:256
	v_fma_f64 v[20:21], s[14:15], v[10:11], -v[20:21]
	v_fma_f64 v[12:13], s[16:17], v[10:11], v[12:13]
	s_waitcnt vmcnt(0)
	v_mul_f64 v[22:23], s[40:41], v[16:17]
	v_mul_f64 v[16:17], s[38:39], v[16:17]
	v_fma_f64 v[10:11], s[38:39], v[14:15], -v[22:23]
	v_fma_f64 v[14:15], s[40:41], v[14:15], v[16:17]
	v_mul_f64 v[16:17], s[16:17], v[8:9]
	v_mul_f64 v[8:9], s[14:15], v[8:9]
	v_add_f64 v[10:11], v[20:21], v[10:11]
	v_add_f64 v[12:13], v[12:13], v[14:15]
	v_add_co_u32 v14, vcc_lo, v30, s0
	v_add_co_ci_u32_e64 v15, null, s1, v31, vcc_lo
	v_fma_f64 v[16:17], s[14:15], v[6:7], -v[16:17]
	v_add_co_u32 v14, vcc_lo, v14, v0
	v_add_co_ci_u32_e64 v15, null, v15, v1, vcc_lo
	v_fma_f64 v[8:9], s[16:17], v[6:7], v[8:9]
	s_lshl_b64 s[0:1], s[50:51], 8
	global_store_dwordx4 v[18:19], v[10:13], off offset:256
	global_load_dwordx4 v[10:13], v[14:15], off
	s_waitcnt vmcnt(0)
	v_mul_f64 v[18:19], s[40:41], v[12:13]
	v_mul_f64 v[12:13], s[38:39], v[12:13]
	v_fma_f64 v[6:7], s[38:39], v[10:11], -v[18:19]
	v_fma_f64 v[10:11], s[40:41], v[10:11], v[12:13]
	v_add_f64 v[6:7], v[16:17], v[6:7]
	v_add_f64 v[8:9], v[8:9], v[10:11]
	v_add_co_u32 v10, vcc_lo, v26, s0
	v_add_co_ci_u32_e64 v11, null, s1, v27, vcc_lo
	v_add_co_u32 v0, vcc_lo, v10, v0
	v_add_co_ci_u32_e64 v1, null, v11, v1, vcc_lo
	v_mul_f64 v[10:11], s[16:17], v[4:5]
	v_mul_f64 v[4:5], s[14:15], v[4:5]
	v_add_co_u32 v20, vcc_lo, 0x100, v0
	v_add_co_ci_u32_e64 v21, null, 0, v1, vcc_lo
	global_store_dwordx4 v[0:1], v[6:9], off
	global_load_dwordx4 v[6:9], v[14:15], off offset:256
	v_fma_f64 v[10:11], s[14:15], v[2:3], -v[10:11]
	v_fma_f64 v[2:3], s[16:17], v[2:3], v[4:5]
	s_waitcnt vmcnt(0)
	v_mul_f64 v[12:13], s[40:41], v[8:9]
	v_mul_f64 v[8:9], s[38:39], v[8:9]
	v_fma_f64 v[4:5], s[38:39], v[6:7], -v[12:13]
	v_fma_f64 v[6:7], s[40:41], v[6:7], v[8:9]
	v_add_f64 v[4:5], v[10:11], v[4:5]
	v_add_f64 v[18:19], v[2:3], v[6:7]
	global_store_dwordx2 v[0:1], v[4:5], off offset:256
.LBB541_8:
	global_store_dwordx2 v[20:21], v[18:19], off offset:8
	s_endpgm
	.section	.rodata,"a",@progbits
	.p2align	6, 0x0
	.amdhsa_kernel _ZN12_GLOBAL__N_127rocblas_gemm_batched_kernelI19rocblas_complex_numIdELi16ELi16ELi32ELi32ELi8ELi32ELi8ELi8ELi32ELc84ELc84EKS2_S3_S2_EEvlllT_PT11_llS6_llS4_PT12_llPT13_lli
		.amdhsa_group_segment_fixed_size 8192
		.amdhsa_private_segment_fixed_size 0
		.amdhsa_kernarg_size 156
		.amdhsa_user_sgpr_count 6
		.amdhsa_user_sgpr_private_segment_buffer 1
		.amdhsa_user_sgpr_dispatch_ptr 0
		.amdhsa_user_sgpr_queue_ptr 0
		.amdhsa_user_sgpr_kernarg_segment_ptr 1
		.amdhsa_user_sgpr_dispatch_id 0
		.amdhsa_user_sgpr_flat_scratch_init 0
		.amdhsa_user_sgpr_private_segment_size 0
		.amdhsa_wavefront_size32 1
		.amdhsa_uses_dynamic_stack 0
		.amdhsa_system_sgpr_private_segment_wavefront_offset 0
		.amdhsa_system_sgpr_workgroup_id_x 1
		.amdhsa_system_sgpr_workgroup_id_y 1
		.amdhsa_system_sgpr_workgroup_id_z 1
		.amdhsa_system_sgpr_workgroup_info 0
		.amdhsa_system_vgpr_workitem_id 1
		.amdhsa_next_free_vgpr 162
		.amdhsa_next_free_sgpr 52
		.amdhsa_reserve_vcc 1
		.amdhsa_reserve_flat_scratch 0
		.amdhsa_float_round_mode_32 0
		.amdhsa_float_round_mode_16_64 0
		.amdhsa_float_denorm_mode_32 3
		.amdhsa_float_denorm_mode_16_64 3
		.amdhsa_dx10_clamp 1
		.amdhsa_ieee_mode 1
		.amdhsa_fp16_overflow 0
		.amdhsa_workgroup_processor_mode 1
		.amdhsa_memory_ordered 1
		.amdhsa_forward_progress 1
		.amdhsa_shared_vgpr_count 0
		.amdhsa_exception_fp_ieee_invalid_op 0
		.amdhsa_exception_fp_denorm_src 0
		.amdhsa_exception_fp_ieee_div_zero 0
		.amdhsa_exception_fp_ieee_overflow 0
		.amdhsa_exception_fp_ieee_underflow 0
		.amdhsa_exception_fp_ieee_inexact 0
		.amdhsa_exception_int_div_zero 0
	.end_amdhsa_kernel
	.section	.text._ZN12_GLOBAL__N_127rocblas_gemm_batched_kernelI19rocblas_complex_numIdELi16ELi16ELi32ELi32ELi8ELi32ELi8ELi8ELi32ELc84ELc84EKS2_S3_S2_EEvlllT_PT11_llS6_llS4_PT12_llPT13_lli,"axG",@progbits,_ZN12_GLOBAL__N_127rocblas_gemm_batched_kernelI19rocblas_complex_numIdELi16ELi16ELi32ELi32ELi8ELi32ELi8ELi8ELi32ELc84ELc84EKS2_S3_S2_EEvlllT_PT11_llS6_llS4_PT12_llPT13_lli,comdat
.Lfunc_end541:
	.size	_ZN12_GLOBAL__N_127rocblas_gemm_batched_kernelI19rocblas_complex_numIdELi16ELi16ELi32ELi32ELi8ELi32ELi8ELi8ELi32ELc84ELc84EKS2_S3_S2_EEvlllT_PT11_llS6_llS4_PT12_llPT13_lli, .Lfunc_end541-_ZN12_GLOBAL__N_127rocblas_gemm_batched_kernelI19rocblas_complex_numIdELi16ELi16ELi32ELi32ELi8ELi32ELi8ELi8ELi32ELc84ELc84EKS2_S3_S2_EEvlllT_PT11_llS6_llS4_PT12_llPT13_lli
                                        ; -- End function
	.set _ZN12_GLOBAL__N_127rocblas_gemm_batched_kernelI19rocblas_complex_numIdELi16ELi16ELi32ELi32ELi8ELi32ELi8ELi8ELi32ELc84ELc84EKS2_S3_S2_EEvlllT_PT11_llS6_llS4_PT12_llPT13_lli.num_vgpr, 162
	.set _ZN12_GLOBAL__N_127rocblas_gemm_batched_kernelI19rocblas_complex_numIdELi16ELi16ELi32ELi32ELi8ELi32ELi8ELi8ELi32ELc84ELc84EKS2_S3_S2_EEvlllT_PT11_llS6_llS4_PT12_llPT13_lli.num_agpr, 0
	.set _ZN12_GLOBAL__N_127rocblas_gemm_batched_kernelI19rocblas_complex_numIdELi16ELi16ELi32ELi32ELi8ELi32ELi8ELi8ELi32ELc84ELc84EKS2_S3_S2_EEvlllT_PT11_llS6_llS4_PT12_llPT13_lli.numbered_sgpr, 52
	.set _ZN12_GLOBAL__N_127rocblas_gemm_batched_kernelI19rocblas_complex_numIdELi16ELi16ELi32ELi32ELi8ELi32ELi8ELi8ELi32ELc84ELc84EKS2_S3_S2_EEvlllT_PT11_llS6_llS4_PT12_llPT13_lli.num_named_barrier, 0
	.set _ZN12_GLOBAL__N_127rocblas_gemm_batched_kernelI19rocblas_complex_numIdELi16ELi16ELi32ELi32ELi8ELi32ELi8ELi8ELi32ELc84ELc84EKS2_S3_S2_EEvlllT_PT11_llS6_llS4_PT12_llPT13_lli.private_seg_size, 0
	.set _ZN12_GLOBAL__N_127rocblas_gemm_batched_kernelI19rocblas_complex_numIdELi16ELi16ELi32ELi32ELi8ELi32ELi8ELi8ELi32ELc84ELc84EKS2_S3_S2_EEvlllT_PT11_llS6_llS4_PT12_llPT13_lli.uses_vcc, 1
	.set _ZN12_GLOBAL__N_127rocblas_gemm_batched_kernelI19rocblas_complex_numIdELi16ELi16ELi32ELi32ELi8ELi32ELi8ELi8ELi32ELc84ELc84EKS2_S3_S2_EEvlllT_PT11_llS6_llS4_PT12_llPT13_lli.uses_flat_scratch, 0
	.set _ZN12_GLOBAL__N_127rocblas_gemm_batched_kernelI19rocblas_complex_numIdELi16ELi16ELi32ELi32ELi8ELi32ELi8ELi8ELi32ELc84ELc84EKS2_S3_S2_EEvlllT_PT11_llS6_llS4_PT12_llPT13_lli.has_dyn_sized_stack, 0
	.set _ZN12_GLOBAL__N_127rocblas_gemm_batched_kernelI19rocblas_complex_numIdELi16ELi16ELi32ELi32ELi8ELi32ELi8ELi8ELi32ELc84ELc84EKS2_S3_S2_EEvlllT_PT11_llS6_llS4_PT12_llPT13_lli.has_recursion, 0
	.set _ZN12_GLOBAL__N_127rocblas_gemm_batched_kernelI19rocblas_complex_numIdELi16ELi16ELi32ELi32ELi8ELi32ELi8ELi8ELi32ELc84ELc84EKS2_S3_S2_EEvlllT_PT11_llS6_llS4_PT12_llPT13_lli.has_indirect_call, 0
	.section	.AMDGPU.csdata,"",@progbits
; Kernel info:
; codeLenInByte = 3536
; TotalNumSgprs: 54
; NumVgprs: 162
; ScratchSize: 0
; MemoryBound: 0
; FloatMode: 240
; IeeeMode: 1
; LDSByteSize: 8192 bytes/workgroup (compile time only)
; SGPRBlocks: 0
; VGPRBlocks: 20
; NumSGPRsForWavesPerEU: 54
; NumVGPRsForWavesPerEU: 162
; Occupancy: 5
; WaveLimiterHint : 1
; COMPUTE_PGM_RSRC2:SCRATCH_EN: 0
; COMPUTE_PGM_RSRC2:USER_SGPR: 6
; COMPUTE_PGM_RSRC2:TRAP_HANDLER: 0
; COMPUTE_PGM_RSRC2:TGID_X_EN: 1
; COMPUTE_PGM_RSRC2:TGID_Y_EN: 1
; COMPUTE_PGM_RSRC2:TGID_Z_EN: 1
; COMPUTE_PGM_RSRC2:TIDIG_COMP_CNT: 1
	.section	.text._ZN12_GLOBAL__N_127rocblas_gemm_batched_kernelI19rocblas_complex_numIdELi16ELi16ELi32ELi32ELi8ELi32ELi8ELi8ELi32ELc67ELc67EKS2_S3_S2_EEvlllT_PT11_llS6_llS4_PT12_llPT13_lli,"axG",@progbits,_ZN12_GLOBAL__N_127rocblas_gemm_batched_kernelI19rocblas_complex_numIdELi16ELi16ELi32ELi32ELi8ELi32ELi8ELi8ELi32ELc67ELc67EKS2_S3_S2_EEvlllT_PT11_llS6_llS4_PT12_llPT13_lli,comdat
	.globl	_ZN12_GLOBAL__N_127rocblas_gemm_batched_kernelI19rocblas_complex_numIdELi16ELi16ELi32ELi32ELi8ELi32ELi8ELi8ELi32ELc67ELc67EKS2_S3_S2_EEvlllT_PT11_llS6_llS4_PT12_llPT13_lli ; -- Begin function _ZN12_GLOBAL__N_127rocblas_gemm_batched_kernelI19rocblas_complex_numIdELi16ELi16ELi32ELi32ELi8ELi32ELi8ELi8ELi32ELc67ELc67EKS2_S3_S2_EEvlllT_PT11_llS6_llS4_PT12_llPT13_lli
	.p2align	8
	.type	_ZN12_GLOBAL__N_127rocblas_gemm_batched_kernelI19rocblas_complex_numIdELi16ELi16ELi32ELi32ELi8ELi32ELi8ELi8ELi32ELc67ELc67EKS2_S3_S2_EEvlllT_PT11_llS6_llS4_PT12_llPT13_lli,@function
_ZN12_GLOBAL__N_127rocblas_gemm_batched_kernelI19rocblas_complex_numIdELi16ELi16ELi32ELi32ELi8ELi32ELi8ELi8ELi32ELc67ELc67EKS2_S3_S2_EEvlllT_PT11_llS6_llS4_PT12_llPT13_lli: ; @_ZN12_GLOBAL__N_127rocblas_gemm_batched_kernelI19rocblas_complex_numIdELi16ELi16ELi32ELi32ELi8ELi32ELi8ELi8ELi32ELc67ELc67EKS2_S3_S2_EEvlllT_PT11_llS6_llS4_PT12_llPT13_lli
; %bb.0:
	s_clause 0x1
	s_load_dwordx16 s[12:27], s[4:5], 0x10
	s_load_dwordx16 s[36:51], s[4:5], 0x50
	s_mov_b32 s2, s7
	s_ashr_i32 s7, s6, 31
	s_ashr_i32 s3, s2, 31
	s_lshl_b64 s[0:1], s[6:7], 5
	s_lshl_b64 s[2:3], s[2:3], 5
	s_waitcnt lgkmcnt(0)
	v_cmp_lt_i64_e64 s9, s[12:13], 1
	s_and_b32 vcc_lo, exec_lo, s9
	s_cbranch_vccnz .LBB542_3
; %bb.1:
	v_lshl_add_u32 v6, v1, 4, v0
	v_and_b32_e32 v7, 7, v0
	s_mul_i32 s7, s23, s8
	s_mul_hi_u32 s9, s22, s8
	v_mov_b32_e32 v16, 0
	v_lshrrev_b32_e32 v8, 3, v6
	v_and_b32_e32 v9, 31, v6
	v_lshrrev_b32_e32 v12, 5, v6
	v_lshlrev_b32_e32 v13, 4, v7
	s_add_i32 s7, s9, s7
	v_add_co_u32 v2, s6, v8, s2
	v_add_co_ci_u32_e64 v3, null, 0, s3, s6
	v_add_co_u32 v4, s6, s0, v9
	v_add_co_ci_u32_e64 v5, null, s1, 0, s6
	v_mad_u64_u32 v[2:3], null, s26, v7, v[2:3]
	v_mul_lo_u32 v10, s21, v4
	v_mul_lo_u32 v11, s20, v5
	v_mad_u64_u32 v[4:5], null, s20, v4, 0
	s_mul_i32 s6, s22, s8
	v_mov_b32_e32 v14, 0
	s_lshl_b64 s[6:7], s[6:7], 4
	v_lshlrev_b32_e32 v22, 4, v0
	v_lshl_add_u32 v23, v1, 7, 0x1000
	v_mov_b32_e32 v17, 0
	v_add3_u32 v5, v5, v11, v10
	v_mad_u64_u32 v[6:7], null, s27, v7, v[3:4]
	v_lshlrev_b32_e32 v3, 4, v9
	v_lshl_or_b32 v7, v8, 7, v13
	v_lshlrev_b64 v[4:5], 4, v[4:5]
	v_mov_b32_e32 v8, 0
	v_mov_b32_e32 v10, 0
	v_lshl_or_b32 v24, v12, 9, v3
	v_mov_b32_e32 v3, v6
	v_lshlrev_b32_e32 v6, 4, v12
	v_add_co_u32 v4, vcc_lo, v4, s6
	v_add_co_ci_u32_e64 v5, null, s7, v5, vcc_lo
	s_mul_i32 s6, s37, s8
	v_add_co_u32 v4, vcc_lo, v4, v6
	v_add_co_ci_u32_e64 v5, null, 0, v5, vcc_lo
	s_mul_hi_u32 s7, s36, s8
	v_add_co_u32 v4, vcc_lo, s18, v4
	s_add_i32 s7, s7, s6
	s_mul_i32 s6, s36, s8
	v_lshlrev_b64 v[2:3], 4, v[2:3]
	v_add_co_ci_u32_e64 v5, null, s19, v5, vcc_lo
	s_lshl_b64 s[6:7], s[6:7], 4
	v_add_co_u32 v18, vcc_lo, v4, 8
	s_add_u32 s6, s24, s6
	v_add_co_ci_u32_e64 v19, null, 0, v5, vcc_lo
	s_addc_u32 s7, s25, s7
	v_add_co_u32 v20, vcc_lo, s6, v2
	v_add_co_ci_u32_e64 v21, null, s7, v3, vcc_lo
	v_add_nc_u32_e32 v25, 0x1000, v7
	v_add_co_u32 v20, vcc_lo, v20, 8
	v_mov_b32_e32 v4, 0
	v_mov_b32_e32 v2, 0
	v_mov_b32_e32 v6, 0
	v_mov_b32_e32 v12, 0
	v_mov_b32_e32 v5, 0
	v_mov_b32_e32 v3, 0
	v_mov_b32_e32 v9, 0
	v_mov_b32_e32 v7, 0
	v_mov_b32_e32 v13, 0
	v_mov_b32_e32 v11, 0
	v_mov_b32_e32 v15, 0
	v_add_co_ci_u32_e64 v21, null, 0, v21, vcc_lo
	s_lshl_b64 s[6:7], s[26:27], 7
	s_mov_b64 s[10:11], 0
.LBB542_2:                              ; =>This Inner Loop Header: Depth=1
	global_load_dwordx4 v[26:29], v[18:19], off offset:-8
	global_load_dwordx4 v[30:33], v[20:21], off offset:-8
	s_add_u32 s10, s10, 8
	s_addc_u32 s11, s11, 0
	v_add_co_u32 v18, vcc_lo, 0x80, v18
	v_cmp_lt_i64_e64 s9, s[10:11], s[12:13]
	v_add_co_ci_u32_e64 v19, null, 0, v19, vcc_lo
	v_add_co_u32 v20, vcc_lo, v20, s6
	v_add_co_ci_u32_e64 v21, null, s7, v21, vcc_lo
	s_and_b32 vcc_lo, exec_lo, s9
	s_waitcnt vmcnt(1)
	v_xor_b32_e32 v29, 0x80000000, v29
	s_waitcnt vmcnt(0)
	v_xor_b32_e32 v33, 0x80000000, v33
	ds_write_b128 v24, v[26:29]
	ds_write_b128 v25, v[30:33]
	s_waitcnt lgkmcnt(0)
	s_barrier
	buffer_gl0_inv
	ds_read_b128 v[26:29], v22
	ds_read_b128 v[30:33], v22 offset:256
	ds_read_b128 v[34:37], v23
	ds_read_b128 v[38:41], v23 offset:16
	ds_read_b128 v[42:45], v23 offset:2048
	;; [unrolled: 1-line block ×28, first 2 shown]
	s_waitcnt lgkmcnt(28)
	v_mul_f64 v[150:151], v[36:37], v[28:29]
	v_mul_f64 v[154:155], v[36:37], v[32:33]
	;; [unrolled: 1-line block ×4, first 2 shown]
	v_fma_f64 v[150:151], v[34:35], v[26:27], -v[150:151]
	v_fma_f64 v[34:35], v[34:35], v[30:31], -v[154:155]
	s_waitcnt lgkmcnt(26)
	v_mul_f64 v[154:155], v[44:45], v[28:29]
	v_mul_f64 v[28:29], v[42:43], v[28:29]
	v_fma_f64 v[152:153], v[36:37], v[26:27], v[152:153]
	v_fma_f64 v[36:37], v[36:37], v[30:31], v[156:157]
	v_add_f64 v[14:15], v[14:15], v[150:151]
	v_add_f64 v[10:11], v[10:11], v[34:35]
	v_fma_f64 v[154:155], v[42:43], v[26:27], -v[154:155]
	v_fma_f64 v[156:157], v[44:45], v[26:27], v[28:29]
	v_mul_f64 v[26:27], v[44:45], v[32:33]
	v_mul_f64 v[28:29], v[42:43], v[32:33]
	v_add_f64 v[16:17], v[152:153], v[16:17]
	v_add_f64 v[12:13], v[36:37], v[12:13]
	s_waitcnt lgkmcnt(16)
	v_mul_f64 v[34:35], v[64:65], v[84:85]
	v_mul_f64 v[36:37], v[62:63], v[84:85]
	s_waitcnt lgkmcnt(15)
	v_mul_f64 v[150:151], v[62:63], v[88:89]
	s_waitcnt lgkmcnt(12)
	v_mul_f64 v[152:153], v[98:99], v[96:97]
	v_add_f64 v[6:7], v[6:7], v[154:155]
	v_add_f64 v[8:9], v[156:157], v[8:9]
	v_fma_f64 v[32:33], v[42:43], v[30:31], -v[26:27]
	v_fma_f64 v[30:31], v[44:45], v[30:31], v[28:29]
	v_mul_f64 v[26:27], v[40:41], v[52:53]
	v_mul_f64 v[28:29], v[38:39], v[52:53]
	;; [unrolled: 1-line block ×4, first 2 shown]
	v_fma_f64 v[34:35], v[62:63], v[82:83], -v[34:35]
	v_fma_f64 v[36:37], v[64:65], v[82:83], v[36:37]
	v_add_f64 v[2:3], v[2:3], v[32:33]
	v_add_f64 v[4:5], v[30:31], v[4:5]
	v_fma_f64 v[158:159], v[38:39], v[50:51], -v[26:27]
	v_fma_f64 v[160:161], v[40:41], v[50:51], v[28:29]
	v_mul_f64 v[26:27], v[48:49], v[52:53]
	v_mul_f64 v[28:29], v[46:47], v[52:53]
	v_fma_f64 v[38:39], v[38:39], v[54:55], -v[42:43]
	v_fma_f64 v[40:41], v[40:41], v[54:55], v[44:45]
	v_mul_f64 v[52:53], v[58:59], v[72:73]
	v_mul_f64 v[30:31], v[80:81], v[84:85]
	;; [unrolled: 1-line block ×4, first 2 shown]
	v_add_f64 v[14:15], v[14:15], v[158:159]
	v_add_f64 v[16:17], v[160:161], v[16:17]
	v_fma_f64 v[42:43], v[46:47], v[50:51], -v[26:27]
	v_fma_f64 v[44:45], v[48:49], v[50:51], v[28:29]
	v_mul_f64 v[26:27], v[48:49], v[56:57]
	v_mul_f64 v[28:29], v[46:47], v[56:57]
	;; [unrolled: 1-line block ×3, first 2 shown]
	v_fma_f64 v[52:53], v[60:61], v[70:71], v[52:53]
	v_add_f64 v[10:11], v[10:11], v[38:39]
	v_add_f64 v[12:13], v[40:41], v[12:13]
	s_waitcnt lgkmcnt(10)
	v_mul_f64 v[38:39], v[108:109], v[92:93]
	v_mul_f64 v[40:41], v[106:107], v[92:93]
	v_fma_f64 v[30:31], v[78:79], v[82:83], -v[30:31]
	v_fma_f64 v[32:33], v[80:81], v[82:83], v[32:33]
	s_waitcnt lgkmcnt(8)
	v_mul_f64 v[82:83], v[112:113], v[116:117]
	v_add_f64 v[6:7], v[6:7], v[42:43]
	v_add_f64 v[8:9], v[44:45], v[8:9]
	v_fma_f64 v[46:47], v[46:47], v[54:55], -v[26:27]
	v_fma_f64 v[48:49], v[48:49], v[54:55], v[28:29]
	v_mul_f64 v[26:27], v[60:61], v[68:69]
	v_mul_f64 v[28:29], v[58:59], v[68:69]
	v_fma_f64 v[50:51], v[58:59], v[70:71], -v[50:51]
	v_mul_f64 v[42:43], v[108:109], v[96:97]
	v_mul_f64 v[44:45], v[106:107], v[96:97]
	v_add_f64 v[12:13], v[52:53], v[12:13]
	s_waitcnt lgkmcnt(7)
	v_mul_f64 v[52:53], v[110:111], v[120:121]
	v_fma_f64 v[38:39], v[106:107], v[90:91], -v[38:39]
	v_fma_f64 v[40:41], v[108:109], v[90:91], v[40:41]
	v_add_f64 v[2:3], v[2:3], v[46:47]
	v_add_f64 v[4:5], v[48:49], v[4:5]
	v_fma_f64 v[54:55], v[58:59], v[66:67], -v[26:27]
	v_fma_f64 v[56:57], v[60:61], v[66:67], v[28:29]
	v_mul_f64 v[26:27], v[76:77], v[68:69]
	v_mul_f64 v[28:29], v[74:75], v[68:69]
	;; [unrolled: 1-line block ×3, first 2 shown]
	v_add_f64 v[10:11], v[10:11], v[50:51]
	v_mul_f64 v[46:47], v[104:105], v[116:117]
	v_mul_f64 v[48:49], v[102:103], v[116:117]
	;; [unrolled: 1-line block ×3, first 2 shown]
	v_fma_f64 v[42:43], v[106:107], v[94:95], -v[42:43]
	v_fma_f64 v[44:45], v[108:109], v[94:95], v[44:45]
	v_fma_f64 v[52:53], v[112:113], v[118:119], v[52:53]
	v_add_f64 v[14:15], v[14:15], v[54:55]
	v_add_f64 v[16:17], v[56:57], v[16:17]
	v_fma_f64 v[58:59], v[74:75], v[66:67], -v[26:27]
	v_fma_f64 v[60:61], v[76:77], v[66:67], v[28:29]
	v_mul_f64 v[66:67], v[76:77], v[72:73]
	v_mul_f64 v[72:73], v[64:65], v[88:89]
	v_fma_f64 v[68:69], v[76:77], v[70:71], v[68:69]
	v_mul_f64 v[76:77], v[100:101], v[92:93]
	v_fma_f64 v[64:65], v[64:65], v[86:87], v[150:151]
	v_mul_f64 v[92:93], v[102:103], v[120:121]
	s_waitcnt lgkmcnt(4)
	v_mul_f64 v[54:55], v[132:133], v[124:125]
	v_mul_f64 v[56:57], v[130:131], v[124:125]
	v_fma_f64 v[46:47], v[102:103], v[114:115], -v[46:47]
	v_fma_f64 v[48:49], v[104:105], v[114:115], v[48:49]
	v_fma_f64 v[50:51], v[110:111], v[118:119], -v[50:51]
	ds_read_b128 v[26:29], v22 offset:3840
	s_waitcnt lgkmcnt(0)
	s_barrier
	buffer_gl0_inv
	v_add_f64 v[14:15], v[14:15], v[34:35]
	v_add_f64 v[16:17], v[36:37], v[16:17]
	;; [unrolled: 1-line block ×4, first 2 shown]
	v_fma_f64 v[66:67], v[74:75], v[70:71], -v[66:67]
	v_mul_f64 v[70:71], v[80:81], v[88:89]
	v_mul_f64 v[74:75], v[78:79], v[88:89]
	;; [unrolled: 1-line block ×3, first 2 shown]
	v_fma_f64 v[62:63], v[62:63], v[86:87], -v[72:73]
	v_add_f64 v[4:5], v[68:69], v[4:5]
	v_mul_f64 v[72:73], v[104:105], v[120:121]
	v_mul_f64 v[96:97], v[110:111], v[116:117]
	v_fma_f64 v[68:69], v[100:101], v[90:91], v[84:85]
	v_add_f64 v[12:13], v[64:65], v[12:13]
	v_mul_f64 v[58:59], v[132:133], v[128:129]
	v_mul_f64 v[60:61], v[130:131], v[128:129]
	;; [unrolled: 1-line block ×5, first 2 shown]
	v_fma_f64 v[54:55], v[130:131], v[122:123], -v[54:55]
	v_fma_f64 v[56:57], v[132:133], v[122:123], v[56:57]
	v_add_f64 v[6:7], v[6:7], v[30:31]
	v_add_f64 v[8:9], v[32:33], v[8:9]
	;; [unrolled: 1-line block ×3, first 2 shown]
	v_fma_f64 v[70:71], v[78:79], v[86:87], -v[70:71]
	v_fma_f64 v[74:75], v[80:81], v[86:87], v[74:75]
	v_fma_f64 v[66:67], v[98:99], v[90:91], -v[76:77]
	v_fma_f64 v[76:77], v[98:99], v[94:95], -v[88:89]
	v_fma_f64 v[78:79], v[100:101], v[94:95], v[152:153]
	v_add_f64 v[10:11], v[10:11], v[62:63]
	v_mul_f64 v[30:31], v[140:141], v[124:125]
	v_mul_f64 v[32:33], v[138:139], v[124:125]
	v_fma_f64 v[80:81], v[112:113], v[114:115], v[96:97]
	v_add_f64 v[16:17], v[68:69], v[16:17]
	v_mul_f64 v[62:63], v[136:137], v[148:149]
	v_fma_f64 v[58:59], v[130:131], v[126:127], -v[58:59]
	v_fma_f64 v[60:61], v[132:133], v[126:127], v[60:61]
	v_fma_f64 v[34:35], v[138:139], v[126:127], -v[34:35]
	v_fma_f64 v[36:37], v[140:141], v[126:127], v[36:37]
	v_add_f64 v[6:7], v[6:7], v[38:39]
	v_add_f64 v[8:9], v[40:41], v[8:9]
	v_mul_f64 v[38:39], v[136:137], v[28:29]
	v_add_f64 v[2:3], v[2:3], v[70:71]
	v_add_f64 v[4:5], v[74:75], v[4:5]
	v_fma_f64 v[70:71], v[102:103], v[118:119], -v[72:73]
	v_fma_f64 v[72:73], v[104:105], v[118:119], v[92:93]
	v_fma_f64 v[74:75], v[110:111], v[114:115], -v[82:83]
	v_add_f64 v[14:15], v[14:15], v[66:67]
	v_add_f64 v[10:11], v[10:11], v[76:77]
	;; [unrolled: 1-line block ×3, first 2 shown]
	v_mul_f64 v[40:41], v[134:135], v[28:29]
	v_mul_f64 v[66:67], v[144:145], v[28:29]
	;; [unrolled: 1-line block ×3, first 2 shown]
	v_fma_f64 v[30:31], v[138:139], v[122:123], -v[30:31]
	v_fma_f64 v[32:33], v[140:141], v[122:123], v[32:33]
	v_add_f64 v[16:17], v[48:49], v[16:17]
	v_fma_f64 v[48:49], v[136:137], v[146:147], v[64:65]
	v_add_f64 v[8:9], v[80:81], v[8:9]
	v_fma_f64 v[38:39], v[134:135], v[26:27], -v[38:39]
	v_add_f64 v[2:3], v[2:3], v[42:43]
	v_add_f64 v[4:5], v[44:45], v[4:5]
	v_mul_f64 v[42:43], v[144:145], v[148:149]
	v_mul_f64 v[44:45], v[142:143], v[148:149]
	v_add_f64 v[6:7], v[6:7], v[74:75]
	v_add_f64 v[14:15], v[14:15], v[46:47]
	;; [unrolled: 1-line block ×4, first 2 shown]
	v_fma_f64 v[46:47], v[134:135], v[146:147], -v[62:63]
	v_fma_f64 v[40:41], v[136:137], v[26:27], v[40:41]
	v_add_f64 v[16:17], v[56:57], v[16:17]
	v_add_f64 v[8:9], v[32:33], v[8:9]
	;; [unrolled: 1-line block ×4, first 2 shown]
	v_fma_f64 v[42:43], v[142:143], v[146:147], -v[42:43]
	v_fma_f64 v[44:45], v[144:145], v[146:147], v[44:45]
	v_fma_f64 v[50:51], v[142:143], v[26:27], -v[66:67]
	v_fma_f64 v[26:27], v[144:145], v[26:27], v[28:29]
	v_add_f64 v[14:15], v[14:15], v[54:55]
	v_add_f64 v[10:11], v[10:11], v[58:59]
	;; [unrolled: 1-line block ×14, first 2 shown]
	s_cbranch_vccnz .LBB542_2
	s_branch .LBB542_4
.LBB542_3:
	v_mov_b32_e32 v14, 0
	v_mov_b32_e32 v16, 0
	;; [unrolled: 1-line block ×16, first 2 shown]
.LBB542_4:
	s_load_dwordx2 s[4:5], s[4:5], 0x90
	v_cmp_neq_f64_e64 s6, s[38:39], 0
	v_cmp_neq_f64_e64 s7, s[40:41], 0
	v_add_co_u32 v22, s2, s2, v1
	v_add_co_u32 v0, s0, s0, v0
	v_add_co_ci_u32_e64 v23, null, s3, 0, s2
	v_add_co_ci_u32_e64 v1, null, s1, 0, s0
	s_waitcnt lgkmcnt(0)
	s_mul_i32 s5, s5, s8
	s_mul_hi_u32 s9, s4, s8
	s_mul_i32 s4, s4, s8
	s_add_i32 s5, s9, s5
	s_lshl_b64 s[4:5], s[4:5], 4
	s_add_u32 s2, s48, s4
	s_addc_u32 s3, s49, s5
	s_or_b32 s4, s6, s7
	s_and_b32 vcc_lo, exec_lo, s4
	s_cbranch_vccnz .LBB542_6
; %bb.5:
	v_mul_f64 v[20:21], s[16:17], v[16:17]
	v_mul_f64 v[26:27], s[14:15], v[16:17]
	;; [unrolled: 1-line block ×4, first 2 shown]
	v_mul_lo_u32 v24, v23, s50
	v_mul_lo_u32 v25, v22, s51
	v_mad_u64_u32 v[18:19], null, v22, s50, 0
	v_mul_f64 v[28:29], s[16:17], v[12:13]
	v_mul_f64 v[30:31], s[14:15], v[12:13]
	;; [unrolled: 1-line block ×4, first 2 shown]
	s_lshl_b64 s[0:1], s[50:51], 8
	v_lshlrev_b64 v[40:41], 4, v[0:1]
	v_add3_u32 v19, v19, v25, v24
	v_lshlrev_b64 v[18:19], 4, v[18:19]
	v_fma_f64 v[24:25], s[14:15], v[14:15], -v[20:21]
	v_fma_f64 v[26:27], s[16:17], v[14:15], v[26:27]
	v_fma_f64 v[36:37], s[14:15], v[2:3], -v[36:37]
	v_add_co_u32 v42, vcc_lo, s2, v18
	v_add_co_ci_u32_e64 v43, null, s3, v19, vcc_lo
	v_fma_f64 v[18:19], s[16:17], v[2:3], v[38:39]
	v_fma_f64 v[28:29], s[14:15], v[10:11], -v[28:29]
	v_fma_f64 v[30:31], s[16:17], v[10:11], v[30:31]
	v_fma_f64 v[32:33], s[14:15], v[6:7], -v[32:33]
	v_fma_f64 v[34:35], s[16:17], v[6:7], v[34:35]
	v_add_co_u32 v20, vcc_lo, v42, s0
	v_add_co_ci_u32_e64 v21, null, s1, v43, vcc_lo
	v_add_co_u32 v38, vcc_lo, v20, v40
	v_add_co_ci_u32_e64 v39, null, v21, v41, vcc_lo
	;; [unrolled: 2-line block ×4, first 2 shown]
	global_store_dwordx4 v[40:41], v[24:27], off
	global_store_dwordx4 v[40:41], v[28:31], off offset:256
	global_store_dwordx4 v[38:39], v[32:35], off
	global_store_dwordx2 v[38:39], v[36:37], off offset:256
	s_cbranch_execz .LBB542_7
	s_branch .LBB542_8
.LBB542_6:
                                        ; implicit-def: $vgpr18_vgpr19
                                        ; implicit-def: $vgpr20_vgpr21
.LBB542_7:
	v_mul_lo_u32 v20, v23, s44
	v_mul_lo_u32 v21, v22, s45
	v_mad_u64_u32 v[18:19], null, v22, s44, 0
	s_mul_i32 s1, s47, s8
	s_mul_hi_u32 s4, s46, s8
	s_mul_i32 s0, s46, s8
	s_add_i32 s1, s4, s1
	v_lshlrev_b64 v[0:1], 4, v[0:1]
	s_lshl_b64 s[0:1], s[0:1], 4
	v_add3_u32 v19, v19, v21, v20
	s_add_u32 s0, s42, s0
	s_addc_u32 s1, s43, s1
	v_mul_f64 v[26:27], s[16:17], v[16:17]
	v_mul_f64 v[16:17], s[14:15], v[16:17]
	v_lshlrev_b64 v[18:19], 4, v[18:19]
	v_mul_lo_u32 v23, v23, s50
	v_add_co_u32 v30, vcc_lo, s0, v18
	v_add_co_ci_u32_e64 v31, null, s1, v19, vcc_lo
	s_lshl_b64 s[0:1], s[44:45], 8
	v_add_co_u32 v24, vcc_lo, v30, v0
	v_add_co_ci_u32_e64 v25, null, v31, v1, vcc_lo
	global_load_dwordx4 v[18:21], v[24:25], off
	v_fma_f64 v[26:27], s[14:15], v[14:15], -v[26:27]
	v_fma_f64 v[16:17], s[16:17], v[14:15], v[16:17]
	s_waitcnt vmcnt(0)
	v_mul_f64 v[28:29], s[40:41], v[20:21]
	v_mul_f64 v[20:21], s[38:39], v[20:21]
	v_fma_f64 v[14:15], s[38:39], v[18:19], -v[28:29]
	v_fma_f64 v[18:19], s[40:41], v[18:19], v[20:21]
	v_mul_lo_u32 v28, v22, s51
	v_mad_u64_u32 v[20:21], null, v22, s50, 0
	v_add3_u32 v21, v21, v28, v23
	v_add_f64 v[14:15], v[26:27], v[14:15]
	v_add_f64 v[16:17], v[16:17], v[18:19]
	v_lshlrev_b64 v[18:19], 4, v[20:21]
	v_mul_f64 v[20:21], s[16:17], v[12:13]
	v_mul_f64 v[12:13], s[14:15], v[12:13]
	v_add_co_u32 v26, vcc_lo, s2, v18
	v_add_co_ci_u32_e64 v27, null, s3, v19, vcc_lo
	v_add_co_u32 v18, vcc_lo, v26, v0
	v_add_co_ci_u32_e64 v19, null, v27, v1, vcc_lo
	global_store_dwordx4 v[18:19], v[14:17], off
	global_load_dwordx4 v[14:17], v[24:25], off offset:256
	v_fma_f64 v[20:21], s[14:15], v[10:11], -v[20:21]
	v_fma_f64 v[12:13], s[16:17], v[10:11], v[12:13]
	s_waitcnt vmcnt(0)
	v_mul_f64 v[22:23], s[40:41], v[16:17]
	v_mul_f64 v[16:17], s[38:39], v[16:17]
	v_fma_f64 v[10:11], s[38:39], v[14:15], -v[22:23]
	v_fma_f64 v[14:15], s[40:41], v[14:15], v[16:17]
	v_mul_f64 v[16:17], s[16:17], v[8:9]
	v_mul_f64 v[8:9], s[14:15], v[8:9]
	v_add_f64 v[10:11], v[20:21], v[10:11]
	v_add_f64 v[12:13], v[12:13], v[14:15]
	v_add_co_u32 v14, vcc_lo, v30, s0
	v_add_co_ci_u32_e64 v15, null, s1, v31, vcc_lo
	v_fma_f64 v[16:17], s[14:15], v[6:7], -v[16:17]
	v_add_co_u32 v14, vcc_lo, v14, v0
	v_add_co_ci_u32_e64 v15, null, v15, v1, vcc_lo
	v_fma_f64 v[8:9], s[16:17], v[6:7], v[8:9]
	s_lshl_b64 s[0:1], s[50:51], 8
	global_store_dwordx4 v[18:19], v[10:13], off offset:256
	global_load_dwordx4 v[10:13], v[14:15], off
	s_waitcnt vmcnt(0)
	v_mul_f64 v[18:19], s[40:41], v[12:13]
	v_mul_f64 v[12:13], s[38:39], v[12:13]
	v_fma_f64 v[6:7], s[38:39], v[10:11], -v[18:19]
	v_fma_f64 v[10:11], s[40:41], v[10:11], v[12:13]
	v_add_f64 v[6:7], v[16:17], v[6:7]
	v_add_f64 v[8:9], v[8:9], v[10:11]
	v_add_co_u32 v10, vcc_lo, v26, s0
	v_add_co_ci_u32_e64 v11, null, s1, v27, vcc_lo
	v_add_co_u32 v0, vcc_lo, v10, v0
	v_add_co_ci_u32_e64 v1, null, v11, v1, vcc_lo
	v_mul_f64 v[10:11], s[16:17], v[4:5]
	v_mul_f64 v[4:5], s[14:15], v[4:5]
	v_add_co_u32 v20, vcc_lo, 0x100, v0
	v_add_co_ci_u32_e64 v21, null, 0, v1, vcc_lo
	global_store_dwordx4 v[0:1], v[6:9], off
	global_load_dwordx4 v[6:9], v[14:15], off offset:256
	v_fma_f64 v[10:11], s[14:15], v[2:3], -v[10:11]
	v_fma_f64 v[2:3], s[16:17], v[2:3], v[4:5]
	s_waitcnt vmcnt(0)
	v_mul_f64 v[12:13], s[40:41], v[8:9]
	v_mul_f64 v[8:9], s[38:39], v[8:9]
	v_fma_f64 v[4:5], s[38:39], v[6:7], -v[12:13]
	v_fma_f64 v[6:7], s[40:41], v[6:7], v[8:9]
	v_add_f64 v[4:5], v[10:11], v[4:5]
	v_add_f64 v[18:19], v[2:3], v[6:7]
	global_store_dwordx2 v[0:1], v[4:5], off offset:256
.LBB542_8:
	global_store_dwordx2 v[20:21], v[18:19], off offset:8
	s_endpgm
	.section	.rodata,"a",@progbits
	.p2align	6, 0x0
	.amdhsa_kernel _ZN12_GLOBAL__N_127rocblas_gemm_batched_kernelI19rocblas_complex_numIdELi16ELi16ELi32ELi32ELi8ELi32ELi8ELi8ELi32ELc67ELc67EKS2_S3_S2_EEvlllT_PT11_llS6_llS4_PT12_llPT13_lli
		.amdhsa_group_segment_fixed_size 8192
		.amdhsa_private_segment_fixed_size 0
		.amdhsa_kernarg_size 156
		.amdhsa_user_sgpr_count 6
		.amdhsa_user_sgpr_private_segment_buffer 1
		.amdhsa_user_sgpr_dispatch_ptr 0
		.amdhsa_user_sgpr_queue_ptr 0
		.amdhsa_user_sgpr_kernarg_segment_ptr 1
		.amdhsa_user_sgpr_dispatch_id 0
		.amdhsa_user_sgpr_flat_scratch_init 0
		.amdhsa_user_sgpr_private_segment_size 0
		.amdhsa_wavefront_size32 1
		.amdhsa_uses_dynamic_stack 0
		.amdhsa_system_sgpr_private_segment_wavefront_offset 0
		.amdhsa_system_sgpr_workgroup_id_x 1
		.amdhsa_system_sgpr_workgroup_id_y 1
		.amdhsa_system_sgpr_workgroup_id_z 1
		.amdhsa_system_sgpr_workgroup_info 0
		.amdhsa_system_vgpr_workitem_id 1
		.amdhsa_next_free_vgpr 162
		.amdhsa_next_free_sgpr 52
		.amdhsa_reserve_vcc 1
		.amdhsa_reserve_flat_scratch 0
		.amdhsa_float_round_mode_32 0
		.amdhsa_float_round_mode_16_64 0
		.amdhsa_float_denorm_mode_32 3
		.amdhsa_float_denorm_mode_16_64 3
		.amdhsa_dx10_clamp 1
		.amdhsa_ieee_mode 1
		.amdhsa_fp16_overflow 0
		.amdhsa_workgroup_processor_mode 1
		.amdhsa_memory_ordered 1
		.amdhsa_forward_progress 1
		.amdhsa_shared_vgpr_count 0
		.amdhsa_exception_fp_ieee_invalid_op 0
		.amdhsa_exception_fp_denorm_src 0
		.amdhsa_exception_fp_ieee_div_zero 0
		.amdhsa_exception_fp_ieee_overflow 0
		.amdhsa_exception_fp_ieee_underflow 0
		.amdhsa_exception_fp_ieee_inexact 0
		.amdhsa_exception_int_div_zero 0
	.end_amdhsa_kernel
	.section	.text._ZN12_GLOBAL__N_127rocblas_gemm_batched_kernelI19rocblas_complex_numIdELi16ELi16ELi32ELi32ELi8ELi32ELi8ELi8ELi32ELc67ELc67EKS2_S3_S2_EEvlllT_PT11_llS6_llS4_PT12_llPT13_lli,"axG",@progbits,_ZN12_GLOBAL__N_127rocblas_gemm_batched_kernelI19rocblas_complex_numIdELi16ELi16ELi32ELi32ELi8ELi32ELi8ELi8ELi32ELc67ELc67EKS2_S3_S2_EEvlllT_PT11_llS6_llS4_PT12_llPT13_lli,comdat
.Lfunc_end542:
	.size	_ZN12_GLOBAL__N_127rocblas_gemm_batched_kernelI19rocblas_complex_numIdELi16ELi16ELi32ELi32ELi8ELi32ELi8ELi8ELi32ELc67ELc67EKS2_S3_S2_EEvlllT_PT11_llS6_llS4_PT12_llPT13_lli, .Lfunc_end542-_ZN12_GLOBAL__N_127rocblas_gemm_batched_kernelI19rocblas_complex_numIdELi16ELi16ELi32ELi32ELi8ELi32ELi8ELi8ELi32ELc67ELc67EKS2_S3_S2_EEvlllT_PT11_llS6_llS4_PT12_llPT13_lli
                                        ; -- End function
	.set _ZN12_GLOBAL__N_127rocblas_gemm_batched_kernelI19rocblas_complex_numIdELi16ELi16ELi32ELi32ELi8ELi32ELi8ELi8ELi32ELc67ELc67EKS2_S3_S2_EEvlllT_PT11_llS6_llS4_PT12_llPT13_lli.num_vgpr, 162
	.set _ZN12_GLOBAL__N_127rocblas_gemm_batched_kernelI19rocblas_complex_numIdELi16ELi16ELi32ELi32ELi8ELi32ELi8ELi8ELi32ELc67ELc67EKS2_S3_S2_EEvlllT_PT11_llS6_llS4_PT12_llPT13_lli.num_agpr, 0
	.set _ZN12_GLOBAL__N_127rocblas_gemm_batched_kernelI19rocblas_complex_numIdELi16ELi16ELi32ELi32ELi8ELi32ELi8ELi8ELi32ELc67ELc67EKS2_S3_S2_EEvlllT_PT11_llS6_llS4_PT12_llPT13_lli.numbered_sgpr, 52
	.set _ZN12_GLOBAL__N_127rocblas_gemm_batched_kernelI19rocblas_complex_numIdELi16ELi16ELi32ELi32ELi8ELi32ELi8ELi8ELi32ELc67ELc67EKS2_S3_S2_EEvlllT_PT11_llS6_llS4_PT12_llPT13_lli.num_named_barrier, 0
	.set _ZN12_GLOBAL__N_127rocblas_gemm_batched_kernelI19rocblas_complex_numIdELi16ELi16ELi32ELi32ELi8ELi32ELi8ELi8ELi32ELc67ELc67EKS2_S3_S2_EEvlllT_PT11_llS6_llS4_PT12_llPT13_lli.private_seg_size, 0
	.set _ZN12_GLOBAL__N_127rocblas_gemm_batched_kernelI19rocblas_complex_numIdELi16ELi16ELi32ELi32ELi8ELi32ELi8ELi8ELi32ELc67ELc67EKS2_S3_S2_EEvlllT_PT11_llS6_llS4_PT12_llPT13_lli.uses_vcc, 1
	.set _ZN12_GLOBAL__N_127rocblas_gemm_batched_kernelI19rocblas_complex_numIdELi16ELi16ELi32ELi32ELi8ELi32ELi8ELi8ELi32ELc67ELc67EKS2_S3_S2_EEvlllT_PT11_llS6_llS4_PT12_llPT13_lli.uses_flat_scratch, 0
	.set _ZN12_GLOBAL__N_127rocblas_gemm_batched_kernelI19rocblas_complex_numIdELi16ELi16ELi32ELi32ELi8ELi32ELi8ELi8ELi32ELc67ELc67EKS2_S3_S2_EEvlllT_PT11_llS6_llS4_PT12_llPT13_lli.has_dyn_sized_stack, 0
	.set _ZN12_GLOBAL__N_127rocblas_gemm_batched_kernelI19rocblas_complex_numIdELi16ELi16ELi32ELi32ELi8ELi32ELi8ELi8ELi32ELc67ELc67EKS2_S3_S2_EEvlllT_PT11_llS6_llS4_PT12_llPT13_lli.has_recursion, 0
	.set _ZN12_GLOBAL__N_127rocblas_gemm_batched_kernelI19rocblas_complex_numIdELi16ELi16ELi32ELi32ELi8ELi32ELi8ELi8ELi32ELc67ELc67EKS2_S3_S2_EEvlllT_PT11_llS6_llS4_PT12_llPT13_lli.has_indirect_call, 0
	.section	.AMDGPU.csdata,"",@progbits
; Kernel info:
; codeLenInByte = 3584
; TotalNumSgprs: 54
; NumVgprs: 162
; ScratchSize: 0
; MemoryBound: 0
; FloatMode: 240
; IeeeMode: 1
; LDSByteSize: 8192 bytes/workgroup (compile time only)
; SGPRBlocks: 0
; VGPRBlocks: 20
; NumSGPRsForWavesPerEU: 54
; NumVGPRsForWavesPerEU: 162
; Occupancy: 5
; WaveLimiterHint : 1
; COMPUTE_PGM_RSRC2:SCRATCH_EN: 0
; COMPUTE_PGM_RSRC2:USER_SGPR: 6
; COMPUTE_PGM_RSRC2:TRAP_HANDLER: 0
; COMPUTE_PGM_RSRC2:TGID_X_EN: 1
; COMPUTE_PGM_RSRC2:TGID_Y_EN: 1
; COMPUTE_PGM_RSRC2:TGID_Z_EN: 1
; COMPUTE_PGM_RSRC2:TIDIG_COMP_CNT: 1
	.section	.text._ZN12_GLOBAL__N_127rocblas_gemm_batched_kernelI19rocblas_complex_numIdELi16ELi16ELi32ELi32ELi8ELi32ELi8ELi8ELi32ELc67ELc78EKS2_S3_S2_EEvlllT_PT11_llS6_llS4_PT12_llPT13_lli,"axG",@progbits,_ZN12_GLOBAL__N_127rocblas_gemm_batched_kernelI19rocblas_complex_numIdELi16ELi16ELi32ELi32ELi8ELi32ELi8ELi8ELi32ELc67ELc78EKS2_S3_S2_EEvlllT_PT11_llS6_llS4_PT12_llPT13_lli,comdat
	.globl	_ZN12_GLOBAL__N_127rocblas_gemm_batched_kernelI19rocblas_complex_numIdELi16ELi16ELi32ELi32ELi8ELi32ELi8ELi8ELi32ELc67ELc78EKS2_S3_S2_EEvlllT_PT11_llS6_llS4_PT12_llPT13_lli ; -- Begin function _ZN12_GLOBAL__N_127rocblas_gemm_batched_kernelI19rocblas_complex_numIdELi16ELi16ELi32ELi32ELi8ELi32ELi8ELi8ELi32ELc67ELc78EKS2_S3_S2_EEvlllT_PT11_llS6_llS4_PT12_llPT13_lli
	.p2align	8
	.type	_ZN12_GLOBAL__N_127rocblas_gemm_batched_kernelI19rocblas_complex_numIdELi16ELi16ELi32ELi32ELi8ELi32ELi8ELi8ELi32ELc67ELc78EKS2_S3_S2_EEvlllT_PT11_llS6_llS4_PT12_llPT13_lli,@function
_ZN12_GLOBAL__N_127rocblas_gemm_batched_kernelI19rocblas_complex_numIdELi16ELi16ELi32ELi32ELi8ELi32ELi8ELi8ELi32ELc67ELc78EKS2_S3_S2_EEvlllT_PT11_llS6_llS4_PT12_llPT13_lli: ; @_ZN12_GLOBAL__N_127rocblas_gemm_batched_kernelI19rocblas_complex_numIdELi16ELi16ELi32ELi32ELi8ELi32ELi8ELi8ELi32ELc67ELc78EKS2_S3_S2_EEvlllT_PT11_llS6_llS4_PT12_llPT13_lli
; %bb.0:
	s_clause 0x1
	s_load_dwordx16 s[12:27], s[4:5], 0x10
	s_load_dwordx16 s[36:51], s[4:5], 0x50
	s_mov_b32 s2, s7
	s_ashr_i32 s7, s6, 31
	s_ashr_i32 s3, s2, 31
	s_lshl_b64 s[0:1], s[6:7], 5
	s_lshl_b64 s[2:3], s[2:3], 5
	s_waitcnt lgkmcnt(0)
	v_cmp_lt_i64_e64 s9, s[12:13], 1
	s_and_b32 vcc_lo, exec_lo, s9
	s_cbranch_vccnz .LBB543_3
; %bb.1:
	v_lshl_add_u32 v4, v1, 4, v0
	v_and_b32_e32 v6, 7, v0
	s_mul_i32 s7, s23, s8
	s_mul_hi_u32 s9, s22, s8
	v_mov_b32_e32 v12, 0
	v_and_b32_e32 v5, 31, v4
	v_lshrrev_b32_e32 v9, 3, v4
	v_lshlrev_b32_e32 v6, 4, v6
	s_add_i32 s7, s9, s7
	v_lshrrev_b32_e32 v10, 5, v4
	v_add_co_u32 v2, s6, s0, v5
	v_add_co_ci_u32_e64 v3, null, s1, 0, s6
	v_lshlrev_b32_e32 v4, 4, v5
	v_mul_lo_u32 v7, s21, v2
	v_lshl_or_b32 v5, v9, 7, v6
	v_mul_lo_u32 v8, s20, v3
	v_mad_u64_u32 v[2:3], null, s20, v2, 0
	v_lshl_or_b32 v23, v10, 9, v4
	v_add_nc_u32_e32 v24, 0x1000, v5
	s_mul_i32 s6, s22, s8
	v_mov_b32_e32 v16, 0
	s_lshl_b64 s[6:7], s[6:7], 4
	v_mov_b32_e32 v14, 0
	v_add3_u32 v3, v3, v8, v7
	v_add_co_u32 v7, s9, v9, s2
	v_add_co_ci_u32_e64 v8, null, 0, s3, s9
	v_lshlrev_b64 v[2:3], 4, v[2:3]
	v_mul_lo_u32 v9, s27, v7
	v_mad_u64_u32 v[4:5], null, s26, v7, 0
	v_mul_lo_u32 v8, s26, v8
	v_lshlrev_b32_e32 v7, 4, v10
	v_add_co_u32 v2, vcc_lo, v2, s6
	v_add_co_ci_u32_e64 v3, null, s7, v3, vcc_lo
	s_mul_i32 s6, s37, s8
	v_add_co_u32 v7, vcc_lo, v2, v7
	v_add3_u32 v5, v5, v8, v9
	v_add_co_ci_u32_e64 v8, null, 0, v3, vcc_lo
	s_mul_hi_u32 s7, s36, s8
	v_mov_b32_e32 v10, 0
	v_lshlrev_b64 v[2:3], 4, v[4:5]
	s_add_i32 s7, s7, s6
	s_mul_i32 s6, s36, s8
	v_add_co_u32 v4, vcc_lo, s18, v7
	s_lshl_b64 s[6:7], s[6:7], 4
	v_add_co_ci_u32_e64 v5, null, s19, v8, vcc_lo
	v_add_co_u32 v2, vcc_lo, v2, s6
	v_add_co_ci_u32_e64 v3, null, s7, v3, vcc_lo
	v_add_co_u32 v18, vcc_lo, v4, 8
	;; [unrolled: 2-line block ×3, first 2 shown]
	v_add_co_ci_u32_e64 v21, null, 0, v3, vcc_lo
	v_mov_b32_e32 v4, 0
	v_add_co_u32 v20, vcc_lo, s24, v20
	v_mov_b32_e32 v2, 0
	v_mov_b32_e32 v8, 0
	;; [unrolled: 1-line block ×3, first 2 shown]
	v_lshlrev_b32_e32 v22, 4, v0
	v_lshl_add_u32 v25, v1, 7, 0x1000
	v_mov_b32_e32 v5, 0
	v_mov_b32_e32 v3, 0
	;; [unrolled: 1-line block ×8, first 2 shown]
	v_add_co_ci_u32_e64 v21, null, s25, v21, vcc_lo
	s_mov_b64 s[6:7], 0
.LBB543_2:                              ; =>This Inner Loop Header: Depth=1
	global_load_dwordx4 v[26:29], v[18:19], off offset:-8
	global_load_dwordx4 v[30:33], v[20:21], off
	s_add_u32 s6, s6, 8
	s_addc_u32 s7, s7, 0
	v_add_co_u32 v18, vcc_lo, 0x80, v18
	v_cmp_lt_i64_e64 s9, s[6:7], s[12:13]
	v_add_co_ci_u32_e64 v19, null, 0, v19, vcc_lo
	v_add_co_u32 v20, vcc_lo, 0x80, v20
	v_add_co_ci_u32_e64 v21, null, 0, v21, vcc_lo
	s_and_b32 vcc_lo, exec_lo, s9
	s_waitcnt vmcnt(1)
	v_xor_b32_e32 v29, 0x80000000, v29
	s_waitcnt vmcnt(0)
	ds_write2_b64 v24, v[30:31], v[32:33] offset1:1
	ds_write_b128 v23, v[26:29]
	s_waitcnt lgkmcnt(0)
	s_barrier
	buffer_gl0_inv
	ds_read_b128 v[26:29], v22
	ds_read_b128 v[30:33], v22 offset:256
	ds_read_b128 v[34:37], v25
	ds_read_b128 v[38:41], v25 offset:16
	ds_read_b128 v[42:45], v25 offset:2048
	ds_read_b128 v[46:49], v25 offset:2064
	ds_read_b128 v[50:53], v22 offset:512
	ds_read_b128 v[54:57], v22 offset:768
	ds_read_b128 v[58:61], v25 offset:32
	ds_read_b128 v[62:65], v25 offset:48
	ds_read_b128 v[66:69], v22 offset:1024
	ds_read_b128 v[70:73], v22 offset:1280
	ds_read_b128 v[74:77], v25 offset:2080
	ds_read_b128 v[78:81], v25 offset:2096
	ds_read_b128 v[82:85], v22 offset:1536
	ds_read_b128 v[86:89], v22 offset:1792
	ds_read_b128 v[90:93], v22 offset:2048
	ds_read_b128 v[94:97], v22 offset:2304
	ds_read_b128 v[98:101], v25 offset:64
	ds_read_b128 v[102:105], v25 offset:80
	ds_read_b128 v[106:109], v25 offset:2112
	ds_read_b128 v[110:113], v25 offset:2128
	ds_read_b128 v[114:117], v22 offset:2560
	ds_read_b128 v[118:121], v22 offset:2816
	ds_read_b128 v[122:125], v22 offset:3072
	ds_read_b128 v[126:129], v22 offset:3328
	ds_read_b128 v[130:133], v25 offset:96
	ds_read_b128 v[134:137], v25 offset:112
	ds_read_b128 v[138:141], v25 offset:2144
	ds_read_b128 v[142:145], v25 offset:2160
	ds_read_b128 v[146:149], v22 offset:3584
	s_waitcnt lgkmcnt(28)
	v_mul_f64 v[150:151], v[36:37], v[28:29]
	v_mul_f64 v[154:155], v[36:37], v[32:33]
	;; [unrolled: 1-line block ×4, first 2 shown]
	v_fma_f64 v[150:151], v[34:35], v[26:27], -v[150:151]
	v_fma_f64 v[34:35], v[34:35], v[30:31], -v[154:155]
	s_waitcnt lgkmcnt(26)
	v_mul_f64 v[154:155], v[44:45], v[28:29]
	v_mul_f64 v[28:29], v[42:43], v[28:29]
	v_fma_f64 v[152:153], v[36:37], v[26:27], v[152:153]
	v_fma_f64 v[36:37], v[36:37], v[30:31], v[156:157]
	v_add_f64 v[14:15], v[14:15], v[150:151]
	v_add_f64 v[10:11], v[10:11], v[34:35]
	v_fma_f64 v[154:155], v[42:43], v[26:27], -v[154:155]
	v_fma_f64 v[156:157], v[44:45], v[26:27], v[28:29]
	v_mul_f64 v[26:27], v[44:45], v[32:33]
	v_mul_f64 v[28:29], v[42:43], v[32:33]
	v_add_f64 v[16:17], v[152:153], v[16:17]
	v_add_f64 v[12:13], v[36:37], v[12:13]
	s_waitcnt lgkmcnt(16)
	v_mul_f64 v[34:35], v[64:65], v[84:85]
	v_mul_f64 v[36:37], v[62:63], v[84:85]
	s_waitcnt lgkmcnt(15)
	v_mul_f64 v[150:151], v[62:63], v[88:89]
	s_waitcnt lgkmcnt(12)
	v_mul_f64 v[152:153], v[98:99], v[96:97]
	v_add_f64 v[6:7], v[6:7], v[154:155]
	v_add_f64 v[8:9], v[156:157], v[8:9]
	v_fma_f64 v[32:33], v[42:43], v[30:31], -v[26:27]
	v_fma_f64 v[30:31], v[44:45], v[30:31], v[28:29]
	v_mul_f64 v[26:27], v[40:41], v[52:53]
	v_mul_f64 v[28:29], v[38:39], v[52:53]
	v_mul_f64 v[42:43], v[40:41], v[56:57]
	v_mul_f64 v[44:45], v[38:39], v[56:57]
	v_fma_f64 v[34:35], v[62:63], v[82:83], -v[34:35]
	v_fma_f64 v[36:37], v[64:65], v[82:83], v[36:37]
	v_add_f64 v[2:3], v[2:3], v[32:33]
	v_add_f64 v[4:5], v[30:31], v[4:5]
	v_fma_f64 v[158:159], v[38:39], v[50:51], -v[26:27]
	v_fma_f64 v[160:161], v[40:41], v[50:51], v[28:29]
	v_mul_f64 v[26:27], v[48:49], v[52:53]
	v_mul_f64 v[28:29], v[46:47], v[52:53]
	v_fma_f64 v[38:39], v[38:39], v[54:55], -v[42:43]
	v_fma_f64 v[40:41], v[40:41], v[54:55], v[44:45]
	v_mul_f64 v[52:53], v[58:59], v[72:73]
	v_mul_f64 v[30:31], v[80:81], v[84:85]
	;; [unrolled: 1-line block ×4, first 2 shown]
	v_add_f64 v[14:15], v[14:15], v[158:159]
	v_add_f64 v[16:17], v[160:161], v[16:17]
	v_fma_f64 v[42:43], v[46:47], v[50:51], -v[26:27]
	v_fma_f64 v[44:45], v[48:49], v[50:51], v[28:29]
	v_mul_f64 v[26:27], v[48:49], v[56:57]
	v_mul_f64 v[28:29], v[46:47], v[56:57]
	;; [unrolled: 1-line block ×3, first 2 shown]
	v_fma_f64 v[52:53], v[60:61], v[70:71], v[52:53]
	v_add_f64 v[10:11], v[10:11], v[38:39]
	v_add_f64 v[12:13], v[40:41], v[12:13]
	s_waitcnt lgkmcnt(10)
	v_mul_f64 v[38:39], v[108:109], v[92:93]
	v_mul_f64 v[40:41], v[106:107], v[92:93]
	v_fma_f64 v[30:31], v[78:79], v[82:83], -v[30:31]
	v_fma_f64 v[32:33], v[80:81], v[82:83], v[32:33]
	s_waitcnt lgkmcnt(8)
	v_mul_f64 v[82:83], v[112:113], v[116:117]
	v_add_f64 v[6:7], v[6:7], v[42:43]
	v_add_f64 v[8:9], v[44:45], v[8:9]
	v_fma_f64 v[46:47], v[46:47], v[54:55], -v[26:27]
	v_fma_f64 v[48:49], v[48:49], v[54:55], v[28:29]
	v_mul_f64 v[26:27], v[60:61], v[68:69]
	v_mul_f64 v[28:29], v[58:59], v[68:69]
	v_fma_f64 v[50:51], v[58:59], v[70:71], -v[50:51]
	v_mul_f64 v[42:43], v[108:109], v[96:97]
	v_mul_f64 v[44:45], v[106:107], v[96:97]
	v_add_f64 v[12:13], v[52:53], v[12:13]
	s_waitcnt lgkmcnt(7)
	v_mul_f64 v[52:53], v[110:111], v[120:121]
	v_fma_f64 v[38:39], v[106:107], v[90:91], -v[38:39]
	v_fma_f64 v[40:41], v[108:109], v[90:91], v[40:41]
	v_add_f64 v[2:3], v[2:3], v[46:47]
	v_add_f64 v[4:5], v[48:49], v[4:5]
	v_fma_f64 v[54:55], v[58:59], v[66:67], -v[26:27]
	v_fma_f64 v[56:57], v[60:61], v[66:67], v[28:29]
	v_mul_f64 v[26:27], v[76:77], v[68:69]
	v_mul_f64 v[28:29], v[74:75], v[68:69]
	v_mul_f64 v[68:69], v[74:75], v[72:73]
	v_add_f64 v[10:11], v[10:11], v[50:51]
	v_mul_f64 v[46:47], v[104:105], v[116:117]
	v_mul_f64 v[48:49], v[102:103], v[116:117]
	;; [unrolled: 1-line block ×3, first 2 shown]
	v_fma_f64 v[42:43], v[106:107], v[94:95], -v[42:43]
	v_fma_f64 v[44:45], v[108:109], v[94:95], v[44:45]
	v_fma_f64 v[52:53], v[112:113], v[118:119], v[52:53]
	v_add_f64 v[14:15], v[14:15], v[54:55]
	v_add_f64 v[16:17], v[56:57], v[16:17]
	v_fma_f64 v[58:59], v[74:75], v[66:67], -v[26:27]
	v_fma_f64 v[60:61], v[76:77], v[66:67], v[28:29]
	v_mul_f64 v[66:67], v[76:77], v[72:73]
	v_mul_f64 v[72:73], v[64:65], v[88:89]
	v_fma_f64 v[68:69], v[76:77], v[70:71], v[68:69]
	v_mul_f64 v[76:77], v[100:101], v[92:93]
	v_fma_f64 v[64:65], v[64:65], v[86:87], v[150:151]
	v_mul_f64 v[92:93], v[102:103], v[120:121]
	s_waitcnt lgkmcnt(4)
	v_mul_f64 v[54:55], v[132:133], v[124:125]
	v_mul_f64 v[56:57], v[130:131], v[124:125]
	v_fma_f64 v[46:47], v[102:103], v[114:115], -v[46:47]
	v_fma_f64 v[48:49], v[104:105], v[114:115], v[48:49]
	v_fma_f64 v[50:51], v[110:111], v[118:119], -v[50:51]
	ds_read_b128 v[26:29], v22 offset:3840
	s_waitcnt lgkmcnt(0)
	s_barrier
	buffer_gl0_inv
	v_add_f64 v[14:15], v[14:15], v[34:35]
	v_add_f64 v[16:17], v[36:37], v[16:17]
	;; [unrolled: 1-line block ×4, first 2 shown]
	v_fma_f64 v[66:67], v[74:75], v[70:71], -v[66:67]
	v_mul_f64 v[70:71], v[80:81], v[88:89]
	v_mul_f64 v[74:75], v[78:79], v[88:89]
	;; [unrolled: 1-line block ×3, first 2 shown]
	v_fma_f64 v[62:63], v[62:63], v[86:87], -v[72:73]
	v_add_f64 v[4:5], v[68:69], v[4:5]
	v_mul_f64 v[72:73], v[104:105], v[120:121]
	v_mul_f64 v[96:97], v[110:111], v[116:117]
	v_fma_f64 v[68:69], v[100:101], v[90:91], v[84:85]
	v_add_f64 v[12:13], v[64:65], v[12:13]
	v_mul_f64 v[58:59], v[132:133], v[128:129]
	v_mul_f64 v[60:61], v[130:131], v[128:129]
	;; [unrolled: 1-line block ×5, first 2 shown]
	v_fma_f64 v[54:55], v[130:131], v[122:123], -v[54:55]
	v_fma_f64 v[56:57], v[132:133], v[122:123], v[56:57]
	v_add_f64 v[6:7], v[6:7], v[30:31]
	v_add_f64 v[8:9], v[32:33], v[8:9]
	;; [unrolled: 1-line block ×3, first 2 shown]
	v_fma_f64 v[70:71], v[78:79], v[86:87], -v[70:71]
	v_fma_f64 v[74:75], v[80:81], v[86:87], v[74:75]
	v_fma_f64 v[66:67], v[98:99], v[90:91], -v[76:77]
	v_fma_f64 v[76:77], v[98:99], v[94:95], -v[88:89]
	v_fma_f64 v[78:79], v[100:101], v[94:95], v[152:153]
	v_add_f64 v[10:11], v[10:11], v[62:63]
	v_mul_f64 v[30:31], v[140:141], v[124:125]
	v_mul_f64 v[32:33], v[138:139], v[124:125]
	v_fma_f64 v[80:81], v[112:113], v[114:115], v[96:97]
	v_add_f64 v[16:17], v[68:69], v[16:17]
	v_mul_f64 v[62:63], v[136:137], v[148:149]
	v_fma_f64 v[58:59], v[130:131], v[126:127], -v[58:59]
	v_fma_f64 v[60:61], v[132:133], v[126:127], v[60:61]
	v_fma_f64 v[34:35], v[138:139], v[126:127], -v[34:35]
	v_fma_f64 v[36:37], v[140:141], v[126:127], v[36:37]
	v_add_f64 v[6:7], v[6:7], v[38:39]
	v_add_f64 v[8:9], v[40:41], v[8:9]
	v_mul_f64 v[38:39], v[136:137], v[28:29]
	v_add_f64 v[2:3], v[2:3], v[70:71]
	v_add_f64 v[4:5], v[74:75], v[4:5]
	v_fma_f64 v[70:71], v[102:103], v[118:119], -v[72:73]
	v_fma_f64 v[72:73], v[104:105], v[118:119], v[92:93]
	v_fma_f64 v[74:75], v[110:111], v[114:115], -v[82:83]
	v_add_f64 v[14:15], v[14:15], v[66:67]
	v_add_f64 v[10:11], v[10:11], v[76:77]
	v_add_f64 v[12:13], v[78:79], v[12:13]
	v_mul_f64 v[40:41], v[134:135], v[28:29]
	v_mul_f64 v[66:67], v[144:145], v[28:29]
	;; [unrolled: 1-line block ×3, first 2 shown]
	v_fma_f64 v[30:31], v[138:139], v[122:123], -v[30:31]
	v_fma_f64 v[32:33], v[140:141], v[122:123], v[32:33]
	v_add_f64 v[16:17], v[48:49], v[16:17]
	v_fma_f64 v[48:49], v[136:137], v[146:147], v[64:65]
	v_add_f64 v[8:9], v[80:81], v[8:9]
	v_fma_f64 v[38:39], v[134:135], v[26:27], -v[38:39]
	v_add_f64 v[2:3], v[2:3], v[42:43]
	v_add_f64 v[4:5], v[44:45], v[4:5]
	v_mul_f64 v[42:43], v[144:145], v[148:149]
	v_mul_f64 v[44:45], v[142:143], v[148:149]
	v_add_f64 v[6:7], v[6:7], v[74:75]
	v_add_f64 v[14:15], v[14:15], v[46:47]
	;; [unrolled: 1-line block ×4, first 2 shown]
	v_fma_f64 v[46:47], v[134:135], v[146:147], -v[62:63]
	v_fma_f64 v[40:41], v[136:137], v[26:27], v[40:41]
	v_add_f64 v[16:17], v[56:57], v[16:17]
	v_add_f64 v[8:9], v[32:33], v[8:9]
	;; [unrolled: 1-line block ×4, first 2 shown]
	v_fma_f64 v[42:43], v[142:143], v[146:147], -v[42:43]
	v_fma_f64 v[44:45], v[144:145], v[146:147], v[44:45]
	v_fma_f64 v[50:51], v[142:143], v[26:27], -v[66:67]
	v_fma_f64 v[26:27], v[144:145], v[26:27], v[28:29]
	v_add_f64 v[14:15], v[14:15], v[54:55]
	v_add_f64 v[10:11], v[10:11], v[58:59]
	;; [unrolled: 1-line block ×14, first 2 shown]
	s_cbranch_vccnz .LBB543_2
	s_branch .LBB543_4
.LBB543_3:
	v_mov_b32_e32 v14, 0
	v_mov_b32_e32 v16, 0
	;; [unrolled: 1-line block ×16, first 2 shown]
.LBB543_4:
	s_load_dwordx2 s[4:5], s[4:5], 0x90
	v_cmp_neq_f64_e64 s6, s[38:39], 0
	v_cmp_neq_f64_e64 s7, s[40:41], 0
	v_add_co_u32 v22, s2, s2, v1
	v_add_co_u32 v0, s0, s0, v0
	v_add_co_ci_u32_e64 v23, null, s3, 0, s2
	v_add_co_ci_u32_e64 v1, null, s1, 0, s0
	s_waitcnt lgkmcnt(0)
	s_mul_i32 s5, s5, s8
	s_mul_hi_u32 s9, s4, s8
	s_mul_i32 s4, s4, s8
	s_add_i32 s5, s9, s5
	s_lshl_b64 s[4:5], s[4:5], 4
	s_add_u32 s2, s48, s4
	s_addc_u32 s3, s49, s5
	s_or_b32 s4, s6, s7
	s_and_b32 vcc_lo, exec_lo, s4
	s_cbranch_vccnz .LBB543_6
; %bb.5:
	v_mul_f64 v[20:21], s[16:17], v[16:17]
	v_mul_f64 v[26:27], s[14:15], v[16:17]
	;; [unrolled: 1-line block ×4, first 2 shown]
	v_mul_lo_u32 v24, v23, s50
	v_mul_lo_u32 v25, v22, s51
	v_mad_u64_u32 v[18:19], null, v22, s50, 0
	v_mul_f64 v[28:29], s[16:17], v[12:13]
	v_mul_f64 v[30:31], s[14:15], v[12:13]
	;; [unrolled: 1-line block ×4, first 2 shown]
	s_lshl_b64 s[0:1], s[50:51], 8
	v_lshlrev_b64 v[40:41], 4, v[0:1]
	v_add3_u32 v19, v19, v25, v24
	v_lshlrev_b64 v[18:19], 4, v[18:19]
	v_fma_f64 v[24:25], s[14:15], v[14:15], -v[20:21]
	v_fma_f64 v[26:27], s[16:17], v[14:15], v[26:27]
	v_fma_f64 v[36:37], s[14:15], v[2:3], -v[36:37]
	v_add_co_u32 v42, vcc_lo, s2, v18
	v_add_co_ci_u32_e64 v43, null, s3, v19, vcc_lo
	v_fma_f64 v[18:19], s[16:17], v[2:3], v[38:39]
	v_fma_f64 v[28:29], s[14:15], v[10:11], -v[28:29]
	v_fma_f64 v[30:31], s[16:17], v[10:11], v[30:31]
	v_fma_f64 v[32:33], s[14:15], v[6:7], -v[32:33]
	v_fma_f64 v[34:35], s[16:17], v[6:7], v[34:35]
	v_add_co_u32 v20, vcc_lo, v42, s0
	v_add_co_ci_u32_e64 v21, null, s1, v43, vcc_lo
	v_add_co_u32 v38, vcc_lo, v20, v40
	v_add_co_ci_u32_e64 v39, null, v21, v41, vcc_lo
	;; [unrolled: 2-line block ×4, first 2 shown]
	global_store_dwordx4 v[40:41], v[24:27], off
	global_store_dwordx4 v[40:41], v[28:31], off offset:256
	global_store_dwordx4 v[38:39], v[32:35], off
	global_store_dwordx2 v[38:39], v[36:37], off offset:256
	s_cbranch_execz .LBB543_7
	s_branch .LBB543_8
.LBB543_6:
                                        ; implicit-def: $vgpr18_vgpr19
                                        ; implicit-def: $vgpr20_vgpr21
.LBB543_7:
	v_mul_lo_u32 v20, v23, s44
	v_mul_lo_u32 v21, v22, s45
	v_mad_u64_u32 v[18:19], null, v22, s44, 0
	s_mul_i32 s1, s47, s8
	s_mul_hi_u32 s4, s46, s8
	s_mul_i32 s0, s46, s8
	s_add_i32 s1, s4, s1
	v_lshlrev_b64 v[0:1], 4, v[0:1]
	s_lshl_b64 s[0:1], s[0:1], 4
	v_add3_u32 v19, v19, v21, v20
	s_add_u32 s0, s42, s0
	s_addc_u32 s1, s43, s1
	v_mul_f64 v[26:27], s[16:17], v[16:17]
	v_mul_f64 v[16:17], s[14:15], v[16:17]
	v_lshlrev_b64 v[18:19], 4, v[18:19]
	v_mul_lo_u32 v23, v23, s50
	v_add_co_u32 v30, vcc_lo, s0, v18
	v_add_co_ci_u32_e64 v31, null, s1, v19, vcc_lo
	s_lshl_b64 s[0:1], s[44:45], 8
	v_add_co_u32 v24, vcc_lo, v30, v0
	v_add_co_ci_u32_e64 v25, null, v31, v1, vcc_lo
	global_load_dwordx4 v[18:21], v[24:25], off
	v_fma_f64 v[26:27], s[14:15], v[14:15], -v[26:27]
	v_fma_f64 v[16:17], s[16:17], v[14:15], v[16:17]
	s_waitcnt vmcnt(0)
	v_mul_f64 v[28:29], s[40:41], v[20:21]
	v_mul_f64 v[20:21], s[38:39], v[20:21]
	v_fma_f64 v[14:15], s[38:39], v[18:19], -v[28:29]
	v_fma_f64 v[18:19], s[40:41], v[18:19], v[20:21]
	v_mul_lo_u32 v28, v22, s51
	v_mad_u64_u32 v[20:21], null, v22, s50, 0
	v_add3_u32 v21, v21, v28, v23
	v_add_f64 v[14:15], v[26:27], v[14:15]
	v_add_f64 v[16:17], v[16:17], v[18:19]
	v_lshlrev_b64 v[18:19], 4, v[20:21]
	v_mul_f64 v[20:21], s[16:17], v[12:13]
	v_mul_f64 v[12:13], s[14:15], v[12:13]
	v_add_co_u32 v26, vcc_lo, s2, v18
	v_add_co_ci_u32_e64 v27, null, s3, v19, vcc_lo
	v_add_co_u32 v18, vcc_lo, v26, v0
	v_add_co_ci_u32_e64 v19, null, v27, v1, vcc_lo
	global_store_dwordx4 v[18:19], v[14:17], off
	global_load_dwordx4 v[14:17], v[24:25], off offset:256
	v_fma_f64 v[20:21], s[14:15], v[10:11], -v[20:21]
	v_fma_f64 v[12:13], s[16:17], v[10:11], v[12:13]
	s_waitcnt vmcnt(0)
	v_mul_f64 v[22:23], s[40:41], v[16:17]
	v_mul_f64 v[16:17], s[38:39], v[16:17]
	v_fma_f64 v[10:11], s[38:39], v[14:15], -v[22:23]
	v_fma_f64 v[14:15], s[40:41], v[14:15], v[16:17]
	v_mul_f64 v[16:17], s[16:17], v[8:9]
	v_mul_f64 v[8:9], s[14:15], v[8:9]
	v_add_f64 v[10:11], v[20:21], v[10:11]
	v_add_f64 v[12:13], v[12:13], v[14:15]
	v_add_co_u32 v14, vcc_lo, v30, s0
	v_add_co_ci_u32_e64 v15, null, s1, v31, vcc_lo
	v_fma_f64 v[16:17], s[14:15], v[6:7], -v[16:17]
	v_add_co_u32 v14, vcc_lo, v14, v0
	v_add_co_ci_u32_e64 v15, null, v15, v1, vcc_lo
	v_fma_f64 v[8:9], s[16:17], v[6:7], v[8:9]
	s_lshl_b64 s[0:1], s[50:51], 8
	global_store_dwordx4 v[18:19], v[10:13], off offset:256
	global_load_dwordx4 v[10:13], v[14:15], off
	s_waitcnt vmcnt(0)
	v_mul_f64 v[18:19], s[40:41], v[12:13]
	v_mul_f64 v[12:13], s[38:39], v[12:13]
	v_fma_f64 v[6:7], s[38:39], v[10:11], -v[18:19]
	v_fma_f64 v[10:11], s[40:41], v[10:11], v[12:13]
	v_add_f64 v[6:7], v[16:17], v[6:7]
	v_add_f64 v[8:9], v[8:9], v[10:11]
	v_add_co_u32 v10, vcc_lo, v26, s0
	v_add_co_ci_u32_e64 v11, null, s1, v27, vcc_lo
	v_add_co_u32 v0, vcc_lo, v10, v0
	v_add_co_ci_u32_e64 v1, null, v11, v1, vcc_lo
	v_mul_f64 v[10:11], s[16:17], v[4:5]
	v_mul_f64 v[4:5], s[14:15], v[4:5]
	v_add_co_u32 v20, vcc_lo, 0x100, v0
	v_add_co_ci_u32_e64 v21, null, 0, v1, vcc_lo
	global_store_dwordx4 v[0:1], v[6:9], off
	global_load_dwordx4 v[6:9], v[14:15], off offset:256
	v_fma_f64 v[10:11], s[14:15], v[2:3], -v[10:11]
	v_fma_f64 v[2:3], s[16:17], v[2:3], v[4:5]
	s_waitcnt vmcnt(0)
	v_mul_f64 v[12:13], s[40:41], v[8:9]
	v_mul_f64 v[8:9], s[38:39], v[8:9]
	v_fma_f64 v[4:5], s[38:39], v[6:7], -v[12:13]
	v_fma_f64 v[6:7], s[40:41], v[6:7], v[8:9]
	v_add_f64 v[4:5], v[10:11], v[4:5]
	v_add_f64 v[18:19], v[2:3], v[6:7]
	global_store_dwordx2 v[0:1], v[4:5], off offset:256
.LBB543_8:
	global_store_dwordx2 v[20:21], v[18:19], off offset:8
	s_endpgm
	.section	.rodata,"a",@progbits
	.p2align	6, 0x0
	.amdhsa_kernel _ZN12_GLOBAL__N_127rocblas_gemm_batched_kernelI19rocblas_complex_numIdELi16ELi16ELi32ELi32ELi8ELi32ELi8ELi8ELi32ELc67ELc78EKS2_S3_S2_EEvlllT_PT11_llS6_llS4_PT12_llPT13_lli
		.amdhsa_group_segment_fixed_size 8192
		.amdhsa_private_segment_fixed_size 0
		.amdhsa_kernarg_size 156
		.amdhsa_user_sgpr_count 6
		.amdhsa_user_sgpr_private_segment_buffer 1
		.amdhsa_user_sgpr_dispatch_ptr 0
		.amdhsa_user_sgpr_queue_ptr 0
		.amdhsa_user_sgpr_kernarg_segment_ptr 1
		.amdhsa_user_sgpr_dispatch_id 0
		.amdhsa_user_sgpr_flat_scratch_init 0
		.amdhsa_user_sgpr_private_segment_size 0
		.amdhsa_wavefront_size32 1
		.amdhsa_uses_dynamic_stack 0
		.amdhsa_system_sgpr_private_segment_wavefront_offset 0
		.amdhsa_system_sgpr_workgroup_id_x 1
		.amdhsa_system_sgpr_workgroup_id_y 1
		.amdhsa_system_sgpr_workgroup_id_z 1
		.amdhsa_system_sgpr_workgroup_info 0
		.amdhsa_system_vgpr_workitem_id 1
		.amdhsa_next_free_vgpr 162
		.amdhsa_next_free_sgpr 52
		.amdhsa_reserve_vcc 1
		.amdhsa_reserve_flat_scratch 0
		.amdhsa_float_round_mode_32 0
		.amdhsa_float_round_mode_16_64 0
		.amdhsa_float_denorm_mode_32 3
		.amdhsa_float_denorm_mode_16_64 3
		.amdhsa_dx10_clamp 1
		.amdhsa_ieee_mode 1
		.amdhsa_fp16_overflow 0
		.amdhsa_workgroup_processor_mode 1
		.amdhsa_memory_ordered 1
		.amdhsa_forward_progress 1
		.amdhsa_shared_vgpr_count 0
		.amdhsa_exception_fp_ieee_invalid_op 0
		.amdhsa_exception_fp_denorm_src 0
		.amdhsa_exception_fp_ieee_div_zero 0
		.amdhsa_exception_fp_ieee_overflow 0
		.amdhsa_exception_fp_ieee_underflow 0
		.amdhsa_exception_fp_ieee_inexact 0
		.amdhsa_exception_int_div_zero 0
	.end_amdhsa_kernel
	.section	.text._ZN12_GLOBAL__N_127rocblas_gemm_batched_kernelI19rocblas_complex_numIdELi16ELi16ELi32ELi32ELi8ELi32ELi8ELi8ELi32ELc67ELc78EKS2_S3_S2_EEvlllT_PT11_llS6_llS4_PT12_llPT13_lli,"axG",@progbits,_ZN12_GLOBAL__N_127rocblas_gemm_batched_kernelI19rocblas_complex_numIdELi16ELi16ELi32ELi32ELi8ELi32ELi8ELi8ELi32ELc67ELc78EKS2_S3_S2_EEvlllT_PT11_llS6_llS4_PT12_llPT13_lli,comdat
.Lfunc_end543:
	.size	_ZN12_GLOBAL__N_127rocblas_gemm_batched_kernelI19rocblas_complex_numIdELi16ELi16ELi32ELi32ELi8ELi32ELi8ELi8ELi32ELc67ELc78EKS2_S3_S2_EEvlllT_PT11_llS6_llS4_PT12_llPT13_lli, .Lfunc_end543-_ZN12_GLOBAL__N_127rocblas_gemm_batched_kernelI19rocblas_complex_numIdELi16ELi16ELi32ELi32ELi8ELi32ELi8ELi8ELi32ELc67ELc78EKS2_S3_S2_EEvlllT_PT11_llS6_llS4_PT12_llPT13_lli
                                        ; -- End function
	.set _ZN12_GLOBAL__N_127rocblas_gemm_batched_kernelI19rocblas_complex_numIdELi16ELi16ELi32ELi32ELi8ELi32ELi8ELi8ELi32ELc67ELc78EKS2_S3_S2_EEvlllT_PT11_llS6_llS4_PT12_llPT13_lli.num_vgpr, 162
	.set _ZN12_GLOBAL__N_127rocblas_gemm_batched_kernelI19rocblas_complex_numIdELi16ELi16ELi32ELi32ELi8ELi32ELi8ELi8ELi32ELc67ELc78EKS2_S3_S2_EEvlllT_PT11_llS6_llS4_PT12_llPT13_lli.num_agpr, 0
	.set _ZN12_GLOBAL__N_127rocblas_gemm_batched_kernelI19rocblas_complex_numIdELi16ELi16ELi32ELi32ELi8ELi32ELi8ELi8ELi32ELc67ELc78EKS2_S3_S2_EEvlllT_PT11_llS6_llS4_PT12_llPT13_lli.numbered_sgpr, 52
	.set _ZN12_GLOBAL__N_127rocblas_gemm_batched_kernelI19rocblas_complex_numIdELi16ELi16ELi32ELi32ELi8ELi32ELi8ELi8ELi32ELc67ELc78EKS2_S3_S2_EEvlllT_PT11_llS6_llS4_PT12_llPT13_lli.num_named_barrier, 0
	.set _ZN12_GLOBAL__N_127rocblas_gemm_batched_kernelI19rocblas_complex_numIdELi16ELi16ELi32ELi32ELi8ELi32ELi8ELi8ELi32ELc67ELc78EKS2_S3_S2_EEvlllT_PT11_llS6_llS4_PT12_llPT13_lli.private_seg_size, 0
	.set _ZN12_GLOBAL__N_127rocblas_gemm_batched_kernelI19rocblas_complex_numIdELi16ELi16ELi32ELi32ELi8ELi32ELi8ELi8ELi32ELc67ELc78EKS2_S3_S2_EEvlllT_PT11_llS6_llS4_PT12_llPT13_lli.uses_vcc, 1
	.set _ZN12_GLOBAL__N_127rocblas_gemm_batched_kernelI19rocblas_complex_numIdELi16ELi16ELi32ELi32ELi8ELi32ELi8ELi8ELi32ELc67ELc78EKS2_S3_S2_EEvlllT_PT11_llS6_llS4_PT12_llPT13_lli.uses_flat_scratch, 0
	.set _ZN12_GLOBAL__N_127rocblas_gemm_batched_kernelI19rocblas_complex_numIdELi16ELi16ELi32ELi32ELi8ELi32ELi8ELi8ELi32ELc67ELc78EKS2_S3_S2_EEvlllT_PT11_llS6_llS4_PT12_llPT13_lli.has_dyn_sized_stack, 0
	.set _ZN12_GLOBAL__N_127rocblas_gemm_batched_kernelI19rocblas_complex_numIdELi16ELi16ELi32ELi32ELi8ELi32ELi8ELi8ELi32ELc67ELc78EKS2_S3_S2_EEvlllT_PT11_llS6_llS4_PT12_llPT13_lli.has_recursion, 0
	.set _ZN12_GLOBAL__N_127rocblas_gemm_batched_kernelI19rocblas_complex_numIdELi16ELi16ELi32ELi32ELi8ELi32ELi8ELi8ELi32ELc67ELc78EKS2_S3_S2_EEvlllT_PT11_llS6_llS4_PT12_llPT13_lli.has_indirect_call, 0
	.section	.AMDGPU.csdata,"",@progbits
; Kernel info:
; codeLenInByte = 3596
; TotalNumSgprs: 54
; NumVgprs: 162
; ScratchSize: 0
; MemoryBound: 0
; FloatMode: 240
; IeeeMode: 1
; LDSByteSize: 8192 bytes/workgroup (compile time only)
; SGPRBlocks: 0
; VGPRBlocks: 20
; NumSGPRsForWavesPerEU: 54
; NumVGPRsForWavesPerEU: 162
; Occupancy: 5
; WaveLimiterHint : 1
; COMPUTE_PGM_RSRC2:SCRATCH_EN: 0
; COMPUTE_PGM_RSRC2:USER_SGPR: 6
; COMPUTE_PGM_RSRC2:TRAP_HANDLER: 0
; COMPUTE_PGM_RSRC2:TGID_X_EN: 1
; COMPUTE_PGM_RSRC2:TGID_Y_EN: 1
; COMPUTE_PGM_RSRC2:TGID_Z_EN: 1
; COMPUTE_PGM_RSRC2:TIDIG_COMP_CNT: 1
	.section	.text._ZN12_GLOBAL__N_127rocblas_gemm_batched_kernelI19rocblas_complex_numIdELi16ELi16ELi32ELi32ELi8ELi32ELi8ELi8ELi32ELc67ELc84EKS2_S3_S2_EEvlllT_PT11_llS6_llS4_PT12_llPT13_lli,"axG",@progbits,_ZN12_GLOBAL__N_127rocblas_gemm_batched_kernelI19rocblas_complex_numIdELi16ELi16ELi32ELi32ELi8ELi32ELi8ELi8ELi32ELc67ELc84EKS2_S3_S2_EEvlllT_PT11_llS6_llS4_PT12_llPT13_lli,comdat
	.globl	_ZN12_GLOBAL__N_127rocblas_gemm_batched_kernelI19rocblas_complex_numIdELi16ELi16ELi32ELi32ELi8ELi32ELi8ELi8ELi32ELc67ELc84EKS2_S3_S2_EEvlllT_PT11_llS6_llS4_PT12_llPT13_lli ; -- Begin function _ZN12_GLOBAL__N_127rocblas_gemm_batched_kernelI19rocblas_complex_numIdELi16ELi16ELi32ELi32ELi8ELi32ELi8ELi8ELi32ELc67ELc84EKS2_S3_S2_EEvlllT_PT11_llS6_llS4_PT12_llPT13_lli
	.p2align	8
	.type	_ZN12_GLOBAL__N_127rocblas_gemm_batched_kernelI19rocblas_complex_numIdELi16ELi16ELi32ELi32ELi8ELi32ELi8ELi8ELi32ELc67ELc84EKS2_S3_S2_EEvlllT_PT11_llS6_llS4_PT12_llPT13_lli,@function
_ZN12_GLOBAL__N_127rocblas_gemm_batched_kernelI19rocblas_complex_numIdELi16ELi16ELi32ELi32ELi8ELi32ELi8ELi8ELi32ELc67ELc84EKS2_S3_S2_EEvlllT_PT11_llS6_llS4_PT12_llPT13_lli: ; @_ZN12_GLOBAL__N_127rocblas_gemm_batched_kernelI19rocblas_complex_numIdELi16ELi16ELi32ELi32ELi8ELi32ELi8ELi8ELi32ELc67ELc84EKS2_S3_S2_EEvlllT_PT11_llS6_llS4_PT12_llPT13_lli
; %bb.0:
	s_clause 0x1
	s_load_dwordx16 s[12:27], s[4:5], 0x10
	s_load_dwordx16 s[36:51], s[4:5], 0x50
	s_mov_b32 s2, s7
	s_ashr_i32 s7, s6, 31
	s_ashr_i32 s3, s2, 31
	s_lshl_b64 s[0:1], s[6:7], 5
	s_lshl_b64 s[2:3], s[2:3], 5
	s_waitcnt lgkmcnt(0)
	v_cmp_lt_i64_e64 s9, s[12:13], 1
	s_and_b32 vcc_lo, exec_lo, s9
	s_cbranch_vccnz .LBB544_3
; %bb.1:
	v_lshl_add_u32 v6, v1, 4, v0
	v_and_b32_e32 v7, 7, v0
	s_mul_i32 s7, s23, s8
	s_mul_hi_u32 s9, s22, s8
	v_mov_b32_e32 v16, 0
	v_lshrrev_b32_e32 v8, 3, v6
	v_and_b32_e32 v9, 31, v6
	v_lshrrev_b32_e32 v12, 5, v6
	v_lshlrev_b32_e32 v13, 4, v7
	s_add_i32 s7, s9, s7
	v_add_co_u32 v2, s6, v8, s2
	v_add_co_ci_u32_e64 v3, null, 0, s3, s6
	v_add_co_u32 v4, s6, s0, v9
	v_add_co_ci_u32_e64 v5, null, s1, 0, s6
	v_mad_u64_u32 v[2:3], null, s26, v7, v[2:3]
	v_mul_lo_u32 v10, s21, v4
	v_mul_lo_u32 v11, s20, v5
	v_mad_u64_u32 v[4:5], null, s20, v4, 0
	s_mul_i32 s6, s22, s8
	v_mov_b32_e32 v14, 0
	s_lshl_b64 s[6:7], s[6:7], 4
	v_lshlrev_b32_e32 v22, 4, v0
	v_lshl_add_u32 v25, v1, 7, 0x1000
	v_mov_b32_e32 v17, 0
	v_add3_u32 v5, v5, v11, v10
	v_mad_u64_u32 v[6:7], null, s27, v7, v[3:4]
	v_lshl_or_b32 v7, v8, 7, v13
	v_lshlrev_b32_e32 v8, 4, v12
	v_lshlrev_b64 v[4:5], 4, v[4:5]
	v_lshlrev_b32_e32 v3, 4, v9
	v_mov_b32_e32 v10, 0
	v_add_nc_u32_e32 v24, 0x1000, v7
	v_mov_b32_e32 v11, 0
	v_mov_b32_e32 v15, 0
	v_add_co_u32 v4, vcc_lo, v4, s6
	v_add_co_ci_u32_e64 v5, null, s7, v5, vcc_lo
	v_lshl_or_b32 v23, v12, 9, v3
	v_add_co_u32 v4, vcc_lo, v4, v8
	v_mov_b32_e32 v3, v6
	v_add_co_ci_u32_e64 v5, null, 0, v5, vcc_lo
	s_mul_i32 s6, s37, s8
	s_mul_hi_u32 s7, s36, s8
	v_add_co_u32 v4, vcc_lo, s18, v4
	s_add_i32 s7, s7, s6
	s_mul_i32 s6, s36, s8
	v_lshlrev_b64 v[20:21], 4, v[2:3]
	v_add_co_ci_u32_e64 v5, null, s19, v5, vcc_lo
	s_lshl_b64 s[6:7], s[6:7], 4
	v_add_co_u32 v18, vcc_lo, v4, 8
	s_add_u32 s6, s24, s6
	v_add_co_ci_u32_e64 v19, null, 0, v5, vcc_lo
	s_addc_u32 s7, s25, s7
	v_add_co_u32 v20, vcc_lo, s6, v20
	v_mov_b32_e32 v4, 0
	v_mov_b32_e32 v2, 0
	;; [unrolled: 1-line block ×10, first 2 shown]
	v_add_co_ci_u32_e64 v21, null, s7, v21, vcc_lo
	s_lshl_b64 s[6:7], s[26:27], 7
	s_mov_b64 s[10:11], 0
.LBB544_2:                              ; =>This Inner Loop Header: Depth=1
	global_load_dwordx4 v[26:29], v[18:19], off offset:-8
	global_load_dwordx4 v[30:33], v[20:21], off
	s_add_u32 s10, s10, 8
	s_addc_u32 s11, s11, 0
	v_add_co_u32 v18, vcc_lo, 0x80, v18
	v_cmp_lt_i64_e64 s9, s[10:11], s[12:13]
	v_add_co_ci_u32_e64 v19, null, 0, v19, vcc_lo
	v_add_co_u32 v20, vcc_lo, v20, s6
	v_add_co_ci_u32_e64 v21, null, s7, v21, vcc_lo
	s_and_b32 vcc_lo, exec_lo, s9
	s_waitcnt vmcnt(1)
	v_xor_b32_e32 v29, 0x80000000, v29
	s_waitcnt vmcnt(0)
	ds_write2_b64 v24, v[30:31], v[32:33] offset1:1
	ds_write_b128 v23, v[26:29]
	s_waitcnt lgkmcnt(0)
	s_barrier
	buffer_gl0_inv
	ds_read_b128 v[26:29], v22
	ds_read_b128 v[30:33], v22 offset:256
	ds_read_b128 v[34:37], v25
	ds_read_b128 v[38:41], v25 offset:16
	ds_read_b128 v[42:45], v25 offset:2048
	;; [unrolled: 1-line block ×28, first 2 shown]
	s_waitcnt lgkmcnt(28)
	v_mul_f64 v[150:151], v[36:37], v[28:29]
	v_mul_f64 v[154:155], v[36:37], v[32:33]
	;; [unrolled: 1-line block ×4, first 2 shown]
	v_fma_f64 v[150:151], v[34:35], v[26:27], -v[150:151]
	v_fma_f64 v[34:35], v[34:35], v[30:31], -v[154:155]
	s_waitcnt lgkmcnt(26)
	v_mul_f64 v[154:155], v[44:45], v[28:29]
	v_mul_f64 v[28:29], v[42:43], v[28:29]
	v_fma_f64 v[152:153], v[36:37], v[26:27], v[152:153]
	v_fma_f64 v[36:37], v[36:37], v[30:31], v[156:157]
	v_add_f64 v[14:15], v[14:15], v[150:151]
	v_add_f64 v[10:11], v[10:11], v[34:35]
	v_fma_f64 v[154:155], v[42:43], v[26:27], -v[154:155]
	v_fma_f64 v[156:157], v[44:45], v[26:27], v[28:29]
	v_mul_f64 v[26:27], v[44:45], v[32:33]
	v_mul_f64 v[28:29], v[42:43], v[32:33]
	v_add_f64 v[16:17], v[152:153], v[16:17]
	v_add_f64 v[12:13], v[36:37], v[12:13]
	s_waitcnt lgkmcnt(16)
	v_mul_f64 v[34:35], v[64:65], v[84:85]
	v_mul_f64 v[36:37], v[62:63], v[84:85]
	s_waitcnt lgkmcnt(15)
	v_mul_f64 v[150:151], v[62:63], v[88:89]
	s_waitcnt lgkmcnt(12)
	v_mul_f64 v[152:153], v[98:99], v[96:97]
	v_add_f64 v[6:7], v[6:7], v[154:155]
	v_add_f64 v[8:9], v[156:157], v[8:9]
	v_fma_f64 v[32:33], v[42:43], v[30:31], -v[26:27]
	v_fma_f64 v[30:31], v[44:45], v[30:31], v[28:29]
	v_mul_f64 v[26:27], v[40:41], v[52:53]
	v_mul_f64 v[28:29], v[38:39], v[52:53]
	;; [unrolled: 1-line block ×4, first 2 shown]
	v_fma_f64 v[34:35], v[62:63], v[82:83], -v[34:35]
	v_fma_f64 v[36:37], v[64:65], v[82:83], v[36:37]
	v_add_f64 v[2:3], v[2:3], v[32:33]
	v_add_f64 v[4:5], v[30:31], v[4:5]
	v_fma_f64 v[158:159], v[38:39], v[50:51], -v[26:27]
	v_fma_f64 v[160:161], v[40:41], v[50:51], v[28:29]
	v_mul_f64 v[26:27], v[48:49], v[52:53]
	v_mul_f64 v[28:29], v[46:47], v[52:53]
	v_fma_f64 v[38:39], v[38:39], v[54:55], -v[42:43]
	v_fma_f64 v[40:41], v[40:41], v[54:55], v[44:45]
	v_mul_f64 v[52:53], v[58:59], v[72:73]
	v_mul_f64 v[30:31], v[80:81], v[84:85]
	;; [unrolled: 1-line block ×4, first 2 shown]
	v_add_f64 v[14:15], v[14:15], v[158:159]
	v_add_f64 v[16:17], v[160:161], v[16:17]
	v_fma_f64 v[42:43], v[46:47], v[50:51], -v[26:27]
	v_fma_f64 v[44:45], v[48:49], v[50:51], v[28:29]
	v_mul_f64 v[26:27], v[48:49], v[56:57]
	v_mul_f64 v[28:29], v[46:47], v[56:57]
	;; [unrolled: 1-line block ×3, first 2 shown]
	v_fma_f64 v[52:53], v[60:61], v[70:71], v[52:53]
	v_add_f64 v[10:11], v[10:11], v[38:39]
	v_add_f64 v[12:13], v[40:41], v[12:13]
	s_waitcnt lgkmcnt(10)
	v_mul_f64 v[38:39], v[108:109], v[92:93]
	v_mul_f64 v[40:41], v[106:107], v[92:93]
	v_fma_f64 v[30:31], v[78:79], v[82:83], -v[30:31]
	v_fma_f64 v[32:33], v[80:81], v[82:83], v[32:33]
	s_waitcnt lgkmcnt(8)
	v_mul_f64 v[82:83], v[112:113], v[116:117]
	v_add_f64 v[6:7], v[6:7], v[42:43]
	v_add_f64 v[8:9], v[44:45], v[8:9]
	v_fma_f64 v[46:47], v[46:47], v[54:55], -v[26:27]
	v_fma_f64 v[48:49], v[48:49], v[54:55], v[28:29]
	v_mul_f64 v[26:27], v[60:61], v[68:69]
	v_mul_f64 v[28:29], v[58:59], v[68:69]
	v_fma_f64 v[50:51], v[58:59], v[70:71], -v[50:51]
	v_mul_f64 v[42:43], v[108:109], v[96:97]
	v_mul_f64 v[44:45], v[106:107], v[96:97]
	v_add_f64 v[12:13], v[52:53], v[12:13]
	s_waitcnt lgkmcnt(7)
	v_mul_f64 v[52:53], v[110:111], v[120:121]
	v_fma_f64 v[38:39], v[106:107], v[90:91], -v[38:39]
	v_fma_f64 v[40:41], v[108:109], v[90:91], v[40:41]
	v_add_f64 v[2:3], v[2:3], v[46:47]
	v_add_f64 v[4:5], v[48:49], v[4:5]
	v_fma_f64 v[54:55], v[58:59], v[66:67], -v[26:27]
	v_fma_f64 v[56:57], v[60:61], v[66:67], v[28:29]
	v_mul_f64 v[26:27], v[76:77], v[68:69]
	v_mul_f64 v[28:29], v[74:75], v[68:69]
	;; [unrolled: 1-line block ×3, first 2 shown]
	v_add_f64 v[10:11], v[10:11], v[50:51]
	v_mul_f64 v[46:47], v[104:105], v[116:117]
	v_mul_f64 v[48:49], v[102:103], v[116:117]
	;; [unrolled: 1-line block ×3, first 2 shown]
	v_fma_f64 v[42:43], v[106:107], v[94:95], -v[42:43]
	v_fma_f64 v[44:45], v[108:109], v[94:95], v[44:45]
	v_fma_f64 v[52:53], v[112:113], v[118:119], v[52:53]
	v_add_f64 v[14:15], v[14:15], v[54:55]
	v_add_f64 v[16:17], v[56:57], v[16:17]
	v_fma_f64 v[58:59], v[74:75], v[66:67], -v[26:27]
	v_fma_f64 v[60:61], v[76:77], v[66:67], v[28:29]
	v_mul_f64 v[66:67], v[76:77], v[72:73]
	v_mul_f64 v[72:73], v[64:65], v[88:89]
	v_fma_f64 v[68:69], v[76:77], v[70:71], v[68:69]
	v_mul_f64 v[76:77], v[100:101], v[92:93]
	v_fma_f64 v[64:65], v[64:65], v[86:87], v[150:151]
	v_mul_f64 v[92:93], v[102:103], v[120:121]
	s_waitcnt lgkmcnt(4)
	v_mul_f64 v[54:55], v[132:133], v[124:125]
	v_mul_f64 v[56:57], v[130:131], v[124:125]
	v_fma_f64 v[46:47], v[102:103], v[114:115], -v[46:47]
	v_fma_f64 v[48:49], v[104:105], v[114:115], v[48:49]
	v_fma_f64 v[50:51], v[110:111], v[118:119], -v[50:51]
	ds_read_b128 v[26:29], v22 offset:3840
	s_waitcnt lgkmcnt(0)
	s_barrier
	buffer_gl0_inv
	v_add_f64 v[14:15], v[14:15], v[34:35]
	v_add_f64 v[16:17], v[36:37], v[16:17]
	;; [unrolled: 1-line block ×4, first 2 shown]
	v_fma_f64 v[66:67], v[74:75], v[70:71], -v[66:67]
	v_mul_f64 v[70:71], v[80:81], v[88:89]
	v_mul_f64 v[74:75], v[78:79], v[88:89]
	;; [unrolled: 1-line block ×3, first 2 shown]
	v_fma_f64 v[62:63], v[62:63], v[86:87], -v[72:73]
	v_add_f64 v[4:5], v[68:69], v[4:5]
	v_mul_f64 v[72:73], v[104:105], v[120:121]
	v_mul_f64 v[96:97], v[110:111], v[116:117]
	v_fma_f64 v[68:69], v[100:101], v[90:91], v[84:85]
	v_add_f64 v[12:13], v[64:65], v[12:13]
	v_mul_f64 v[58:59], v[132:133], v[128:129]
	v_mul_f64 v[60:61], v[130:131], v[128:129]
	;; [unrolled: 1-line block ×5, first 2 shown]
	v_fma_f64 v[54:55], v[130:131], v[122:123], -v[54:55]
	v_fma_f64 v[56:57], v[132:133], v[122:123], v[56:57]
	v_add_f64 v[6:7], v[6:7], v[30:31]
	v_add_f64 v[8:9], v[32:33], v[8:9]
	;; [unrolled: 1-line block ×3, first 2 shown]
	v_fma_f64 v[70:71], v[78:79], v[86:87], -v[70:71]
	v_fma_f64 v[74:75], v[80:81], v[86:87], v[74:75]
	v_fma_f64 v[66:67], v[98:99], v[90:91], -v[76:77]
	v_fma_f64 v[76:77], v[98:99], v[94:95], -v[88:89]
	v_fma_f64 v[78:79], v[100:101], v[94:95], v[152:153]
	v_add_f64 v[10:11], v[10:11], v[62:63]
	v_mul_f64 v[30:31], v[140:141], v[124:125]
	v_mul_f64 v[32:33], v[138:139], v[124:125]
	v_fma_f64 v[80:81], v[112:113], v[114:115], v[96:97]
	v_add_f64 v[16:17], v[68:69], v[16:17]
	v_mul_f64 v[62:63], v[136:137], v[148:149]
	v_fma_f64 v[58:59], v[130:131], v[126:127], -v[58:59]
	v_fma_f64 v[60:61], v[132:133], v[126:127], v[60:61]
	v_fma_f64 v[34:35], v[138:139], v[126:127], -v[34:35]
	v_fma_f64 v[36:37], v[140:141], v[126:127], v[36:37]
	v_add_f64 v[6:7], v[6:7], v[38:39]
	v_add_f64 v[8:9], v[40:41], v[8:9]
	v_mul_f64 v[38:39], v[136:137], v[28:29]
	v_add_f64 v[2:3], v[2:3], v[70:71]
	v_add_f64 v[4:5], v[74:75], v[4:5]
	v_fma_f64 v[70:71], v[102:103], v[118:119], -v[72:73]
	v_fma_f64 v[72:73], v[104:105], v[118:119], v[92:93]
	v_fma_f64 v[74:75], v[110:111], v[114:115], -v[82:83]
	v_add_f64 v[14:15], v[14:15], v[66:67]
	v_add_f64 v[10:11], v[10:11], v[76:77]
	;; [unrolled: 1-line block ×3, first 2 shown]
	v_mul_f64 v[40:41], v[134:135], v[28:29]
	v_mul_f64 v[66:67], v[144:145], v[28:29]
	;; [unrolled: 1-line block ×3, first 2 shown]
	v_fma_f64 v[30:31], v[138:139], v[122:123], -v[30:31]
	v_fma_f64 v[32:33], v[140:141], v[122:123], v[32:33]
	v_add_f64 v[16:17], v[48:49], v[16:17]
	v_fma_f64 v[48:49], v[136:137], v[146:147], v[64:65]
	v_add_f64 v[8:9], v[80:81], v[8:9]
	v_fma_f64 v[38:39], v[134:135], v[26:27], -v[38:39]
	v_add_f64 v[2:3], v[2:3], v[42:43]
	v_add_f64 v[4:5], v[44:45], v[4:5]
	v_mul_f64 v[42:43], v[144:145], v[148:149]
	v_mul_f64 v[44:45], v[142:143], v[148:149]
	v_add_f64 v[6:7], v[6:7], v[74:75]
	v_add_f64 v[14:15], v[14:15], v[46:47]
	;; [unrolled: 1-line block ×4, first 2 shown]
	v_fma_f64 v[46:47], v[134:135], v[146:147], -v[62:63]
	v_fma_f64 v[40:41], v[136:137], v[26:27], v[40:41]
	v_add_f64 v[16:17], v[56:57], v[16:17]
	v_add_f64 v[8:9], v[32:33], v[8:9]
	;; [unrolled: 1-line block ×4, first 2 shown]
	v_fma_f64 v[42:43], v[142:143], v[146:147], -v[42:43]
	v_fma_f64 v[44:45], v[144:145], v[146:147], v[44:45]
	v_fma_f64 v[50:51], v[142:143], v[26:27], -v[66:67]
	v_fma_f64 v[26:27], v[144:145], v[26:27], v[28:29]
	v_add_f64 v[14:15], v[14:15], v[54:55]
	v_add_f64 v[10:11], v[10:11], v[58:59]
	;; [unrolled: 1-line block ×14, first 2 shown]
	s_cbranch_vccnz .LBB544_2
	s_branch .LBB544_4
.LBB544_3:
	v_mov_b32_e32 v14, 0
	v_mov_b32_e32 v16, 0
	v_mov_b32_e32 v10, 0
	v_mov_b32_e32 v12, 0
	v_mov_b32_e32 v6, 0
	v_mov_b32_e32 v8, 0
	v_mov_b32_e32 v2, 0
	v_mov_b32_e32 v4, 0
	v_mov_b32_e32 v15, 0
	v_mov_b32_e32 v17, 0
	v_mov_b32_e32 v11, 0
	v_mov_b32_e32 v13, 0
	v_mov_b32_e32 v7, 0
	v_mov_b32_e32 v9, 0
	v_mov_b32_e32 v3, 0
	v_mov_b32_e32 v5, 0
.LBB544_4:
	s_load_dwordx2 s[4:5], s[4:5], 0x90
	v_cmp_neq_f64_e64 s6, s[38:39], 0
	v_cmp_neq_f64_e64 s7, s[40:41], 0
	v_add_co_u32 v22, s2, s2, v1
	v_add_co_u32 v0, s0, s0, v0
	v_add_co_ci_u32_e64 v23, null, s3, 0, s2
	v_add_co_ci_u32_e64 v1, null, s1, 0, s0
	s_waitcnt lgkmcnt(0)
	s_mul_i32 s5, s5, s8
	s_mul_hi_u32 s9, s4, s8
	s_mul_i32 s4, s4, s8
	s_add_i32 s5, s9, s5
	s_lshl_b64 s[4:5], s[4:5], 4
	s_add_u32 s2, s48, s4
	s_addc_u32 s3, s49, s5
	s_or_b32 s4, s6, s7
	s_and_b32 vcc_lo, exec_lo, s4
	s_cbranch_vccnz .LBB544_6
; %bb.5:
	v_mul_f64 v[20:21], s[16:17], v[16:17]
	v_mul_f64 v[26:27], s[14:15], v[16:17]
	;; [unrolled: 1-line block ×4, first 2 shown]
	v_mul_lo_u32 v24, v23, s50
	v_mul_lo_u32 v25, v22, s51
	v_mad_u64_u32 v[18:19], null, v22, s50, 0
	v_mul_f64 v[28:29], s[16:17], v[12:13]
	v_mul_f64 v[30:31], s[14:15], v[12:13]
	;; [unrolled: 1-line block ×4, first 2 shown]
	s_lshl_b64 s[0:1], s[50:51], 8
	v_lshlrev_b64 v[40:41], 4, v[0:1]
	v_add3_u32 v19, v19, v25, v24
	v_lshlrev_b64 v[18:19], 4, v[18:19]
	v_fma_f64 v[24:25], s[14:15], v[14:15], -v[20:21]
	v_fma_f64 v[26:27], s[16:17], v[14:15], v[26:27]
	v_fma_f64 v[36:37], s[14:15], v[2:3], -v[36:37]
	v_add_co_u32 v42, vcc_lo, s2, v18
	v_add_co_ci_u32_e64 v43, null, s3, v19, vcc_lo
	v_fma_f64 v[18:19], s[16:17], v[2:3], v[38:39]
	v_fma_f64 v[28:29], s[14:15], v[10:11], -v[28:29]
	v_fma_f64 v[30:31], s[16:17], v[10:11], v[30:31]
	v_fma_f64 v[32:33], s[14:15], v[6:7], -v[32:33]
	v_fma_f64 v[34:35], s[16:17], v[6:7], v[34:35]
	v_add_co_u32 v20, vcc_lo, v42, s0
	v_add_co_ci_u32_e64 v21, null, s1, v43, vcc_lo
	v_add_co_u32 v38, vcc_lo, v20, v40
	v_add_co_ci_u32_e64 v39, null, v21, v41, vcc_lo
	;; [unrolled: 2-line block ×4, first 2 shown]
	global_store_dwordx4 v[40:41], v[24:27], off
	global_store_dwordx4 v[40:41], v[28:31], off offset:256
	global_store_dwordx4 v[38:39], v[32:35], off
	global_store_dwordx2 v[38:39], v[36:37], off offset:256
	s_cbranch_execz .LBB544_7
	s_branch .LBB544_8
.LBB544_6:
                                        ; implicit-def: $vgpr18_vgpr19
                                        ; implicit-def: $vgpr20_vgpr21
.LBB544_7:
	v_mul_lo_u32 v20, v23, s44
	v_mul_lo_u32 v21, v22, s45
	v_mad_u64_u32 v[18:19], null, v22, s44, 0
	s_mul_i32 s1, s47, s8
	s_mul_hi_u32 s4, s46, s8
	s_mul_i32 s0, s46, s8
	s_add_i32 s1, s4, s1
	v_lshlrev_b64 v[0:1], 4, v[0:1]
	s_lshl_b64 s[0:1], s[0:1], 4
	v_add3_u32 v19, v19, v21, v20
	s_add_u32 s0, s42, s0
	s_addc_u32 s1, s43, s1
	v_mul_f64 v[26:27], s[16:17], v[16:17]
	v_mul_f64 v[16:17], s[14:15], v[16:17]
	v_lshlrev_b64 v[18:19], 4, v[18:19]
	v_mul_lo_u32 v23, v23, s50
	v_add_co_u32 v30, vcc_lo, s0, v18
	v_add_co_ci_u32_e64 v31, null, s1, v19, vcc_lo
	s_lshl_b64 s[0:1], s[44:45], 8
	v_add_co_u32 v24, vcc_lo, v30, v0
	v_add_co_ci_u32_e64 v25, null, v31, v1, vcc_lo
	global_load_dwordx4 v[18:21], v[24:25], off
	v_fma_f64 v[26:27], s[14:15], v[14:15], -v[26:27]
	v_fma_f64 v[16:17], s[16:17], v[14:15], v[16:17]
	s_waitcnt vmcnt(0)
	v_mul_f64 v[28:29], s[40:41], v[20:21]
	v_mul_f64 v[20:21], s[38:39], v[20:21]
	v_fma_f64 v[14:15], s[38:39], v[18:19], -v[28:29]
	v_fma_f64 v[18:19], s[40:41], v[18:19], v[20:21]
	v_mul_lo_u32 v28, v22, s51
	v_mad_u64_u32 v[20:21], null, v22, s50, 0
	v_add3_u32 v21, v21, v28, v23
	v_add_f64 v[14:15], v[26:27], v[14:15]
	v_add_f64 v[16:17], v[16:17], v[18:19]
	v_lshlrev_b64 v[18:19], 4, v[20:21]
	v_mul_f64 v[20:21], s[16:17], v[12:13]
	v_mul_f64 v[12:13], s[14:15], v[12:13]
	v_add_co_u32 v26, vcc_lo, s2, v18
	v_add_co_ci_u32_e64 v27, null, s3, v19, vcc_lo
	v_add_co_u32 v18, vcc_lo, v26, v0
	v_add_co_ci_u32_e64 v19, null, v27, v1, vcc_lo
	global_store_dwordx4 v[18:19], v[14:17], off
	global_load_dwordx4 v[14:17], v[24:25], off offset:256
	v_fma_f64 v[20:21], s[14:15], v[10:11], -v[20:21]
	v_fma_f64 v[12:13], s[16:17], v[10:11], v[12:13]
	s_waitcnt vmcnt(0)
	v_mul_f64 v[22:23], s[40:41], v[16:17]
	v_mul_f64 v[16:17], s[38:39], v[16:17]
	v_fma_f64 v[10:11], s[38:39], v[14:15], -v[22:23]
	v_fma_f64 v[14:15], s[40:41], v[14:15], v[16:17]
	v_mul_f64 v[16:17], s[16:17], v[8:9]
	v_mul_f64 v[8:9], s[14:15], v[8:9]
	v_add_f64 v[10:11], v[20:21], v[10:11]
	v_add_f64 v[12:13], v[12:13], v[14:15]
	v_add_co_u32 v14, vcc_lo, v30, s0
	v_add_co_ci_u32_e64 v15, null, s1, v31, vcc_lo
	v_fma_f64 v[16:17], s[14:15], v[6:7], -v[16:17]
	v_add_co_u32 v14, vcc_lo, v14, v0
	v_add_co_ci_u32_e64 v15, null, v15, v1, vcc_lo
	v_fma_f64 v[8:9], s[16:17], v[6:7], v[8:9]
	s_lshl_b64 s[0:1], s[50:51], 8
	global_store_dwordx4 v[18:19], v[10:13], off offset:256
	global_load_dwordx4 v[10:13], v[14:15], off
	s_waitcnt vmcnt(0)
	v_mul_f64 v[18:19], s[40:41], v[12:13]
	v_mul_f64 v[12:13], s[38:39], v[12:13]
	v_fma_f64 v[6:7], s[38:39], v[10:11], -v[18:19]
	v_fma_f64 v[10:11], s[40:41], v[10:11], v[12:13]
	v_add_f64 v[6:7], v[16:17], v[6:7]
	v_add_f64 v[8:9], v[8:9], v[10:11]
	v_add_co_u32 v10, vcc_lo, v26, s0
	v_add_co_ci_u32_e64 v11, null, s1, v27, vcc_lo
	v_add_co_u32 v0, vcc_lo, v10, v0
	v_add_co_ci_u32_e64 v1, null, v11, v1, vcc_lo
	v_mul_f64 v[10:11], s[16:17], v[4:5]
	v_mul_f64 v[4:5], s[14:15], v[4:5]
	v_add_co_u32 v20, vcc_lo, 0x100, v0
	v_add_co_ci_u32_e64 v21, null, 0, v1, vcc_lo
	global_store_dwordx4 v[0:1], v[6:9], off
	global_load_dwordx4 v[6:9], v[14:15], off offset:256
	v_fma_f64 v[10:11], s[14:15], v[2:3], -v[10:11]
	v_fma_f64 v[2:3], s[16:17], v[2:3], v[4:5]
	s_waitcnt vmcnt(0)
	v_mul_f64 v[12:13], s[40:41], v[8:9]
	v_mul_f64 v[8:9], s[38:39], v[8:9]
	v_fma_f64 v[4:5], s[38:39], v[6:7], -v[12:13]
	v_fma_f64 v[6:7], s[40:41], v[6:7], v[8:9]
	v_add_f64 v[4:5], v[10:11], v[4:5]
	v_add_f64 v[18:19], v[2:3], v[6:7]
	global_store_dwordx2 v[0:1], v[4:5], off offset:256
.LBB544_8:
	global_store_dwordx2 v[20:21], v[18:19], off offset:8
	s_endpgm
	.section	.rodata,"a",@progbits
	.p2align	6, 0x0
	.amdhsa_kernel _ZN12_GLOBAL__N_127rocblas_gemm_batched_kernelI19rocblas_complex_numIdELi16ELi16ELi32ELi32ELi8ELi32ELi8ELi8ELi32ELc67ELc84EKS2_S3_S2_EEvlllT_PT11_llS6_llS4_PT12_llPT13_lli
		.amdhsa_group_segment_fixed_size 8192
		.amdhsa_private_segment_fixed_size 0
		.amdhsa_kernarg_size 156
		.amdhsa_user_sgpr_count 6
		.amdhsa_user_sgpr_private_segment_buffer 1
		.amdhsa_user_sgpr_dispatch_ptr 0
		.amdhsa_user_sgpr_queue_ptr 0
		.amdhsa_user_sgpr_kernarg_segment_ptr 1
		.amdhsa_user_sgpr_dispatch_id 0
		.amdhsa_user_sgpr_flat_scratch_init 0
		.amdhsa_user_sgpr_private_segment_size 0
		.amdhsa_wavefront_size32 1
		.amdhsa_uses_dynamic_stack 0
		.amdhsa_system_sgpr_private_segment_wavefront_offset 0
		.amdhsa_system_sgpr_workgroup_id_x 1
		.amdhsa_system_sgpr_workgroup_id_y 1
		.amdhsa_system_sgpr_workgroup_id_z 1
		.amdhsa_system_sgpr_workgroup_info 0
		.amdhsa_system_vgpr_workitem_id 1
		.amdhsa_next_free_vgpr 162
		.amdhsa_next_free_sgpr 52
		.amdhsa_reserve_vcc 1
		.amdhsa_reserve_flat_scratch 0
		.amdhsa_float_round_mode_32 0
		.amdhsa_float_round_mode_16_64 0
		.amdhsa_float_denorm_mode_32 3
		.amdhsa_float_denorm_mode_16_64 3
		.amdhsa_dx10_clamp 1
		.amdhsa_ieee_mode 1
		.amdhsa_fp16_overflow 0
		.amdhsa_workgroup_processor_mode 1
		.amdhsa_memory_ordered 1
		.amdhsa_forward_progress 1
		.amdhsa_shared_vgpr_count 0
		.amdhsa_exception_fp_ieee_invalid_op 0
		.amdhsa_exception_fp_denorm_src 0
		.amdhsa_exception_fp_ieee_div_zero 0
		.amdhsa_exception_fp_ieee_overflow 0
		.amdhsa_exception_fp_ieee_underflow 0
		.amdhsa_exception_fp_ieee_inexact 0
		.amdhsa_exception_int_div_zero 0
	.end_amdhsa_kernel
	.section	.text._ZN12_GLOBAL__N_127rocblas_gemm_batched_kernelI19rocblas_complex_numIdELi16ELi16ELi32ELi32ELi8ELi32ELi8ELi8ELi32ELc67ELc84EKS2_S3_S2_EEvlllT_PT11_llS6_llS4_PT12_llPT13_lli,"axG",@progbits,_ZN12_GLOBAL__N_127rocblas_gemm_batched_kernelI19rocblas_complex_numIdELi16ELi16ELi32ELi32ELi8ELi32ELi8ELi8ELi32ELc67ELc84EKS2_S3_S2_EEvlllT_PT11_llS6_llS4_PT12_llPT13_lli,comdat
.Lfunc_end544:
	.size	_ZN12_GLOBAL__N_127rocblas_gemm_batched_kernelI19rocblas_complex_numIdELi16ELi16ELi32ELi32ELi8ELi32ELi8ELi8ELi32ELc67ELc84EKS2_S3_S2_EEvlllT_PT11_llS6_llS4_PT12_llPT13_lli, .Lfunc_end544-_ZN12_GLOBAL__N_127rocblas_gemm_batched_kernelI19rocblas_complex_numIdELi16ELi16ELi32ELi32ELi8ELi32ELi8ELi8ELi32ELc67ELc84EKS2_S3_S2_EEvlllT_PT11_llS6_llS4_PT12_llPT13_lli
                                        ; -- End function
	.set _ZN12_GLOBAL__N_127rocblas_gemm_batched_kernelI19rocblas_complex_numIdELi16ELi16ELi32ELi32ELi8ELi32ELi8ELi8ELi32ELc67ELc84EKS2_S3_S2_EEvlllT_PT11_llS6_llS4_PT12_llPT13_lli.num_vgpr, 162
	.set _ZN12_GLOBAL__N_127rocblas_gemm_batched_kernelI19rocblas_complex_numIdELi16ELi16ELi32ELi32ELi8ELi32ELi8ELi8ELi32ELc67ELc84EKS2_S3_S2_EEvlllT_PT11_llS6_llS4_PT12_llPT13_lli.num_agpr, 0
	.set _ZN12_GLOBAL__N_127rocblas_gemm_batched_kernelI19rocblas_complex_numIdELi16ELi16ELi32ELi32ELi8ELi32ELi8ELi8ELi32ELc67ELc84EKS2_S3_S2_EEvlllT_PT11_llS6_llS4_PT12_llPT13_lli.numbered_sgpr, 52
	.set _ZN12_GLOBAL__N_127rocblas_gemm_batched_kernelI19rocblas_complex_numIdELi16ELi16ELi32ELi32ELi8ELi32ELi8ELi8ELi32ELc67ELc84EKS2_S3_S2_EEvlllT_PT11_llS6_llS4_PT12_llPT13_lli.num_named_barrier, 0
	.set _ZN12_GLOBAL__N_127rocblas_gemm_batched_kernelI19rocblas_complex_numIdELi16ELi16ELi32ELi32ELi8ELi32ELi8ELi8ELi32ELc67ELc84EKS2_S3_S2_EEvlllT_PT11_llS6_llS4_PT12_llPT13_lli.private_seg_size, 0
	.set _ZN12_GLOBAL__N_127rocblas_gemm_batched_kernelI19rocblas_complex_numIdELi16ELi16ELi32ELi32ELi8ELi32ELi8ELi8ELi32ELc67ELc84EKS2_S3_S2_EEvlllT_PT11_llS6_llS4_PT12_llPT13_lli.uses_vcc, 1
	.set _ZN12_GLOBAL__N_127rocblas_gemm_batched_kernelI19rocblas_complex_numIdELi16ELi16ELi32ELi32ELi8ELi32ELi8ELi8ELi32ELc67ELc84EKS2_S3_S2_EEvlllT_PT11_llS6_llS4_PT12_llPT13_lli.uses_flat_scratch, 0
	.set _ZN12_GLOBAL__N_127rocblas_gemm_batched_kernelI19rocblas_complex_numIdELi16ELi16ELi32ELi32ELi8ELi32ELi8ELi8ELi32ELc67ELc84EKS2_S3_S2_EEvlllT_PT11_llS6_llS4_PT12_llPT13_lli.has_dyn_sized_stack, 0
	.set _ZN12_GLOBAL__N_127rocblas_gemm_batched_kernelI19rocblas_complex_numIdELi16ELi16ELi32ELi32ELi8ELi32ELi8ELi8ELi32ELc67ELc84EKS2_S3_S2_EEvlllT_PT11_llS6_llS4_PT12_llPT13_lli.has_recursion, 0
	.set _ZN12_GLOBAL__N_127rocblas_gemm_batched_kernelI19rocblas_complex_numIdELi16ELi16ELi32ELi32ELi8ELi32ELi8ELi8ELi32ELc67ELc84EKS2_S3_S2_EEvlllT_PT11_llS6_llS4_PT12_llPT13_lli.has_indirect_call, 0
	.section	.AMDGPU.csdata,"",@progbits
; Kernel info:
; codeLenInByte = 3560
; TotalNumSgprs: 54
; NumVgprs: 162
; ScratchSize: 0
; MemoryBound: 0
; FloatMode: 240
; IeeeMode: 1
; LDSByteSize: 8192 bytes/workgroup (compile time only)
; SGPRBlocks: 0
; VGPRBlocks: 20
; NumSGPRsForWavesPerEU: 54
; NumVGPRsForWavesPerEU: 162
; Occupancy: 5
; WaveLimiterHint : 1
; COMPUTE_PGM_RSRC2:SCRATCH_EN: 0
; COMPUTE_PGM_RSRC2:USER_SGPR: 6
; COMPUTE_PGM_RSRC2:TRAP_HANDLER: 0
; COMPUTE_PGM_RSRC2:TGID_X_EN: 1
; COMPUTE_PGM_RSRC2:TGID_Y_EN: 1
; COMPUTE_PGM_RSRC2:TGID_Z_EN: 1
; COMPUTE_PGM_RSRC2:TIDIG_COMP_CNT: 1
	.section	.text._ZN12_GLOBAL__N_127rocblas_gemm_batched_kernelI19rocblas_complex_numIdELi16ELi16ELi32ELi32ELi8ELi32ELi8ELi8ELi32ELc78ELc67EKS2_S3_S2_EEvlllT_PT11_llS6_llS4_PT12_llPT13_lli,"axG",@progbits,_ZN12_GLOBAL__N_127rocblas_gemm_batched_kernelI19rocblas_complex_numIdELi16ELi16ELi32ELi32ELi8ELi32ELi8ELi8ELi32ELc78ELc67EKS2_S3_S2_EEvlllT_PT11_llS6_llS4_PT12_llPT13_lli,comdat
	.globl	_ZN12_GLOBAL__N_127rocblas_gemm_batched_kernelI19rocblas_complex_numIdELi16ELi16ELi32ELi32ELi8ELi32ELi8ELi8ELi32ELc78ELc67EKS2_S3_S2_EEvlllT_PT11_llS6_llS4_PT12_llPT13_lli ; -- Begin function _ZN12_GLOBAL__N_127rocblas_gemm_batched_kernelI19rocblas_complex_numIdELi16ELi16ELi32ELi32ELi8ELi32ELi8ELi8ELi32ELc78ELc67EKS2_S3_S2_EEvlllT_PT11_llS6_llS4_PT12_llPT13_lli
	.p2align	8
	.type	_ZN12_GLOBAL__N_127rocblas_gemm_batched_kernelI19rocblas_complex_numIdELi16ELi16ELi32ELi32ELi8ELi32ELi8ELi8ELi32ELc78ELc67EKS2_S3_S2_EEvlllT_PT11_llS6_llS4_PT12_llPT13_lli,@function
_ZN12_GLOBAL__N_127rocblas_gemm_batched_kernelI19rocblas_complex_numIdELi16ELi16ELi32ELi32ELi8ELi32ELi8ELi8ELi32ELc78ELc67EKS2_S3_S2_EEvlllT_PT11_llS6_llS4_PT12_llPT13_lli: ; @_ZN12_GLOBAL__N_127rocblas_gemm_batched_kernelI19rocblas_complex_numIdELi16ELi16ELi32ELi32ELi8ELi32ELi8ELi8ELi32ELc78ELc67EKS2_S3_S2_EEvlllT_PT11_llS6_llS4_PT12_llPT13_lli
; %bb.0:
	s_clause 0x1
	s_load_dwordx16 s[12:27], s[4:5], 0x10
	s_load_dwordx16 s[36:51], s[4:5], 0x50
	s_mov_b32 s2, s7
	s_ashr_i32 s7, s6, 31
	s_ashr_i32 s3, s2, 31
	s_lshl_b64 s[0:1], s[6:7], 5
	s_lshl_b64 s[2:3], s[2:3], 5
	s_waitcnt lgkmcnt(0)
	v_cmp_lt_i64_e64 s9, s[12:13], 1
	s_and_b32 vcc_lo, exec_lo, s9
	s_cbranch_vccnz .LBB545_3
; %bb.1:
	v_lshl_add_u32 v8, v1, 4, v0
	v_and_b32_e32 v9, 7, v0
	s_mul_i32 s7, s23, s8
	s_mul_hi_u32 s9, s22, s8
	s_mul_i32 s10, s37, s8
	v_lshrrev_b32_e32 v11, 3, v8
	v_lshrrev_b32_e32 v10, 5, v8
	s_add_i32 s7, s9, s7
	s_mul_hi_u32 s11, s36, s8
	v_mov_b32_e32 v12, 0
	v_add_co_u32 v4, s6, v11, s2
	v_add_co_ci_u32_e64 v5, null, 0, s3, s6
	v_mad_u64_u32 v[2:3], null, s20, v10, s[0:1]
	s_mul_i32 s6, s22, s8
	v_mad_u64_u32 v[4:5], null, s26, v9, v[4:5]
	s_lshl_b64 s[6:7], s[6:7], 4
	v_mov_b32_e32 v16, 0
	s_add_u32 s6, s18, s6
	s_addc_u32 s7, s19, s7
	v_mov_b32_e32 v14, 0
	v_lshlrev_b32_e32 v22, 4, v0
	v_mad_u64_u32 v[6:7], null, s21, v10, v[3:4]
	v_and_b32_e32 v7, 31, v8
	v_mov_b32_e32 v3, v5
	v_lshlrev_b32_e32 v8, 4, v9
	v_lshl_add_u32 v23, v1, 7, 0x1000
	v_mov_b32_e32 v13, 0
	v_add_co_u32 v5, vcc_lo, v2, v7
	v_add_co_ci_u32_e64 v6, null, 0, v6, vcc_lo
	v_mad_u64_u32 v[2:3], null, s27, v9, v[3:4]
	v_lshlrev_b32_e32 v3, 4, v7
	v_lshlrev_b64 v[6:7], 4, v[5:6]
	v_lshl_or_b32 v8, v11, 7, v8
	v_mov_b32_e32 v17, 0
	v_mov_b32_e32 v15, 0
	v_lshl_or_b32 v24, v10, 9, v3
	v_mov_b32_e32 v5, v2
	v_add_co_u32 v18, vcc_lo, s6, v6
	v_add_co_ci_u32_e64 v19, null, s7, v7, vcc_lo
	s_add_i32 s7, s11, s10
	s_mul_i32 s6, s36, s8
	v_lshlrev_b64 v[2:3], 4, v[4:5]
	s_lshl_b64 s[10:11], s[6:7], 4
	s_lshl_b64 s[6:7], s[20:21], 7
	s_add_u32 s9, s24, s10
	s_addc_u32 s10, s25, s11
	v_add_nc_u32_e32 v25, 0x1000, v8
	v_add_co_u32 v20, vcc_lo, s9, v2
	v_add_co_ci_u32_e64 v21, null, s10, v3, vcc_lo
	v_mov_b32_e32 v4, 0
	v_add_co_u32 v20, vcc_lo, v20, 8
	v_mov_b32_e32 v2, 0
	v_mov_b32_e32 v8, 0
	;; [unrolled: 1-line block ×9, first 2 shown]
	v_add_co_ci_u32_e64 v21, null, 0, v21, vcc_lo
	s_lshl_b64 s[10:11], s[26:27], 7
	s_mov_b64 s[18:19], 0
.LBB545_2:                              ; =>This Inner Loop Header: Depth=1
	global_load_dwordx4 v[26:29], v[20:21], off offset:-8
	global_load_dwordx4 v[30:33], v[18:19], off
	s_add_u32 s18, s18, 8
	s_addc_u32 s19, s19, 0
	v_add_co_u32 v18, vcc_lo, v18, s6
	v_cmp_lt_i64_e64 s9, s[18:19], s[12:13]
	v_add_co_ci_u32_e64 v19, null, s7, v19, vcc_lo
	v_add_co_u32 v20, vcc_lo, v20, s10
	v_add_co_ci_u32_e64 v21, null, s11, v21, vcc_lo
	s_and_b32 vcc_lo, exec_lo, s9
	s_waitcnt vmcnt(1)
	v_xor_b32_e32 v29, 0x80000000, v29
	s_waitcnt vmcnt(0)
	ds_write2_b64 v24, v[30:31], v[32:33] offset1:1
	ds_write_b128 v25, v[26:29]
	s_waitcnt lgkmcnt(0)
	s_barrier
	buffer_gl0_inv
	ds_read_b128 v[26:29], v22
	ds_read_b128 v[30:33], v22 offset:256
	ds_read_b128 v[34:37], v23
	ds_read_b128 v[38:41], v23 offset:16
	ds_read_b128 v[42:45], v23 offset:2048
	;; [unrolled: 1-line block ×28, first 2 shown]
	s_waitcnt lgkmcnt(28)
	v_mul_f64 v[150:151], v[36:37], v[28:29]
	v_mul_f64 v[154:155], v[36:37], v[32:33]
	;; [unrolled: 1-line block ×4, first 2 shown]
	v_fma_f64 v[150:151], v[34:35], v[26:27], -v[150:151]
	v_fma_f64 v[34:35], v[34:35], v[30:31], -v[154:155]
	s_waitcnt lgkmcnt(26)
	v_mul_f64 v[154:155], v[44:45], v[28:29]
	v_mul_f64 v[28:29], v[42:43], v[28:29]
	v_fma_f64 v[152:153], v[36:37], v[26:27], v[152:153]
	v_fma_f64 v[36:37], v[36:37], v[30:31], v[156:157]
	v_add_f64 v[14:15], v[14:15], v[150:151]
	v_add_f64 v[10:11], v[10:11], v[34:35]
	v_fma_f64 v[154:155], v[42:43], v[26:27], -v[154:155]
	v_fma_f64 v[156:157], v[44:45], v[26:27], v[28:29]
	v_mul_f64 v[26:27], v[44:45], v[32:33]
	v_mul_f64 v[28:29], v[42:43], v[32:33]
	v_add_f64 v[16:17], v[152:153], v[16:17]
	v_add_f64 v[12:13], v[36:37], v[12:13]
	s_waitcnt lgkmcnt(16)
	v_mul_f64 v[34:35], v[64:65], v[84:85]
	v_mul_f64 v[36:37], v[62:63], v[84:85]
	s_waitcnt lgkmcnt(15)
	v_mul_f64 v[150:151], v[62:63], v[88:89]
	s_waitcnt lgkmcnt(12)
	v_mul_f64 v[152:153], v[98:99], v[96:97]
	v_add_f64 v[6:7], v[6:7], v[154:155]
	v_add_f64 v[8:9], v[156:157], v[8:9]
	v_fma_f64 v[32:33], v[42:43], v[30:31], -v[26:27]
	v_fma_f64 v[30:31], v[44:45], v[30:31], v[28:29]
	v_mul_f64 v[26:27], v[40:41], v[52:53]
	v_mul_f64 v[28:29], v[38:39], v[52:53]
	;; [unrolled: 1-line block ×4, first 2 shown]
	v_fma_f64 v[34:35], v[62:63], v[82:83], -v[34:35]
	v_fma_f64 v[36:37], v[64:65], v[82:83], v[36:37]
	v_add_f64 v[2:3], v[2:3], v[32:33]
	v_add_f64 v[4:5], v[30:31], v[4:5]
	v_fma_f64 v[158:159], v[38:39], v[50:51], -v[26:27]
	v_fma_f64 v[160:161], v[40:41], v[50:51], v[28:29]
	v_mul_f64 v[26:27], v[48:49], v[52:53]
	v_mul_f64 v[28:29], v[46:47], v[52:53]
	v_fma_f64 v[38:39], v[38:39], v[54:55], -v[42:43]
	v_fma_f64 v[40:41], v[40:41], v[54:55], v[44:45]
	v_mul_f64 v[52:53], v[58:59], v[72:73]
	v_mul_f64 v[30:31], v[80:81], v[84:85]
	;; [unrolled: 1-line block ×4, first 2 shown]
	v_add_f64 v[14:15], v[14:15], v[158:159]
	v_add_f64 v[16:17], v[160:161], v[16:17]
	v_fma_f64 v[42:43], v[46:47], v[50:51], -v[26:27]
	v_fma_f64 v[44:45], v[48:49], v[50:51], v[28:29]
	v_mul_f64 v[26:27], v[48:49], v[56:57]
	v_mul_f64 v[28:29], v[46:47], v[56:57]
	;; [unrolled: 1-line block ×3, first 2 shown]
	v_fma_f64 v[52:53], v[60:61], v[70:71], v[52:53]
	v_add_f64 v[10:11], v[10:11], v[38:39]
	v_add_f64 v[12:13], v[40:41], v[12:13]
	s_waitcnt lgkmcnt(10)
	v_mul_f64 v[38:39], v[108:109], v[92:93]
	v_mul_f64 v[40:41], v[106:107], v[92:93]
	v_fma_f64 v[30:31], v[78:79], v[82:83], -v[30:31]
	v_fma_f64 v[32:33], v[80:81], v[82:83], v[32:33]
	s_waitcnt lgkmcnt(8)
	v_mul_f64 v[82:83], v[112:113], v[116:117]
	v_add_f64 v[6:7], v[6:7], v[42:43]
	v_add_f64 v[8:9], v[44:45], v[8:9]
	v_fma_f64 v[46:47], v[46:47], v[54:55], -v[26:27]
	v_fma_f64 v[48:49], v[48:49], v[54:55], v[28:29]
	v_mul_f64 v[26:27], v[60:61], v[68:69]
	v_mul_f64 v[28:29], v[58:59], v[68:69]
	v_fma_f64 v[50:51], v[58:59], v[70:71], -v[50:51]
	v_mul_f64 v[42:43], v[108:109], v[96:97]
	v_mul_f64 v[44:45], v[106:107], v[96:97]
	v_add_f64 v[12:13], v[52:53], v[12:13]
	s_waitcnt lgkmcnt(7)
	v_mul_f64 v[52:53], v[110:111], v[120:121]
	v_fma_f64 v[38:39], v[106:107], v[90:91], -v[38:39]
	v_fma_f64 v[40:41], v[108:109], v[90:91], v[40:41]
	v_add_f64 v[2:3], v[2:3], v[46:47]
	v_add_f64 v[4:5], v[48:49], v[4:5]
	v_fma_f64 v[54:55], v[58:59], v[66:67], -v[26:27]
	v_fma_f64 v[56:57], v[60:61], v[66:67], v[28:29]
	v_mul_f64 v[26:27], v[76:77], v[68:69]
	v_mul_f64 v[28:29], v[74:75], v[68:69]
	;; [unrolled: 1-line block ×3, first 2 shown]
	v_add_f64 v[10:11], v[10:11], v[50:51]
	v_mul_f64 v[46:47], v[104:105], v[116:117]
	v_mul_f64 v[48:49], v[102:103], v[116:117]
	;; [unrolled: 1-line block ×3, first 2 shown]
	v_fma_f64 v[42:43], v[106:107], v[94:95], -v[42:43]
	v_fma_f64 v[44:45], v[108:109], v[94:95], v[44:45]
	v_fma_f64 v[52:53], v[112:113], v[118:119], v[52:53]
	v_add_f64 v[14:15], v[14:15], v[54:55]
	v_add_f64 v[16:17], v[56:57], v[16:17]
	v_fma_f64 v[58:59], v[74:75], v[66:67], -v[26:27]
	v_fma_f64 v[60:61], v[76:77], v[66:67], v[28:29]
	v_mul_f64 v[66:67], v[76:77], v[72:73]
	v_mul_f64 v[72:73], v[64:65], v[88:89]
	v_fma_f64 v[68:69], v[76:77], v[70:71], v[68:69]
	v_mul_f64 v[76:77], v[100:101], v[92:93]
	v_fma_f64 v[64:65], v[64:65], v[86:87], v[150:151]
	v_mul_f64 v[92:93], v[102:103], v[120:121]
	s_waitcnt lgkmcnt(4)
	v_mul_f64 v[54:55], v[132:133], v[124:125]
	v_mul_f64 v[56:57], v[130:131], v[124:125]
	v_fma_f64 v[46:47], v[102:103], v[114:115], -v[46:47]
	v_fma_f64 v[48:49], v[104:105], v[114:115], v[48:49]
	v_fma_f64 v[50:51], v[110:111], v[118:119], -v[50:51]
	ds_read_b128 v[26:29], v22 offset:3840
	s_waitcnt lgkmcnt(0)
	s_barrier
	buffer_gl0_inv
	v_add_f64 v[14:15], v[14:15], v[34:35]
	v_add_f64 v[16:17], v[36:37], v[16:17]
	;; [unrolled: 1-line block ×4, first 2 shown]
	v_fma_f64 v[66:67], v[74:75], v[70:71], -v[66:67]
	v_mul_f64 v[70:71], v[80:81], v[88:89]
	v_mul_f64 v[74:75], v[78:79], v[88:89]
	v_mul_f64 v[88:89], v[100:101], v[96:97]
	v_fma_f64 v[62:63], v[62:63], v[86:87], -v[72:73]
	v_add_f64 v[4:5], v[68:69], v[4:5]
	v_mul_f64 v[72:73], v[104:105], v[120:121]
	v_mul_f64 v[96:97], v[110:111], v[116:117]
	v_fma_f64 v[68:69], v[100:101], v[90:91], v[84:85]
	v_add_f64 v[12:13], v[64:65], v[12:13]
	v_mul_f64 v[58:59], v[132:133], v[128:129]
	v_mul_f64 v[60:61], v[130:131], v[128:129]
	;; [unrolled: 1-line block ×5, first 2 shown]
	v_fma_f64 v[54:55], v[130:131], v[122:123], -v[54:55]
	v_fma_f64 v[56:57], v[132:133], v[122:123], v[56:57]
	v_add_f64 v[6:7], v[6:7], v[30:31]
	v_add_f64 v[8:9], v[32:33], v[8:9]
	;; [unrolled: 1-line block ×3, first 2 shown]
	v_fma_f64 v[70:71], v[78:79], v[86:87], -v[70:71]
	v_fma_f64 v[74:75], v[80:81], v[86:87], v[74:75]
	v_fma_f64 v[66:67], v[98:99], v[90:91], -v[76:77]
	v_fma_f64 v[76:77], v[98:99], v[94:95], -v[88:89]
	v_fma_f64 v[78:79], v[100:101], v[94:95], v[152:153]
	v_add_f64 v[10:11], v[10:11], v[62:63]
	v_mul_f64 v[30:31], v[140:141], v[124:125]
	v_mul_f64 v[32:33], v[138:139], v[124:125]
	v_fma_f64 v[80:81], v[112:113], v[114:115], v[96:97]
	v_add_f64 v[16:17], v[68:69], v[16:17]
	v_mul_f64 v[62:63], v[136:137], v[148:149]
	v_fma_f64 v[58:59], v[130:131], v[126:127], -v[58:59]
	v_fma_f64 v[60:61], v[132:133], v[126:127], v[60:61]
	v_fma_f64 v[34:35], v[138:139], v[126:127], -v[34:35]
	v_fma_f64 v[36:37], v[140:141], v[126:127], v[36:37]
	v_add_f64 v[6:7], v[6:7], v[38:39]
	v_add_f64 v[8:9], v[40:41], v[8:9]
	v_mul_f64 v[38:39], v[136:137], v[28:29]
	v_add_f64 v[2:3], v[2:3], v[70:71]
	v_add_f64 v[4:5], v[74:75], v[4:5]
	v_fma_f64 v[70:71], v[102:103], v[118:119], -v[72:73]
	v_fma_f64 v[72:73], v[104:105], v[118:119], v[92:93]
	v_fma_f64 v[74:75], v[110:111], v[114:115], -v[82:83]
	v_add_f64 v[14:15], v[14:15], v[66:67]
	v_add_f64 v[10:11], v[10:11], v[76:77]
	;; [unrolled: 1-line block ×3, first 2 shown]
	v_mul_f64 v[40:41], v[134:135], v[28:29]
	v_mul_f64 v[66:67], v[144:145], v[28:29]
	;; [unrolled: 1-line block ×3, first 2 shown]
	v_fma_f64 v[30:31], v[138:139], v[122:123], -v[30:31]
	v_fma_f64 v[32:33], v[140:141], v[122:123], v[32:33]
	v_add_f64 v[16:17], v[48:49], v[16:17]
	v_fma_f64 v[48:49], v[136:137], v[146:147], v[64:65]
	v_add_f64 v[8:9], v[80:81], v[8:9]
	v_fma_f64 v[38:39], v[134:135], v[26:27], -v[38:39]
	v_add_f64 v[2:3], v[2:3], v[42:43]
	v_add_f64 v[4:5], v[44:45], v[4:5]
	v_mul_f64 v[42:43], v[144:145], v[148:149]
	v_mul_f64 v[44:45], v[142:143], v[148:149]
	v_add_f64 v[6:7], v[6:7], v[74:75]
	v_add_f64 v[14:15], v[14:15], v[46:47]
	;; [unrolled: 1-line block ×4, first 2 shown]
	v_fma_f64 v[46:47], v[134:135], v[146:147], -v[62:63]
	v_fma_f64 v[40:41], v[136:137], v[26:27], v[40:41]
	v_add_f64 v[16:17], v[56:57], v[16:17]
	v_add_f64 v[8:9], v[32:33], v[8:9]
	;; [unrolled: 1-line block ×4, first 2 shown]
	v_fma_f64 v[42:43], v[142:143], v[146:147], -v[42:43]
	v_fma_f64 v[44:45], v[144:145], v[146:147], v[44:45]
	v_fma_f64 v[50:51], v[142:143], v[26:27], -v[66:67]
	v_fma_f64 v[26:27], v[144:145], v[26:27], v[28:29]
	v_add_f64 v[14:15], v[14:15], v[54:55]
	v_add_f64 v[10:11], v[10:11], v[58:59]
	;; [unrolled: 1-line block ×14, first 2 shown]
	s_cbranch_vccnz .LBB545_2
	s_branch .LBB545_4
.LBB545_3:
	v_mov_b32_e32 v14, 0
	v_mov_b32_e32 v16, 0
	;; [unrolled: 1-line block ×16, first 2 shown]
.LBB545_4:
	s_load_dwordx2 s[4:5], s[4:5], 0x90
	v_cmp_neq_f64_e64 s6, s[38:39], 0
	v_cmp_neq_f64_e64 s7, s[40:41], 0
	v_add_co_u32 v22, s2, s2, v1
	v_add_co_u32 v0, s0, s0, v0
	v_add_co_ci_u32_e64 v23, null, s3, 0, s2
	v_add_co_ci_u32_e64 v1, null, s1, 0, s0
	s_waitcnt lgkmcnt(0)
	s_mul_i32 s5, s5, s8
	s_mul_hi_u32 s9, s4, s8
	s_mul_i32 s4, s4, s8
	s_add_i32 s5, s9, s5
	s_lshl_b64 s[4:5], s[4:5], 4
	s_add_u32 s2, s48, s4
	s_addc_u32 s3, s49, s5
	s_or_b32 s4, s6, s7
	s_and_b32 vcc_lo, exec_lo, s4
	s_cbranch_vccnz .LBB545_6
; %bb.5:
	v_mul_f64 v[20:21], s[16:17], v[16:17]
	v_mul_f64 v[26:27], s[14:15], v[16:17]
	;; [unrolled: 1-line block ×4, first 2 shown]
	v_mul_lo_u32 v24, v23, s50
	v_mul_lo_u32 v25, v22, s51
	v_mad_u64_u32 v[18:19], null, v22, s50, 0
	v_mul_f64 v[28:29], s[16:17], v[12:13]
	v_mul_f64 v[30:31], s[14:15], v[12:13]
	;; [unrolled: 1-line block ×4, first 2 shown]
	s_lshl_b64 s[0:1], s[50:51], 8
	v_lshlrev_b64 v[40:41], 4, v[0:1]
	v_add3_u32 v19, v19, v25, v24
	v_lshlrev_b64 v[18:19], 4, v[18:19]
	v_fma_f64 v[24:25], s[14:15], v[14:15], -v[20:21]
	v_fma_f64 v[26:27], s[16:17], v[14:15], v[26:27]
	v_fma_f64 v[36:37], s[14:15], v[2:3], -v[36:37]
	v_add_co_u32 v42, vcc_lo, s2, v18
	v_add_co_ci_u32_e64 v43, null, s3, v19, vcc_lo
	v_fma_f64 v[18:19], s[16:17], v[2:3], v[38:39]
	v_fma_f64 v[28:29], s[14:15], v[10:11], -v[28:29]
	v_fma_f64 v[30:31], s[16:17], v[10:11], v[30:31]
	v_fma_f64 v[32:33], s[14:15], v[6:7], -v[32:33]
	v_fma_f64 v[34:35], s[16:17], v[6:7], v[34:35]
	v_add_co_u32 v20, vcc_lo, v42, s0
	v_add_co_ci_u32_e64 v21, null, s1, v43, vcc_lo
	v_add_co_u32 v38, vcc_lo, v20, v40
	v_add_co_ci_u32_e64 v39, null, v21, v41, vcc_lo
	;; [unrolled: 2-line block ×4, first 2 shown]
	global_store_dwordx4 v[40:41], v[24:27], off
	global_store_dwordx4 v[40:41], v[28:31], off offset:256
	global_store_dwordx4 v[38:39], v[32:35], off
	global_store_dwordx2 v[38:39], v[36:37], off offset:256
	s_cbranch_execz .LBB545_7
	s_branch .LBB545_8
.LBB545_6:
                                        ; implicit-def: $vgpr18_vgpr19
                                        ; implicit-def: $vgpr20_vgpr21
.LBB545_7:
	v_mul_lo_u32 v20, v23, s44
	v_mul_lo_u32 v21, v22, s45
	v_mad_u64_u32 v[18:19], null, v22, s44, 0
	s_mul_i32 s1, s47, s8
	s_mul_hi_u32 s4, s46, s8
	s_mul_i32 s0, s46, s8
	s_add_i32 s1, s4, s1
	v_lshlrev_b64 v[0:1], 4, v[0:1]
	s_lshl_b64 s[0:1], s[0:1], 4
	v_add3_u32 v19, v19, v21, v20
	s_add_u32 s0, s42, s0
	s_addc_u32 s1, s43, s1
	v_mul_f64 v[26:27], s[16:17], v[16:17]
	v_mul_f64 v[16:17], s[14:15], v[16:17]
	v_lshlrev_b64 v[18:19], 4, v[18:19]
	v_mul_lo_u32 v23, v23, s50
	v_add_co_u32 v30, vcc_lo, s0, v18
	v_add_co_ci_u32_e64 v31, null, s1, v19, vcc_lo
	s_lshl_b64 s[0:1], s[44:45], 8
	v_add_co_u32 v24, vcc_lo, v30, v0
	v_add_co_ci_u32_e64 v25, null, v31, v1, vcc_lo
	global_load_dwordx4 v[18:21], v[24:25], off
	v_fma_f64 v[26:27], s[14:15], v[14:15], -v[26:27]
	v_fma_f64 v[16:17], s[16:17], v[14:15], v[16:17]
	s_waitcnt vmcnt(0)
	v_mul_f64 v[28:29], s[40:41], v[20:21]
	v_mul_f64 v[20:21], s[38:39], v[20:21]
	v_fma_f64 v[14:15], s[38:39], v[18:19], -v[28:29]
	v_fma_f64 v[18:19], s[40:41], v[18:19], v[20:21]
	v_mul_lo_u32 v28, v22, s51
	v_mad_u64_u32 v[20:21], null, v22, s50, 0
	v_add3_u32 v21, v21, v28, v23
	v_add_f64 v[14:15], v[26:27], v[14:15]
	v_add_f64 v[16:17], v[16:17], v[18:19]
	v_lshlrev_b64 v[18:19], 4, v[20:21]
	v_mul_f64 v[20:21], s[16:17], v[12:13]
	v_mul_f64 v[12:13], s[14:15], v[12:13]
	v_add_co_u32 v26, vcc_lo, s2, v18
	v_add_co_ci_u32_e64 v27, null, s3, v19, vcc_lo
	v_add_co_u32 v18, vcc_lo, v26, v0
	v_add_co_ci_u32_e64 v19, null, v27, v1, vcc_lo
	global_store_dwordx4 v[18:19], v[14:17], off
	global_load_dwordx4 v[14:17], v[24:25], off offset:256
	v_fma_f64 v[20:21], s[14:15], v[10:11], -v[20:21]
	v_fma_f64 v[12:13], s[16:17], v[10:11], v[12:13]
	s_waitcnt vmcnt(0)
	v_mul_f64 v[22:23], s[40:41], v[16:17]
	v_mul_f64 v[16:17], s[38:39], v[16:17]
	v_fma_f64 v[10:11], s[38:39], v[14:15], -v[22:23]
	v_fma_f64 v[14:15], s[40:41], v[14:15], v[16:17]
	v_mul_f64 v[16:17], s[16:17], v[8:9]
	v_mul_f64 v[8:9], s[14:15], v[8:9]
	v_add_f64 v[10:11], v[20:21], v[10:11]
	v_add_f64 v[12:13], v[12:13], v[14:15]
	v_add_co_u32 v14, vcc_lo, v30, s0
	v_add_co_ci_u32_e64 v15, null, s1, v31, vcc_lo
	v_fma_f64 v[16:17], s[14:15], v[6:7], -v[16:17]
	v_add_co_u32 v14, vcc_lo, v14, v0
	v_add_co_ci_u32_e64 v15, null, v15, v1, vcc_lo
	v_fma_f64 v[8:9], s[16:17], v[6:7], v[8:9]
	s_lshl_b64 s[0:1], s[50:51], 8
	global_store_dwordx4 v[18:19], v[10:13], off offset:256
	global_load_dwordx4 v[10:13], v[14:15], off
	s_waitcnt vmcnt(0)
	v_mul_f64 v[18:19], s[40:41], v[12:13]
	v_mul_f64 v[12:13], s[38:39], v[12:13]
	v_fma_f64 v[6:7], s[38:39], v[10:11], -v[18:19]
	v_fma_f64 v[10:11], s[40:41], v[10:11], v[12:13]
	v_add_f64 v[6:7], v[16:17], v[6:7]
	v_add_f64 v[8:9], v[8:9], v[10:11]
	v_add_co_u32 v10, vcc_lo, v26, s0
	v_add_co_ci_u32_e64 v11, null, s1, v27, vcc_lo
	v_add_co_u32 v0, vcc_lo, v10, v0
	v_add_co_ci_u32_e64 v1, null, v11, v1, vcc_lo
	v_mul_f64 v[10:11], s[16:17], v[4:5]
	v_mul_f64 v[4:5], s[14:15], v[4:5]
	v_add_co_u32 v20, vcc_lo, 0x100, v0
	v_add_co_ci_u32_e64 v21, null, 0, v1, vcc_lo
	global_store_dwordx4 v[0:1], v[6:9], off
	global_load_dwordx4 v[6:9], v[14:15], off offset:256
	v_fma_f64 v[10:11], s[14:15], v[2:3], -v[10:11]
	v_fma_f64 v[2:3], s[16:17], v[2:3], v[4:5]
	s_waitcnt vmcnt(0)
	v_mul_f64 v[12:13], s[40:41], v[8:9]
	v_mul_f64 v[8:9], s[38:39], v[8:9]
	v_fma_f64 v[4:5], s[38:39], v[6:7], -v[12:13]
	v_fma_f64 v[6:7], s[40:41], v[6:7], v[8:9]
	v_add_f64 v[4:5], v[10:11], v[4:5]
	v_add_f64 v[18:19], v[2:3], v[6:7]
	global_store_dwordx2 v[0:1], v[4:5], off offset:256
.LBB545_8:
	global_store_dwordx2 v[20:21], v[18:19], off offset:8
	s_endpgm
	.section	.rodata,"a",@progbits
	.p2align	6, 0x0
	.amdhsa_kernel _ZN12_GLOBAL__N_127rocblas_gemm_batched_kernelI19rocblas_complex_numIdELi16ELi16ELi32ELi32ELi8ELi32ELi8ELi8ELi32ELc78ELc67EKS2_S3_S2_EEvlllT_PT11_llS6_llS4_PT12_llPT13_lli
		.amdhsa_group_segment_fixed_size 8192
		.amdhsa_private_segment_fixed_size 0
		.amdhsa_kernarg_size 156
		.amdhsa_user_sgpr_count 6
		.amdhsa_user_sgpr_private_segment_buffer 1
		.amdhsa_user_sgpr_dispatch_ptr 0
		.amdhsa_user_sgpr_queue_ptr 0
		.amdhsa_user_sgpr_kernarg_segment_ptr 1
		.amdhsa_user_sgpr_dispatch_id 0
		.amdhsa_user_sgpr_flat_scratch_init 0
		.amdhsa_user_sgpr_private_segment_size 0
		.amdhsa_wavefront_size32 1
		.amdhsa_uses_dynamic_stack 0
		.amdhsa_system_sgpr_private_segment_wavefront_offset 0
		.amdhsa_system_sgpr_workgroup_id_x 1
		.amdhsa_system_sgpr_workgroup_id_y 1
		.amdhsa_system_sgpr_workgroup_id_z 1
		.amdhsa_system_sgpr_workgroup_info 0
		.amdhsa_system_vgpr_workitem_id 1
		.amdhsa_next_free_vgpr 162
		.amdhsa_next_free_sgpr 52
		.amdhsa_reserve_vcc 1
		.amdhsa_reserve_flat_scratch 0
		.amdhsa_float_round_mode_32 0
		.amdhsa_float_round_mode_16_64 0
		.amdhsa_float_denorm_mode_32 3
		.amdhsa_float_denorm_mode_16_64 3
		.amdhsa_dx10_clamp 1
		.amdhsa_ieee_mode 1
		.amdhsa_fp16_overflow 0
		.amdhsa_workgroup_processor_mode 1
		.amdhsa_memory_ordered 1
		.amdhsa_forward_progress 1
		.amdhsa_shared_vgpr_count 0
		.amdhsa_exception_fp_ieee_invalid_op 0
		.amdhsa_exception_fp_denorm_src 0
		.amdhsa_exception_fp_ieee_div_zero 0
		.amdhsa_exception_fp_ieee_overflow 0
		.amdhsa_exception_fp_ieee_underflow 0
		.amdhsa_exception_fp_ieee_inexact 0
		.amdhsa_exception_int_div_zero 0
	.end_amdhsa_kernel
	.section	.text._ZN12_GLOBAL__N_127rocblas_gemm_batched_kernelI19rocblas_complex_numIdELi16ELi16ELi32ELi32ELi8ELi32ELi8ELi8ELi32ELc78ELc67EKS2_S3_S2_EEvlllT_PT11_llS6_llS4_PT12_llPT13_lli,"axG",@progbits,_ZN12_GLOBAL__N_127rocblas_gemm_batched_kernelI19rocblas_complex_numIdELi16ELi16ELi32ELi32ELi8ELi32ELi8ELi8ELi32ELc78ELc67EKS2_S3_S2_EEvlllT_PT11_llS6_llS4_PT12_llPT13_lli,comdat
.Lfunc_end545:
	.size	_ZN12_GLOBAL__N_127rocblas_gemm_batched_kernelI19rocblas_complex_numIdELi16ELi16ELi32ELi32ELi8ELi32ELi8ELi8ELi32ELc78ELc67EKS2_S3_S2_EEvlllT_PT11_llS6_llS4_PT12_llPT13_lli, .Lfunc_end545-_ZN12_GLOBAL__N_127rocblas_gemm_batched_kernelI19rocblas_complex_numIdELi16ELi16ELi32ELi32ELi8ELi32ELi8ELi8ELi32ELc78ELc67EKS2_S3_S2_EEvlllT_PT11_llS6_llS4_PT12_llPT13_lli
                                        ; -- End function
	.set _ZN12_GLOBAL__N_127rocblas_gemm_batched_kernelI19rocblas_complex_numIdELi16ELi16ELi32ELi32ELi8ELi32ELi8ELi8ELi32ELc78ELc67EKS2_S3_S2_EEvlllT_PT11_llS6_llS4_PT12_llPT13_lli.num_vgpr, 162
	.set _ZN12_GLOBAL__N_127rocblas_gemm_batched_kernelI19rocblas_complex_numIdELi16ELi16ELi32ELi32ELi8ELi32ELi8ELi8ELi32ELc78ELc67EKS2_S3_S2_EEvlllT_PT11_llS6_llS4_PT12_llPT13_lli.num_agpr, 0
	.set _ZN12_GLOBAL__N_127rocblas_gemm_batched_kernelI19rocblas_complex_numIdELi16ELi16ELi32ELi32ELi8ELi32ELi8ELi8ELi32ELc78ELc67EKS2_S3_S2_EEvlllT_PT11_llS6_llS4_PT12_llPT13_lli.numbered_sgpr, 52
	.set _ZN12_GLOBAL__N_127rocblas_gemm_batched_kernelI19rocblas_complex_numIdELi16ELi16ELi32ELi32ELi8ELi32ELi8ELi8ELi32ELc78ELc67EKS2_S3_S2_EEvlllT_PT11_llS6_llS4_PT12_llPT13_lli.num_named_barrier, 0
	.set _ZN12_GLOBAL__N_127rocblas_gemm_batched_kernelI19rocblas_complex_numIdELi16ELi16ELi32ELi32ELi8ELi32ELi8ELi8ELi32ELc78ELc67EKS2_S3_S2_EEvlllT_PT11_llS6_llS4_PT12_llPT13_lli.private_seg_size, 0
	.set _ZN12_GLOBAL__N_127rocblas_gemm_batched_kernelI19rocblas_complex_numIdELi16ELi16ELi32ELi32ELi8ELi32ELi8ELi8ELi32ELc78ELc67EKS2_S3_S2_EEvlllT_PT11_llS6_llS4_PT12_llPT13_lli.uses_vcc, 1
	.set _ZN12_GLOBAL__N_127rocblas_gemm_batched_kernelI19rocblas_complex_numIdELi16ELi16ELi32ELi32ELi8ELi32ELi8ELi8ELi32ELc78ELc67EKS2_S3_S2_EEvlllT_PT11_llS6_llS4_PT12_llPT13_lli.uses_flat_scratch, 0
	.set _ZN12_GLOBAL__N_127rocblas_gemm_batched_kernelI19rocblas_complex_numIdELi16ELi16ELi32ELi32ELi8ELi32ELi8ELi8ELi32ELc78ELc67EKS2_S3_S2_EEvlllT_PT11_llS6_llS4_PT12_llPT13_lli.has_dyn_sized_stack, 0
	.set _ZN12_GLOBAL__N_127rocblas_gemm_batched_kernelI19rocblas_complex_numIdELi16ELi16ELi32ELi32ELi8ELi32ELi8ELi8ELi32ELc78ELc67EKS2_S3_S2_EEvlllT_PT11_llS6_llS4_PT12_llPT13_lli.has_recursion, 0
	.set _ZN12_GLOBAL__N_127rocblas_gemm_batched_kernelI19rocblas_complex_numIdELi16ELi16ELi32ELi32ELi8ELi32ELi8ELi8ELi32ELc78ELc67EKS2_S3_S2_EEvlllT_PT11_llS6_llS4_PT12_llPT13_lli.has_indirect_call, 0
	.section	.AMDGPU.csdata,"",@progbits
; Kernel info:
; codeLenInByte = 3520
; TotalNumSgprs: 54
; NumVgprs: 162
; ScratchSize: 0
; MemoryBound: 0
; FloatMode: 240
; IeeeMode: 1
; LDSByteSize: 8192 bytes/workgroup (compile time only)
; SGPRBlocks: 0
; VGPRBlocks: 20
; NumSGPRsForWavesPerEU: 54
; NumVGPRsForWavesPerEU: 162
; Occupancy: 5
; WaveLimiterHint : 1
; COMPUTE_PGM_RSRC2:SCRATCH_EN: 0
; COMPUTE_PGM_RSRC2:USER_SGPR: 6
; COMPUTE_PGM_RSRC2:TRAP_HANDLER: 0
; COMPUTE_PGM_RSRC2:TGID_X_EN: 1
; COMPUTE_PGM_RSRC2:TGID_Y_EN: 1
; COMPUTE_PGM_RSRC2:TGID_Z_EN: 1
; COMPUTE_PGM_RSRC2:TIDIG_COMP_CNT: 1
	.section	.text._ZN12_GLOBAL__N_127rocblas_gemm_batched_kernelI19rocblas_complex_numIdELi16ELi16ELi32ELi32ELi8ELi32ELi8ELi8ELi32ELc84ELc67EKS2_S3_S2_EEvlllT_PT11_llS6_llS4_PT12_llPT13_lli,"axG",@progbits,_ZN12_GLOBAL__N_127rocblas_gemm_batched_kernelI19rocblas_complex_numIdELi16ELi16ELi32ELi32ELi8ELi32ELi8ELi8ELi32ELc84ELc67EKS2_S3_S2_EEvlllT_PT11_llS6_llS4_PT12_llPT13_lli,comdat
	.globl	_ZN12_GLOBAL__N_127rocblas_gemm_batched_kernelI19rocblas_complex_numIdELi16ELi16ELi32ELi32ELi8ELi32ELi8ELi8ELi32ELc84ELc67EKS2_S3_S2_EEvlllT_PT11_llS6_llS4_PT12_llPT13_lli ; -- Begin function _ZN12_GLOBAL__N_127rocblas_gemm_batched_kernelI19rocblas_complex_numIdELi16ELi16ELi32ELi32ELi8ELi32ELi8ELi8ELi32ELc84ELc67EKS2_S3_S2_EEvlllT_PT11_llS6_llS4_PT12_llPT13_lli
	.p2align	8
	.type	_ZN12_GLOBAL__N_127rocblas_gemm_batched_kernelI19rocblas_complex_numIdELi16ELi16ELi32ELi32ELi8ELi32ELi8ELi8ELi32ELc84ELc67EKS2_S3_S2_EEvlllT_PT11_llS6_llS4_PT12_llPT13_lli,@function
_ZN12_GLOBAL__N_127rocblas_gemm_batched_kernelI19rocblas_complex_numIdELi16ELi16ELi32ELi32ELi8ELi32ELi8ELi8ELi32ELc84ELc67EKS2_S3_S2_EEvlllT_PT11_llS6_llS4_PT12_llPT13_lli: ; @_ZN12_GLOBAL__N_127rocblas_gemm_batched_kernelI19rocblas_complex_numIdELi16ELi16ELi32ELi32ELi8ELi32ELi8ELi8ELi32ELc84ELc67EKS2_S3_S2_EEvlllT_PT11_llS6_llS4_PT12_llPT13_lli
; %bb.0:
	s_clause 0x1
	s_load_dwordx16 s[12:27], s[4:5], 0x10
	s_load_dwordx16 s[36:51], s[4:5], 0x50
	s_mov_b32 s2, s7
	s_ashr_i32 s7, s6, 31
	s_ashr_i32 s3, s2, 31
	s_lshl_b64 s[0:1], s[6:7], 5
	s_lshl_b64 s[2:3], s[2:3], 5
	s_waitcnt lgkmcnt(0)
	v_cmp_lt_i64_e64 s9, s[12:13], 1
	s_and_b32 vcc_lo, exec_lo, s9
	s_cbranch_vccnz .LBB546_3
; %bb.1:
	v_lshl_add_u32 v6, v1, 4, v0
	v_and_b32_e32 v7, 7, v0
	s_mul_i32 s7, s23, s8
	s_mul_hi_u32 s9, s22, s8
	s_mul_hi_u32 s10, s36, s8
	v_lshrrev_b32_e32 v8, 3, v6
	v_and_b32_e32 v9, 31, v6
	v_lshlrev_b32_e32 v12, 4, v7
	v_lshrrev_b32_e32 v13, 5, v6
	s_add_i32 s7, s9, s7
	v_add_co_u32 v2, s6, v8, s2
	v_add_co_ci_u32_e64 v3, null, 0, s3, s6
	v_add_co_u32 v4, s6, s0, v9
	v_add_co_ci_u32_e64 v5, null, s1, 0, s6
	v_mad_u64_u32 v[2:3], null, s26, v7, v[2:3]
	v_mul_lo_u32 v10, s21, v4
	v_mul_lo_u32 v11, s20, v5
	v_mad_u64_u32 v[4:5], null, s20, v4, 0
	s_mul_i32 s6, s22, s8
	s_mul_i32 s9, s37, s8
	s_lshl_b64 s[6:7], s[6:7], 4
	v_lshlrev_b32_e32 v9, 4, v9
	v_mov_b32_e32 v16, 0
	v_mov_b32_e32 v14, 0
	v_add3_u32 v5, v5, v11, v10
	v_mad_u64_u32 v[6:7], null, s27, v7, v[3:4]
	v_lshl_or_b32 v3, v8, 7, v12
	v_lshl_or_b32 v24, v13, 9, v9
	v_lshlrev_b64 v[4:5], 4, v[4:5]
	v_mov_b32_e32 v8, 0
	v_mov_b32_e32 v10, 0
	v_add_nc_u32_e32 v25, 0x1000, v3
	v_mov_b32_e32 v3, v6
	v_lshlrev_b32_e32 v6, 4, v13
	v_add_co_u32 v4, vcc_lo, v4, s6
	v_add_co_ci_u32_e64 v5, null, s7, v5, vcc_lo
	s_add_i32 s7, s10, s9
	v_add_co_u32 v4, vcc_lo, v4, v6
	s_mul_i32 s6, s36, s8
	v_lshlrev_b64 v[2:3], 4, v[2:3]
	v_add_co_ci_u32_e64 v5, null, 0, v5, vcc_lo
	s_lshl_b64 s[6:7], s[6:7], 4
	v_add_co_u32 v18, vcc_lo, s18, v4
	s_add_u32 s6, s24, s6
	v_add_co_ci_u32_e64 v19, null, s19, v5, vcc_lo
	s_addc_u32 s7, s25, s7
	v_add_co_u32 v20, vcc_lo, s6, v2
	v_add_co_ci_u32_e64 v21, null, s7, v3, vcc_lo
	v_mov_b32_e32 v4, 0
	v_add_co_u32 v20, vcc_lo, v20, 8
	v_mov_b32_e32 v2, 0
	v_mov_b32_e32 v6, 0
	;; [unrolled: 1-line block ×3, first 2 shown]
	v_lshlrev_b32_e32 v22, 4, v0
	v_lshl_add_u32 v23, v1, 7, 0x1000
	v_mov_b32_e32 v5, 0
	v_mov_b32_e32 v3, 0
	;; [unrolled: 1-line block ×8, first 2 shown]
	v_add_co_ci_u32_e64 v21, null, 0, v21, vcc_lo
	s_lshl_b64 s[6:7], s[26:27], 7
	s_mov_b64 s[10:11], 0
.LBB546_2:                              ; =>This Inner Loop Header: Depth=1
	global_load_dwordx4 v[26:29], v[20:21], off offset:-8
	global_load_dwordx4 v[30:33], v[18:19], off
	s_add_u32 s10, s10, 8
	s_addc_u32 s11, s11, 0
	v_add_co_u32 v18, vcc_lo, 0x80, v18
	v_cmp_lt_i64_e64 s9, s[10:11], s[12:13]
	v_add_co_ci_u32_e64 v19, null, 0, v19, vcc_lo
	v_add_co_u32 v20, vcc_lo, v20, s6
	v_add_co_ci_u32_e64 v21, null, s7, v21, vcc_lo
	s_and_b32 vcc_lo, exec_lo, s9
	s_waitcnt vmcnt(1)
	v_xor_b32_e32 v29, 0x80000000, v29
	s_waitcnt vmcnt(0)
	ds_write2_b64 v24, v[30:31], v[32:33] offset1:1
	ds_write_b128 v25, v[26:29]
	s_waitcnt lgkmcnt(0)
	s_barrier
	buffer_gl0_inv
	ds_read_b128 v[26:29], v22
	ds_read_b128 v[30:33], v22 offset:256
	ds_read_b128 v[34:37], v23
	ds_read_b128 v[38:41], v23 offset:16
	ds_read_b128 v[42:45], v23 offset:2048
	;; [unrolled: 1-line block ×28, first 2 shown]
	s_waitcnt lgkmcnt(28)
	v_mul_f64 v[150:151], v[36:37], v[28:29]
	v_mul_f64 v[154:155], v[36:37], v[32:33]
	v_mul_f64 v[152:153], v[34:35], v[28:29]
	v_mul_f64 v[156:157], v[34:35], v[32:33]
	v_fma_f64 v[150:151], v[34:35], v[26:27], -v[150:151]
	v_fma_f64 v[34:35], v[34:35], v[30:31], -v[154:155]
	s_waitcnt lgkmcnt(26)
	v_mul_f64 v[154:155], v[44:45], v[28:29]
	v_mul_f64 v[28:29], v[42:43], v[28:29]
	v_fma_f64 v[152:153], v[36:37], v[26:27], v[152:153]
	v_fma_f64 v[36:37], v[36:37], v[30:31], v[156:157]
	v_add_f64 v[14:15], v[14:15], v[150:151]
	v_add_f64 v[10:11], v[10:11], v[34:35]
	v_fma_f64 v[154:155], v[42:43], v[26:27], -v[154:155]
	v_fma_f64 v[156:157], v[44:45], v[26:27], v[28:29]
	v_mul_f64 v[26:27], v[44:45], v[32:33]
	v_mul_f64 v[28:29], v[42:43], v[32:33]
	v_add_f64 v[16:17], v[152:153], v[16:17]
	v_add_f64 v[12:13], v[36:37], v[12:13]
	s_waitcnt lgkmcnt(16)
	v_mul_f64 v[34:35], v[64:65], v[84:85]
	v_mul_f64 v[36:37], v[62:63], v[84:85]
	s_waitcnt lgkmcnt(15)
	v_mul_f64 v[150:151], v[62:63], v[88:89]
	s_waitcnt lgkmcnt(12)
	v_mul_f64 v[152:153], v[98:99], v[96:97]
	v_add_f64 v[6:7], v[6:7], v[154:155]
	v_add_f64 v[8:9], v[156:157], v[8:9]
	v_fma_f64 v[32:33], v[42:43], v[30:31], -v[26:27]
	v_fma_f64 v[30:31], v[44:45], v[30:31], v[28:29]
	v_mul_f64 v[26:27], v[40:41], v[52:53]
	v_mul_f64 v[28:29], v[38:39], v[52:53]
	v_mul_f64 v[42:43], v[40:41], v[56:57]
	v_mul_f64 v[44:45], v[38:39], v[56:57]
	v_fma_f64 v[34:35], v[62:63], v[82:83], -v[34:35]
	v_fma_f64 v[36:37], v[64:65], v[82:83], v[36:37]
	v_add_f64 v[2:3], v[2:3], v[32:33]
	v_add_f64 v[4:5], v[30:31], v[4:5]
	v_fma_f64 v[158:159], v[38:39], v[50:51], -v[26:27]
	v_fma_f64 v[160:161], v[40:41], v[50:51], v[28:29]
	v_mul_f64 v[26:27], v[48:49], v[52:53]
	v_mul_f64 v[28:29], v[46:47], v[52:53]
	v_fma_f64 v[38:39], v[38:39], v[54:55], -v[42:43]
	v_fma_f64 v[40:41], v[40:41], v[54:55], v[44:45]
	v_mul_f64 v[52:53], v[58:59], v[72:73]
	v_mul_f64 v[30:31], v[80:81], v[84:85]
	;; [unrolled: 1-line block ×4, first 2 shown]
	v_add_f64 v[14:15], v[14:15], v[158:159]
	v_add_f64 v[16:17], v[160:161], v[16:17]
	v_fma_f64 v[42:43], v[46:47], v[50:51], -v[26:27]
	v_fma_f64 v[44:45], v[48:49], v[50:51], v[28:29]
	v_mul_f64 v[26:27], v[48:49], v[56:57]
	v_mul_f64 v[28:29], v[46:47], v[56:57]
	;; [unrolled: 1-line block ×3, first 2 shown]
	v_fma_f64 v[52:53], v[60:61], v[70:71], v[52:53]
	v_add_f64 v[10:11], v[10:11], v[38:39]
	v_add_f64 v[12:13], v[40:41], v[12:13]
	s_waitcnt lgkmcnt(10)
	v_mul_f64 v[38:39], v[108:109], v[92:93]
	v_mul_f64 v[40:41], v[106:107], v[92:93]
	v_fma_f64 v[30:31], v[78:79], v[82:83], -v[30:31]
	v_fma_f64 v[32:33], v[80:81], v[82:83], v[32:33]
	s_waitcnt lgkmcnt(8)
	v_mul_f64 v[82:83], v[112:113], v[116:117]
	v_add_f64 v[6:7], v[6:7], v[42:43]
	v_add_f64 v[8:9], v[44:45], v[8:9]
	v_fma_f64 v[46:47], v[46:47], v[54:55], -v[26:27]
	v_fma_f64 v[48:49], v[48:49], v[54:55], v[28:29]
	v_mul_f64 v[26:27], v[60:61], v[68:69]
	v_mul_f64 v[28:29], v[58:59], v[68:69]
	v_fma_f64 v[50:51], v[58:59], v[70:71], -v[50:51]
	v_mul_f64 v[42:43], v[108:109], v[96:97]
	v_mul_f64 v[44:45], v[106:107], v[96:97]
	v_add_f64 v[12:13], v[52:53], v[12:13]
	s_waitcnt lgkmcnt(7)
	v_mul_f64 v[52:53], v[110:111], v[120:121]
	v_fma_f64 v[38:39], v[106:107], v[90:91], -v[38:39]
	v_fma_f64 v[40:41], v[108:109], v[90:91], v[40:41]
	v_add_f64 v[2:3], v[2:3], v[46:47]
	v_add_f64 v[4:5], v[48:49], v[4:5]
	v_fma_f64 v[54:55], v[58:59], v[66:67], -v[26:27]
	v_fma_f64 v[56:57], v[60:61], v[66:67], v[28:29]
	v_mul_f64 v[26:27], v[76:77], v[68:69]
	v_mul_f64 v[28:29], v[74:75], v[68:69]
	;; [unrolled: 1-line block ×3, first 2 shown]
	v_add_f64 v[10:11], v[10:11], v[50:51]
	v_mul_f64 v[46:47], v[104:105], v[116:117]
	v_mul_f64 v[48:49], v[102:103], v[116:117]
	v_mul_f64 v[50:51], v[112:113], v[120:121]
	v_fma_f64 v[42:43], v[106:107], v[94:95], -v[42:43]
	v_fma_f64 v[44:45], v[108:109], v[94:95], v[44:45]
	v_fma_f64 v[52:53], v[112:113], v[118:119], v[52:53]
	v_add_f64 v[14:15], v[14:15], v[54:55]
	v_add_f64 v[16:17], v[56:57], v[16:17]
	v_fma_f64 v[58:59], v[74:75], v[66:67], -v[26:27]
	v_fma_f64 v[60:61], v[76:77], v[66:67], v[28:29]
	v_mul_f64 v[66:67], v[76:77], v[72:73]
	v_mul_f64 v[72:73], v[64:65], v[88:89]
	v_fma_f64 v[68:69], v[76:77], v[70:71], v[68:69]
	v_mul_f64 v[76:77], v[100:101], v[92:93]
	v_fma_f64 v[64:65], v[64:65], v[86:87], v[150:151]
	v_mul_f64 v[92:93], v[102:103], v[120:121]
	s_waitcnt lgkmcnt(4)
	v_mul_f64 v[54:55], v[132:133], v[124:125]
	v_mul_f64 v[56:57], v[130:131], v[124:125]
	v_fma_f64 v[46:47], v[102:103], v[114:115], -v[46:47]
	v_fma_f64 v[48:49], v[104:105], v[114:115], v[48:49]
	v_fma_f64 v[50:51], v[110:111], v[118:119], -v[50:51]
	ds_read_b128 v[26:29], v22 offset:3840
	s_waitcnt lgkmcnt(0)
	s_barrier
	buffer_gl0_inv
	v_add_f64 v[14:15], v[14:15], v[34:35]
	v_add_f64 v[16:17], v[36:37], v[16:17]
	;; [unrolled: 1-line block ×4, first 2 shown]
	v_fma_f64 v[66:67], v[74:75], v[70:71], -v[66:67]
	v_mul_f64 v[70:71], v[80:81], v[88:89]
	v_mul_f64 v[74:75], v[78:79], v[88:89]
	;; [unrolled: 1-line block ×3, first 2 shown]
	v_fma_f64 v[62:63], v[62:63], v[86:87], -v[72:73]
	v_add_f64 v[4:5], v[68:69], v[4:5]
	v_mul_f64 v[72:73], v[104:105], v[120:121]
	v_mul_f64 v[96:97], v[110:111], v[116:117]
	v_fma_f64 v[68:69], v[100:101], v[90:91], v[84:85]
	v_add_f64 v[12:13], v[64:65], v[12:13]
	v_mul_f64 v[58:59], v[132:133], v[128:129]
	v_mul_f64 v[60:61], v[130:131], v[128:129]
	v_mul_f64 v[34:35], v[140:141], v[128:129]
	v_mul_f64 v[36:37], v[138:139], v[128:129]
	v_mul_f64 v[64:65], v[134:135], v[148:149]
	v_fma_f64 v[54:55], v[130:131], v[122:123], -v[54:55]
	v_fma_f64 v[56:57], v[132:133], v[122:123], v[56:57]
	v_add_f64 v[6:7], v[6:7], v[30:31]
	v_add_f64 v[8:9], v[32:33], v[8:9]
	;; [unrolled: 1-line block ×3, first 2 shown]
	v_fma_f64 v[70:71], v[78:79], v[86:87], -v[70:71]
	v_fma_f64 v[74:75], v[80:81], v[86:87], v[74:75]
	v_fma_f64 v[66:67], v[98:99], v[90:91], -v[76:77]
	v_fma_f64 v[76:77], v[98:99], v[94:95], -v[88:89]
	v_fma_f64 v[78:79], v[100:101], v[94:95], v[152:153]
	v_add_f64 v[10:11], v[10:11], v[62:63]
	v_mul_f64 v[30:31], v[140:141], v[124:125]
	v_mul_f64 v[32:33], v[138:139], v[124:125]
	v_fma_f64 v[80:81], v[112:113], v[114:115], v[96:97]
	v_add_f64 v[16:17], v[68:69], v[16:17]
	v_mul_f64 v[62:63], v[136:137], v[148:149]
	v_fma_f64 v[58:59], v[130:131], v[126:127], -v[58:59]
	v_fma_f64 v[60:61], v[132:133], v[126:127], v[60:61]
	v_fma_f64 v[34:35], v[138:139], v[126:127], -v[34:35]
	v_fma_f64 v[36:37], v[140:141], v[126:127], v[36:37]
	v_add_f64 v[6:7], v[6:7], v[38:39]
	v_add_f64 v[8:9], v[40:41], v[8:9]
	v_mul_f64 v[38:39], v[136:137], v[28:29]
	v_add_f64 v[2:3], v[2:3], v[70:71]
	v_add_f64 v[4:5], v[74:75], v[4:5]
	v_fma_f64 v[70:71], v[102:103], v[118:119], -v[72:73]
	v_fma_f64 v[72:73], v[104:105], v[118:119], v[92:93]
	v_fma_f64 v[74:75], v[110:111], v[114:115], -v[82:83]
	v_add_f64 v[14:15], v[14:15], v[66:67]
	v_add_f64 v[10:11], v[10:11], v[76:77]
	;; [unrolled: 1-line block ×3, first 2 shown]
	v_mul_f64 v[40:41], v[134:135], v[28:29]
	v_mul_f64 v[66:67], v[144:145], v[28:29]
	v_mul_f64 v[28:29], v[142:143], v[28:29]
	v_fma_f64 v[30:31], v[138:139], v[122:123], -v[30:31]
	v_fma_f64 v[32:33], v[140:141], v[122:123], v[32:33]
	v_add_f64 v[16:17], v[48:49], v[16:17]
	v_fma_f64 v[48:49], v[136:137], v[146:147], v[64:65]
	v_add_f64 v[8:9], v[80:81], v[8:9]
	v_fma_f64 v[38:39], v[134:135], v[26:27], -v[38:39]
	v_add_f64 v[2:3], v[2:3], v[42:43]
	v_add_f64 v[4:5], v[44:45], v[4:5]
	v_mul_f64 v[42:43], v[144:145], v[148:149]
	v_mul_f64 v[44:45], v[142:143], v[148:149]
	v_add_f64 v[6:7], v[6:7], v[74:75]
	v_add_f64 v[14:15], v[14:15], v[46:47]
	;; [unrolled: 1-line block ×4, first 2 shown]
	v_fma_f64 v[46:47], v[134:135], v[146:147], -v[62:63]
	v_fma_f64 v[40:41], v[136:137], v[26:27], v[40:41]
	v_add_f64 v[16:17], v[56:57], v[16:17]
	v_add_f64 v[8:9], v[32:33], v[8:9]
	;; [unrolled: 1-line block ×4, first 2 shown]
	v_fma_f64 v[42:43], v[142:143], v[146:147], -v[42:43]
	v_fma_f64 v[44:45], v[144:145], v[146:147], v[44:45]
	v_fma_f64 v[50:51], v[142:143], v[26:27], -v[66:67]
	v_fma_f64 v[26:27], v[144:145], v[26:27], v[28:29]
	v_add_f64 v[14:15], v[14:15], v[54:55]
	v_add_f64 v[10:11], v[10:11], v[58:59]
	;; [unrolled: 1-line block ×14, first 2 shown]
	s_cbranch_vccnz .LBB546_2
	s_branch .LBB546_4
.LBB546_3:
	v_mov_b32_e32 v14, 0
	v_mov_b32_e32 v16, 0
	;; [unrolled: 1-line block ×16, first 2 shown]
.LBB546_4:
	s_load_dwordx2 s[4:5], s[4:5], 0x90
	v_cmp_neq_f64_e64 s6, s[38:39], 0
	v_cmp_neq_f64_e64 s7, s[40:41], 0
	v_add_co_u32 v22, s2, s2, v1
	v_add_co_u32 v0, s0, s0, v0
	v_add_co_ci_u32_e64 v23, null, s3, 0, s2
	v_add_co_ci_u32_e64 v1, null, s1, 0, s0
	s_waitcnt lgkmcnt(0)
	s_mul_i32 s5, s5, s8
	s_mul_hi_u32 s9, s4, s8
	s_mul_i32 s4, s4, s8
	s_add_i32 s5, s9, s5
	s_lshl_b64 s[4:5], s[4:5], 4
	s_add_u32 s2, s48, s4
	s_addc_u32 s3, s49, s5
	s_or_b32 s4, s6, s7
	s_and_b32 vcc_lo, exec_lo, s4
	s_cbranch_vccnz .LBB546_6
; %bb.5:
	v_mul_f64 v[20:21], s[16:17], v[16:17]
	v_mul_f64 v[26:27], s[14:15], v[16:17]
	;; [unrolled: 1-line block ×4, first 2 shown]
	v_mul_lo_u32 v24, v23, s50
	v_mul_lo_u32 v25, v22, s51
	v_mad_u64_u32 v[18:19], null, v22, s50, 0
	v_mul_f64 v[28:29], s[16:17], v[12:13]
	v_mul_f64 v[30:31], s[14:15], v[12:13]
	;; [unrolled: 1-line block ×4, first 2 shown]
	s_lshl_b64 s[0:1], s[50:51], 8
	v_lshlrev_b64 v[40:41], 4, v[0:1]
	v_add3_u32 v19, v19, v25, v24
	v_lshlrev_b64 v[18:19], 4, v[18:19]
	v_fma_f64 v[24:25], s[14:15], v[14:15], -v[20:21]
	v_fma_f64 v[26:27], s[16:17], v[14:15], v[26:27]
	v_fma_f64 v[36:37], s[14:15], v[2:3], -v[36:37]
	v_add_co_u32 v42, vcc_lo, s2, v18
	v_add_co_ci_u32_e64 v43, null, s3, v19, vcc_lo
	v_fma_f64 v[18:19], s[16:17], v[2:3], v[38:39]
	v_fma_f64 v[28:29], s[14:15], v[10:11], -v[28:29]
	v_fma_f64 v[30:31], s[16:17], v[10:11], v[30:31]
	v_fma_f64 v[32:33], s[14:15], v[6:7], -v[32:33]
	v_fma_f64 v[34:35], s[16:17], v[6:7], v[34:35]
	v_add_co_u32 v20, vcc_lo, v42, s0
	v_add_co_ci_u32_e64 v21, null, s1, v43, vcc_lo
	v_add_co_u32 v38, vcc_lo, v20, v40
	v_add_co_ci_u32_e64 v39, null, v21, v41, vcc_lo
	;; [unrolled: 2-line block ×4, first 2 shown]
	global_store_dwordx4 v[40:41], v[24:27], off
	global_store_dwordx4 v[40:41], v[28:31], off offset:256
	global_store_dwordx4 v[38:39], v[32:35], off
	global_store_dwordx2 v[38:39], v[36:37], off offset:256
	s_cbranch_execz .LBB546_7
	s_branch .LBB546_8
.LBB546_6:
                                        ; implicit-def: $vgpr18_vgpr19
                                        ; implicit-def: $vgpr20_vgpr21
.LBB546_7:
	v_mul_lo_u32 v20, v23, s44
	v_mul_lo_u32 v21, v22, s45
	v_mad_u64_u32 v[18:19], null, v22, s44, 0
	s_mul_i32 s1, s47, s8
	s_mul_hi_u32 s4, s46, s8
	s_mul_i32 s0, s46, s8
	s_add_i32 s1, s4, s1
	v_lshlrev_b64 v[0:1], 4, v[0:1]
	s_lshl_b64 s[0:1], s[0:1], 4
	v_add3_u32 v19, v19, v21, v20
	s_add_u32 s0, s42, s0
	s_addc_u32 s1, s43, s1
	v_mul_f64 v[26:27], s[16:17], v[16:17]
	v_mul_f64 v[16:17], s[14:15], v[16:17]
	v_lshlrev_b64 v[18:19], 4, v[18:19]
	v_mul_lo_u32 v23, v23, s50
	v_add_co_u32 v30, vcc_lo, s0, v18
	v_add_co_ci_u32_e64 v31, null, s1, v19, vcc_lo
	s_lshl_b64 s[0:1], s[44:45], 8
	v_add_co_u32 v24, vcc_lo, v30, v0
	v_add_co_ci_u32_e64 v25, null, v31, v1, vcc_lo
	global_load_dwordx4 v[18:21], v[24:25], off
	v_fma_f64 v[26:27], s[14:15], v[14:15], -v[26:27]
	v_fma_f64 v[16:17], s[16:17], v[14:15], v[16:17]
	s_waitcnt vmcnt(0)
	v_mul_f64 v[28:29], s[40:41], v[20:21]
	v_mul_f64 v[20:21], s[38:39], v[20:21]
	v_fma_f64 v[14:15], s[38:39], v[18:19], -v[28:29]
	v_fma_f64 v[18:19], s[40:41], v[18:19], v[20:21]
	v_mul_lo_u32 v28, v22, s51
	v_mad_u64_u32 v[20:21], null, v22, s50, 0
	v_add3_u32 v21, v21, v28, v23
	v_add_f64 v[14:15], v[26:27], v[14:15]
	v_add_f64 v[16:17], v[16:17], v[18:19]
	v_lshlrev_b64 v[18:19], 4, v[20:21]
	v_mul_f64 v[20:21], s[16:17], v[12:13]
	v_mul_f64 v[12:13], s[14:15], v[12:13]
	v_add_co_u32 v26, vcc_lo, s2, v18
	v_add_co_ci_u32_e64 v27, null, s3, v19, vcc_lo
	v_add_co_u32 v18, vcc_lo, v26, v0
	v_add_co_ci_u32_e64 v19, null, v27, v1, vcc_lo
	global_store_dwordx4 v[18:19], v[14:17], off
	global_load_dwordx4 v[14:17], v[24:25], off offset:256
	v_fma_f64 v[20:21], s[14:15], v[10:11], -v[20:21]
	v_fma_f64 v[12:13], s[16:17], v[10:11], v[12:13]
	s_waitcnt vmcnt(0)
	v_mul_f64 v[22:23], s[40:41], v[16:17]
	v_mul_f64 v[16:17], s[38:39], v[16:17]
	v_fma_f64 v[10:11], s[38:39], v[14:15], -v[22:23]
	v_fma_f64 v[14:15], s[40:41], v[14:15], v[16:17]
	v_mul_f64 v[16:17], s[16:17], v[8:9]
	v_mul_f64 v[8:9], s[14:15], v[8:9]
	v_add_f64 v[10:11], v[20:21], v[10:11]
	v_add_f64 v[12:13], v[12:13], v[14:15]
	v_add_co_u32 v14, vcc_lo, v30, s0
	v_add_co_ci_u32_e64 v15, null, s1, v31, vcc_lo
	v_fma_f64 v[16:17], s[14:15], v[6:7], -v[16:17]
	v_add_co_u32 v14, vcc_lo, v14, v0
	v_add_co_ci_u32_e64 v15, null, v15, v1, vcc_lo
	v_fma_f64 v[8:9], s[16:17], v[6:7], v[8:9]
	s_lshl_b64 s[0:1], s[50:51], 8
	global_store_dwordx4 v[18:19], v[10:13], off offset:256
	global_load_dwordx4 v[10:13], v[14:15], off
	s_waitcnt vmcnt(0)
	v_mul_f64 v[18:19], s[40:41], v[12:13]
	v_mul_f64 v[12:13], s[38:39], v[12:13]
	v_fma_f64 v[6:7], s[38:39], v[10:11], -v[18:19]
	v_fma_f64 v[10:11], s[40:41], v[10:11], v[12:13]
	v_add_f64 v[6:7], v[16:17], v[6:7]
	v_add_f64 v[8:9], v[8:9], v[10:11]
	v_add_co_u32 v10, vcc_lo, v26, s0
	v_add_co_ci_u32_e64 v11, null, s1, v27, vcc_lo
	v_add_co_u32 v0, vcc_lo, v10, v0
	v_add_co_ci_u32_e64 v1, null, v11, v1, vcc_lo
	v_mul_f64 v[10:11], s[16:17], v[4:5]
	v_mul_f64 v[4:5], s[14:15], v[4:5]
	v_add_co_u32 v20, vcc_lo, 0x100, v0
	v_add_co_ci_u32_e64 v21, null, 0, v1, vcc_lo
	global_store_dwordx4 v[0:1], v[6:9], off
	global_load_dwordx4 v[6:9], v[14:15], off offset:256
	v_fma_f64 v[10:11], s[14:15], v[2:3], -v[10:11]
	v_fma_f64 v[2:3], s[16:17], v[2:3], v[4:5]
	s_waitcnt vmcnt(0)
	v_mul_f64 v[12:13], s[40:41], v[8:9]
	v_mul_f64 v[8:9], s[38:39], v[8:9]
	v_fma_f64 v[4:5], s[38:39], v[6:7], -v[12:13]
	v_fma_f64 v[6:7], s[40:41], v[6:7], v[8:9]
	v_add_f64 v[4:5], v[10:11], v[4:5]
	v_add_f64 v[18:19], v[2:3], v[6:7]
	global_store_dwordx2 v[0:1], v[4:5], off offset:256
.LBB546_8:
	global_store_dwordx2 v[20:21], v[18:19], off offset:8
	s_endpgm
	.section	.rodata,"a",@progbits
	.p2align	6, 0x0
	.amdhsa_kernel _ZN12_GLOBAL__N_127rocblas_gemm_batched_kernelI19rocblas_complex_numIdELi16ELi16ELi32ELi32ELi8ELi32ELi8ELi8ELi32ELc84ELc67EKS2_S3_S2_EEvlllT_PT11_llS6_llS4_PT12_llPT13_lli
		.amdhsa_group_segment_fixed_size 8192
		.amdhsa_private_segment_fixed_size 0
		.amdhsa_kernarg_size 156
		.amdhsa_user_sgpr_count 6
		.amdhsa_user_sgpr_private_segment_buffer 1
		.amdhsa_user_sgpr_dispatch_ptr 0
		.amdhsa_user_sgpr_queue_ptr 0
		.amdhsa_user_sgpr_kernarg_segment_ptr 1
		.amdhsa_user_sgpr_dispatch_id 0
		.amdhsa_user_sgpr_flat_scratch_init 0
		.amdhsa_user_sgpr_private_segment_size 0
		.amdhsa_wavefront_size32 1
		.amdhsa_uses_dynamic_stack 0
		.amdhsa_system_sgpr_private_segment_wavefront_offset 0
		.amdhsa_system_sgpr_workgroup_id_x 1
		.amdhsa_system_sgpr_workgroup_id_y 1
		.amdhsa_system_sgpr_workgroup_id_z 1
		.amdhsa_system_sgpr_workgroup_info 0
		.amdhsa_system_vgpr_workitem_id 1
		.amdhsa_next_free_vgpr 162
		.amdhsa_next_free_sgpr 52
		.amdhsa_reserve_vcc 1
		.amdhsa_reserve_flat_scratch 0
		.amdhsa_float_round_mode_32 0
		.amdhsa_float_round_mode_16_64 0
		.amdhsa_float_denorm_mode_32 3
		.amdhsa_float_denorm_mode_16_64 3
		.amdhsa_dx10_clamp 1
		.amdhsa_ieee_mode 1
		.amdhsa_fp16_overflow 0
		.amdhsa_workgroup_processor_mode 1
		.amdhsa_memory_ordered 1
		.amdhsa_forward_progress 1
		.amdhsa_shared_vgpr_count 0
		.amdhsa_exception_fp_ieee_invalid_op 0
		.amdhsa_exception_fp_denorm_src 0
		.amdhsa_exception_fp_ieee_div_zero 0
		.amdhsa_exception_fp_ieee_overflow 0
		.amdhsa_exception_fp_ieee_underflow 0
		.amdhsa_exception_fp_ieee_inexact 0
		.amdhsa_exception_int_div_zero 0
	.end_amdhsa_kernel
	.section	.text._ZN12_GLOBAL__N_127rocblas_gemm_batched_kernelI19rocblas_complex_numIdELi16ELi16ELi32ELi32ELi8ELi32ELi8ELi8ELi32ELc84ELc67EKS2_S3_S2_EEvlllT_PT11_llS6_llS4_PT12_llPT13_lli,"axG",@progbits,_ZN12_GLOBAL__N_127rocblas_gemm_batched_kernelI19rocblas_complex_numIdELi16ELi16ELi32ELi32ELi8ELi32ELi8ELi8ELi32ELc84ELc67EKS2_S3_S2_EEvlllT_PT11_llS6_llS4_PT12_llPT13_lli,comdat
.Lfunc_end546:
	.size	_ZN12_GLOBAL__N_127rocblas_gemm_batched_kernelI19rocblas_complex_numIdELi16ELi16ELi32ELi32ELi8ELi32ELi8ELi8ELi32ELc84ELc67EKS2_S3_S2_EEvlllT_PT11_llS6_llS4_PT12_llPT13_lli, .Lfunc_end546-_ZN12_GLOBAL__N_127rocblas_gemm_batched_kernelI19rocblas_complex_numIdELi16ELi16ELi32ELi32ELi8ELi32ELi8ELi8ELi32ELc84ELc67EKS2_S3_S2_EEvlllT_PT11_llS6_llS4_PT12_llPT13_lli
                                        ; -- End function
	.set _ZN12_GLOBAL__N_127rocblas_gemm_batched_kernelI19rocblas_complex_numIdELi16ELi16ELi32ELi32ELi8ELi32ELi8ELi8ELi32ELc84ELc67EKS2_S3_S2_EEvlllT_PT11_llS6_llS4_PT12_llPT13_lli.num_vgpr, 162
	.set _ZN12_GLOBAL__N_127rocblas_gemm_batched_kernelI19rocblas_complex_numIdELi16ELi16ELi32ELi32ELi8ELi32ELi8ELi8ELi32ELc84ELc67EKS2_S3_S2_EEvlllT_PT11_llS6_llS4_PT12_llPT13_lli.num_agpr, 0
	.set _ZN12_GLOBAL__N_127rocblas_gemm_batched_kernelI19rocblas_complex_numIdELi16ELi16ELi32ELi32ELi8ELi32ELi8ELi8ELi32ELc84ELc67EKS2_S3_S2_EEvlllT_PT11_llS6_llS4_PT12_llPT13_lli.numbered_sgpr, 52
	.set _ZN12_GLOBAL__N_127rocblas_gemm_batched_kernelI19rocblas_complex_numIdELi16ELi16ELi32ELi32ELi8ELi32ELi8ELi8ELi32ELc84ELc67EKS2_S3_S2_EEvlllT_PT11_llS6_llS4_PT12_llPT13_lli.num_named_barrier, 0
	.set _ZN12_GLOBAL__N_127rocblas_gemm_batched_kernelI19rocblas_complex_numIdELi16ELi16ELi32ELi32ELi8ELi32ELi8ELi8ELi32ELc84ELc67EKS2_S3_S2_EEvlllT_PT11_llS6_llS4_PT12_llPT13_lli.private_seg_size, 0
	.set _ZN12_GLOBAL__N_127rocblas_gemm_batched_kernelI19rocblas_complex_numIdELi16ELi16ELi32ELi32ELi8ELi32ELi8ELi8ELi32ELc84ELc67EKS2_S3_S2_EEvlllT_PT11_llS6_llS4_PT12_llPT13_lli.uses_vcc, 1
	.set _ZN12_GLOBAL__N_127rocblas_gemm_batched_kernelI19rocblas_complex_numIdELi16ELi16ELi32ELi32ELi8ELi32ELi8ELi8ELi32ELc84ELc67EKS2_S3_S2_EEvlllT_PT11_llS6_llS4_PT12_llPT13_lli.uses_flat_scratch, 0
	.set _ZN12_GLOBAL__N_127rocblas_gemm_batched_kernelI19rocblas_complex_numIdELi16ELi16ELi32ELi32ELi8ELi32ELi8ELi8ELi32ELc84ELc67EKS2_S3_S2_EEvlllT_PT11_llS6_llS4_PT12_llPT13_lli.has_dyn_sized_stack, 0
	.set _ZN12_GLOBAL__N_127rocblas_gemm_batched_kernelI19rocblas_complex_numIdELi16ELi16ELi32ELi32ELi8ELi32ELi8ELi8ELi32ELc84ELc67EKS2_S3_S2_EEvlllT_PT11_llS6_llS4_PT12_llPT13_lli.has_recursion, 0
	.set _ZN12_GLOBAL__N_127rocblas_gemm_batched_kernelI19rocblas_complex_numIdELi16ELi16ELi32ELi32ELi8ELi32ELi8ELi8ELi32ELc84ELc67EKS2_S3_S2_EEvlllT_PT11_llS6_llS4_PT12_llPT13_lli.has_indirect_call, 0
	.section	.AMDGPU.csdata,"",@progbits
; Kernel info:
; codeLenInByte = 3560
; TotalNumSgprs: 54
; NumVgprs: 162
; ScratchSize: 0
; MemoryBound: 0
; FloatMode: 240
; IeeeMode: 1
; LDSByteSize: 8192 bytes/workgroup (compile time only)
; SGPRBlocks: 0
; VGPRBlocks: 20
; NumSGPRsForWavesPerEU: 54
; NumVGPRsForWavesPerEU: 162
; Occupancy: 5
; WaveLimiterHint : 1
; COMPUTE_PGM_RSRC2:SCRATCH_EN: 0
; COMPUTE_PGM_RSRC2:USER_SGPR: 6
; COMPUTE_PGM_RSRC2:TRAP_HANDLER: 0
; COMPUTE_PGM_RSRC2:TGID_X_EN: 1
; COMPUTE_PGM_RSRC2:TGID_Y_EN: 1
; COMPUTE_PGM_RSRC2:TGID_Z_EN: 1
; COMPUTE_PGM_RSRC2:TIDIG_COMP_CNT: 1
	.section	.text._ZN12_GLOBAL__N_135rocblas_gemm_batched_general_kernelI19rocblas_complex_numIdELi16ELi16ELi32ELi32ELi8ELi32ELi8ELi8ELi32ELc78ELc78EKS2_S3_S2_EEvlllT_PT11_llS6_llS4_PT12_llPT13_lli,"axG",@progbits,_ZN12_GLOBAL__N_135rocblas_gemm_batched_general_kernelI19rocblas_complex_numIdELi16ELi16ELi32ELi32ELi8ELi32ELi8ELi8ELi32ELc78ELc78EKS2_S3_S2_EEvlllT_PT11_llS6_llS4_PT12_llPT13_lli,comdat
	.globl	_ZN12_GLOBAL__N_135rocblas_gemm_batched_general_kernelI19rocblas_complex_numIdELi16ELi16ELi32ELi32ELi8ELi32ELi8ELi8ELi32ELc78ELc78EKS2_S3_S2_EEvlllT_PT11_llS6_llS4_PT12_llPT13_lli ; -- Begin function _ZN12_GLOBAL__N_135rocblas_gemm_batched_general_kernelI19rocblas_complex_numIdELi16ELi16ELi32ELi32ELi8ELi32ELi8ELi8ELi32ELc78ELc78EKS2_S3_S2_EEvlllT_PT11_llS6_llS4_PT12_llPT13_lli
	.p2align	8
	.type	_ZN12_GLOBAL__N_135rocblas_gemm_batched_general_kernelI19rocblas_complex_numIdELi16ELi16ELi32ELi32ELi8ELi32ELi8ELi8ELi32ELc78ELc78EKS2_S3_S2_EEvlllT_PT11_llS6_llS4_PT12_llPT13_lli,@function
_ZN12_GLOBAL__N_135rocblas_gemm_batched_general_kernelI19rocblas_complex_numIdELi16ELi16ELi32ELi32ELi8ELi32ELi8ELi8ELi32ELc78ELc78EKS2_S3_S2_EEvlllT_PT11_llS6_llS4_PT12_llPT13_lli: ; @_ZN12_GLOBAL__N_135rocblas_gemm_batched_general_kernelI19rocblas_complex_numIdELi16ELi16ELi32ELi32ELi8ELi32ELi8ELi8ELi32ELc78ELc78EKS2_S3_S2_EEvlllT_PT11_llS6_llS4_PT12_llPT13_lli
; %bb.0:
	s_clause 0x1
	s_load_dwordx16 s[12:27], s[4:5], 0x0
	s_load_dwordx16 s[36:51], s[4:5], 0x40
	s_mov_b32 s0, s7
	v_mov_b32_e32 v2, 0
	s_ashr_i32 s7, s6, 31
	s_ashr_i32 s1, s0, 31
	s_lshl_b64 s[10:11], s[6:7], 5
	s_waitcnt lgkmcnt(0)
	v_cmp_lt_i64_e64 s2, s[16:17], 1
	s_and_b32 vcc_lo, exec_lo, s2
	s_lshl_b64 s[2:3], s[0:1], 5
	s_cbranch_vccnz .LBB547_11
; %bb.1:
	v_lshl_add_u32 v3, v1, 4, v0
	v_mov_b32_e32 v4, s11
	s_mul_i32 s1, s41, s8
	s_mul_hi_u32 s9, s40, s8
	s_mul_i32 s28, s40, s8
	v_lshrrev_b32_e32 v27, 5, v3
	v_and_b32_e32 v7, 31, v3
	v_lshrrev_b32_e32 v11, 3, v3
	s_add_i32 s29, s9, s1
	s_mul_i32 s1, s27, s8
	s_mul_hi_u32 s9, s26, s8
	v_or_b32_e32 v3, s10, v7
	v_lshlrev_b32_e32 v13, 4, v7
	v_mad_u64_u32 v[7:8], null, s24, v27, 0
	v_add_co_u32 v5, s0, v11, s2
	v_add_co_ci_u32_e64 v6, null, 0, s3, s0
	v_cmp_gt_i64_e32 vcc_lo, s[12:13], v[3:4]
	v_mul_lo_u32 v14, s39, v5
	v_mov_b32_e32 v3, v8
	v_mul_lo_u32 v15, s38, v6
	v_mad_u64_u32 v[9:10], null, s38, v5, 0
	v_cmp_gt_i64_e64 s0, s[14:15], v[5:6]
	v_mad_u64_u32 v[3:4], null, s25, v27, v[3:4]
	v_and_b32_e32 v26, 7, v0
	s_lshl_b64 s[28:29], s[28:29], 4
	s_add_i32 s27, s9, s1
	v_add3_u32 v10, v10, v15, v14
	s_mul_i32 s26, s26, s8
	s_lshl_b64 s[6:7], s[6:7], 9
	v_mov_b32_e32 v8, v3
	s_lshl_b64 s[26:27], s[26:27], 4
	v_lshlrev_b64 v[4:5], 4, v[9:10]
	v_lshlrev_b32_e32 v12, 4, v26
	v_lshl_or_b32 v28, v27, 9, v13
	v_lshlrev_b64 v[6:7], 4, v[7:8]
	v_mov_b32_e32 v16, 0
	v_mov_b32_e32 v14, 0
	v_add_co_u32 v3, s1, v4, s28
	v_add_co_ci_u32_e64 v4, null, s29, v5, s1
	s_add_u32 s1, s6, s26
	s_addc_u32 s6, s7, s27
	v_add_co_u32 v5, s1, s1, v6
	v_add_co_ci_u32_e64 v6, null, s6, v7, s1
	v_add_co_u32 v3, s1, v3, v12
	v_add_co_ci_u32_e64 v4, null, 0, v4, s1
	v_add_co_u32 v5, s1, v5, v13
	v_lshl_or_b32 v11, v11, 7, v12
	v_add_co_ci_u32_e64 v9, null, 0, v6, s1
	v_add_co_u32 v6, s1, s36, v3
	v_add_co_ci_u32_e64 v7, null, s37, v4, s1
	v_add_co_u32 v8, s1, s22, v5
	v_add_nc_u32_e32 v29, 0x1000, v11
	v_mov_b32_e32 v20, 0
	v_mov_b32_e32 v18, 0
	;; [unrolled: 1-line block ×6, first 2 shown]
	v_lshlrev_b32_e32 v30, 4, v0
	v_lshl_add_u32 v31, v1, 7, 0x1000
	v_add_co_ci_u32_e64 v9, null, s23, v9, s1
	v_mov_b32_e32 v17, 0
	v_mov_b32_e32 v15, 0
	v_mov_b32_e32 v21, 0
	v_mov_b32_e32 v19, 0
	v_mov_b32_e32 v13, 0
	v_mov_b32_e32 v11, 0
	v_mov_b32_e32 v25, 0
	v_mov_b32_e32 v23, 0
	s_lshl_b64 s[6:7], s[24:25], 7
	s_mov_b64 s[22:23], 0
	s_xor_b32 s1, vcc_lo, -1
	s_xor_b32 s0, s0, -1
	s_branch .LBB547_3
.LBB547_2:                              ;   in Loop: Header=BB547_3 Depth=1
	s_or_b32 exec_lo, exec_lo, s9
	s_waitcnt lgkmcnt(0)
	s_barrier
	buffer_gl0_inv
	ds_read_b128 v[32:35], v31
	ds_read_b128 v[36:39], v31 offset:16
	ds_read_b128 v[40:43], v31 offset:32
	;; [unrolled: 1-line block ×3, first 2 shown]
	ds_read_b128 v[48:51], v30
	s_add_u32 s22, s22, 8
	s_addc_u32 s23, s23, 0
	v_add_co_u32 v6, vcc_lo, 0x80, v6
	v_cmp_lt_i64_e64 s9, s[22:23], s[16:17]
	v_add_co_ci_u32_e64 v7, null, 0, v7, vcc_lo
	v_add_co_u32 v8, vcc_lo, v8, s6
	v_add_co_ci_u32_e64 v9, null, s7, v9, vcc_lo
	s_and_b32 vcc_lo, exec_lo, s9
	s_waitcnt lgkmcnt(0)
	v_mul_f64 v[3:4], v[34:35], v[50:51]
	v_mul_f64 v[52:53], v[32:33], v[50:51]
	v_fma_f64 v[3:4], v[32:33], v[48:49], -v[3:4]
	v_fma_f64 v[52:53], v[34:35], v[48:49], v[52:53]
	v_add_f64 v[3:4], v[22:23], v[3:4]
	v_add_f64 v[52:53], v[52:53], v[24:25]
	ds_read_b128 v[22:25], v30 offset:256
	s_waitcnt lgkmcnt(0)
	v_mul_f64 v[54:55], v[34:35], v[24:25]
	v_fma_f64 v[54:55], v[32:33], v[22:23], -v[54:55]
	v_mul_f64 v[32:33], v[32:33], v[24:25]
	v_fma_f64 v[32:33], v[34:35], v[22:23], v[32:33]
	v_add_f64 v[34:35], v[10:11], v[54:55]
	v_add_f64 v[32:33], v[32:33], v[12:13]
	ds_read_b128 v[10:13], v31 offset:2048
	s_waitcnt lgkmcnt(0)
	v_mul_f64 v[54:55], v[12:13], v[50:51]
	v_mul_f64 v[50:51], v[10:11], v[50:51]
	v_fma_f64 v[54:55], v[10:11], v[48:49], -v[54:55]
	v_fma_f64 v[48:49], v[12:13], v[48:49], v[50:51]
	v_add_f64 v[50:51], v[18:19], v[54:55]
	v_mul_f64 v[18:19], v[12:13], v[24:25]
	v_add_f64 v[48:49], v[48:49], v[20:21]
	v_fma_f64 v[18:19], v[10:11], v[22:23], -v[18:19]
	v_mul_f64 v[10:11], v[10:11], v[24:25]
	v_fma_f64 v[10:11], v[12:13], v[22:23], v[10:11]
	v_add_f64 v[22:23], v[14:15], v[18:19]
	v_add_f64 v[24:25], v[10:11], v[16:17]
	ds_read_b128 v[10:13], v30 offset:512
	s_waitcnt lgkmcnt(0)
	v_mul_f64 v[14:15], v[38:39], v[12:13]
	v_mul_f64 v[16:17], v[36:37], v[12:13]
	v_fma_f64 v[14:15], v[36:37], v[10:11], -v[14:15]
	v_fma_f64 v[16:17], v[38:39], v[10:11], v[16:17]
	v_add_f64 v[3:4], v[3:4], v[14:15]
	v_add_f64 v[52:53], v[16:17], v[52:53]
	ds_read_b128 v[14:17], v30 offset:768
	s_waitcnt lgkmcnt(0)
	v_mul_f64 v[18:19], v[38:39], v[16:17]
	v_mul_f64 v[20:21], v[36:37], v[16:17]
	v_fma_f64 v[18:19], v[36:37], v[14:15], -v[18:19]
	;; [unrolled: 8-line block ×3, first 2 shown]
	v_fma_f64 v[10:11], v[20:21], v[10:11], v[12:13]
	v_mul_f64 v[12:13], v[18:19], v[16:17]
	v_add_f64 v[36:37], v[50:51], v[36:37]
	v_add_f64 v[38:39], v[10:11], v[48:49]
	v_mul_f64 v[10:11], v[20:21], v[16:17]
	v_fma_f64 v[12:13], v[20:21], v[14:15], v[12:13]
	v_fma_f64 v[10:11], v[18:19], v[14:15], -v[10:11]
	v_add_f64 v[24:25], v[12:13], v[24:25]
	v_add_f64 v[22:23], v[22:23], v[10:11]
	ds_read_b128 v[10:13], v30 offset:1024
	s_waitcnt lgkmcnt(0)
	v_mul_f64 v[14:15], v[42:43], v[12:13]
	v_mul_f64 v[16:17], v[40:41], v[12:13]
	v_fma_f64 v[14:15], v[40:41], v[10:11], -v[14:15]
	v_fma_f64 v[16:17], v[42:43], v[10:11], v[16:17]
	v_add_f64 v[3:4], v[3:4], v[14:15]
	v_add_f64 v[48:49], v[16:17], v[52:53]
	ds_read_b128 v[14:17], v30 offset:1280
	s_waitcnt lgkmcnt(0)
	v_mul_f64 v[18:19], v[42:43], v[16:17]
	v_mul_f64 v[20:21], v[40:41], v[16:17]
	v_fma_f64 v[18:19], v[40:41], v[14:15], -v[18:19]
	v_fma_f64 v[20:21], v[42:43], v[14:15], v[20:21]
	v_add_f64 v[34:35], v[34:35], v[18:19]
	v_add_f64 v[32:33], v[20:21], v[32:33]
	ds_read_b128 v[18:21], v31 offset:2080
	s_waitcnt lgkmcnt(0)
	v_mul_f64 v[40:41], v[20:21], v[12:13]
	v_mul_f64 v[12:13], v[18:19], v[12:13]
	v_fma_f64 v[40:41], v[18:19], v[10:11], -v[40:41]
	v_fma_f64 v[10:11], v[20:21], v[10:11], v[12:13]
	v_mul_f64 v[12:13], v[18:19], v[16:17]
	v_add_f64 v[36:37], v[36:37], v[40:41]
	v_add_f64 v[38:39], v[10:11], v[38:39]
	v_mul_f64 v[10:11], v[20:21], v[16:17]
	v_fma_f64 v[12:13], v[20:21], v[14:15], v[12:13]
	v_fma_f64 v[10:11], v[18:19], v[14:15], -v[10:11]
	v_add_f64 v[24:25], v[12:13], v[24:25]
	v_add_f64 v[22:23], v[22:23], v[10:11]
	ds_read_b128 v[10:13], v30 offset:1536
	s_waitcnt lgkmcnt(0)
	v_mul_f64 v[14:15], v[46:47], v[12:13]
	v_mul_f64 v[16:17], v[44:45], v[12:13]
	v_fma_f64 v[14:15], v[44:45], v[10:11], -v[14:15]
	v_fma_f64 v[16:17], v[46:47], v[10:11], v[16:17]
	v_add_f64 v[3:4], v[3:4], v[14:15]
	v_add_f64 v[40:41], v[16:17], v[48:49]
	ds_read_b128 v[14:17], v30 offset:1792
	s_waitcnt lgkmcnt(0)
	v_mul_f64 v[18:19], v[46:47], v[16:17]
	v_mul_f64 v[20:21], v[44:45], v[16:17]
	v_fma_f64 v[18:19], v[44:45], v[14:15], -v[18:19]
	v_fma_f64 v[20:21], v[46:47], v[14:15], v[20:21]
	v_add_f64 v[34:35], v[34:35], v[18:19]
	v_add_f64 v[32:33], v[20:21], v[32:33]
	ds_read_b128 v[18:21], v31 offset:2096
	s_waitcnt lgkmcnt(0)
	v_mul_f64 v[42:43], v[20:21], v[12:13]
	v_mul_f64 v[12:13], v[18:19], v[12:13]
	v_fma_f64 v[42:43], v[18:19], v[10:11], -v[42:43]
	v_fma_f64 v[10:11], v[20:21], v[10:11], v[12:13]
	v_mul_f64 v[12:13], v[18:19], v[16:17]
	v_add_f64 v[36:37], v[36:37], v[42:43]
	v_add_f64 v[38:39], v[10:11], v[38:39]
	v_mul_f64 v[10:11], v[20:21], v[16:17]
	v_fma_f64 v[12:13], v[20:21], v[14:15], v[12:13]
	v_fma_f64 v[10:11], v[18:19], v[14:15], -v[10:11]
	v_add_f64 v[24:25], v[12:13], v[24:25]
	v_add_f64 v[22:23], v[22:23], v[10:11]
	ds_read_b128 v[10:13], v31 offset:64
	ds_read_b128 v[14:17], v30 offset:2048
	s_waitcnt lgkmcnt(0)
	v_mul_f64 v[18:19], v[12:13], v[16:17]
	v_mul_f64 v[20:21], v[10:11], v[16:17]
	v_fma_f64 v[18:19], v[10:11], v[14:15], -v[18:19]
	v_fma_f64 v[20:21], v[12:13], v[14:15], v[20:21]
	v_add_f64 v[3:4], v[3:4], v[18:19]
	v_add_f64 v[40:41], v[20:21], v[40:41]
	ds_read_b128 v[18:21], v30 offset:2304
	s_waitcnt lgkmcnt(0)
	v_mul_f64 v[42:43], v[12:13], v[20:21]
	v_fma_f64 v[42:43], v[10:11], v[18:19], -v[42:43]
	v_mul_f64 v[10:11], v[10:11], v[20:21]
	v_add_f64 v[34:35], v[34:35], v[42:43]
	v_fma_f64 v[10:11], v[12:13], v[18:19], v[10:11]
	v_add_f64 v[32:33], v[10:11], v[32:33]
	ds_read_b128 v[10:13], v31 offset:2112
	s_waitcnt lgkmcnt(0)
	v_mul_f64 v[42:43], v[12:13], v[16:17]
	v_mul_f64 v[16:17], v[10:11], v[16:17]
	v_fma_f64 v[42:43], v[10:11], v[14:15], -v[42:43]
	v_fma_f64 v[14:15], v[12:13], v[14:15], v[16:17]
	v_add_f64 v[36:37], v[36:37], v[42:43]
	v_add_f64 v[38:39], v[14:15], v[38:39]
	v_mul_f64 v[14:15], v[12:13], v[20:21]
	v_fma_f64 v[14:15], v[10:11], v[18:19], -v[14:15]
	v_mul_f64 v[10:11], v[10:11], v[20:21]
	v_add_f64 v[22:23], v[22:23], v[14:15]
	v_fma_f64 v[10:11], v[12:13], v[18:19], v[10:11]
	v_add_f64 v[24:25], v[10:11], v[24:25]
	ds_read_b128 v[10:13], v31 offset:80
	ds_read_b128 v[14:17], v30 offset:2560
	s_waitcnt lgkmcnt(0)
	v_mul_f64 v[18:19], v[12:13], v[16:17]
	v_mul_f64 v[20:21], v[10:11], v[16:17]
	v_fma_f64 v[18:19], v[10:11], v[14:15], -v[18:19]
	v_fma_f64 v[20:21], v[12:13], v[14:15], v[20:21]
	v_add_f64 v[3:4], v[3:4], v[18:19]
	v_add_f64 v[40:41], v[20:21], v[40:41]
	ds_read_b128 v[18:21], v30 offset:2816
	s_waitcnt lgkmcnt(0)
	v_mul_f64 v[42:43], v[12:13], v[20:21]
	v_fma_f64 v[42:43], v[10:11], v[18:19], -v[42:43]
	v_mul_f64 v[10:11], v[10:11], v[20:21]
	v_add_f64 v[34:35], v[34:35], v[42:43]
	v_fma_f64 v[10:11], v[12:13], v[18:19], v[10:11]
	v_add_f64 v[32:33], v[10:11], v[32:33]
	ds_read_b128 v[10:13], v31 offset:2128
	s_waitcnt lgkmcnt(0)
	v_mul_f64 v[42:43], v[12:13], v[16:17]
	v_mul_f64 v[16:17], v[10:11], v[16:17]
	v_fma_f64 v[42:43], v[10:11], v[14:15], -v[42:43]
	v_fma_f64 v[14:15], v[12:13], v[14:15], v[16:17]
	v_add_f64 v[36:37], v[36:37], v[42:43]
	v_add_f64 v[38:39], v[14:15], v[38:39]
	v_mul_f64 v[14:15], v[12:13], v[20:21]
	v_fma_f64 v[14:15], v[10:11], v[18:19], -v[14:15]
	v_mul_f64 v[10:11], v[10:11], v[20:21]
	v_add_f64 v[22:23], v[22:23], v[14:15]
	v_fma_f64 v[10:11], v[12:13], v[18:19], v[10:11]
	;; [unrolled: 31-line block ×3, first 2 shown]
	v_add_f64 v[52:53], v[10:11], v[24:25]
	ds_read_b128 v[10:13], v31 offset:112
	ds_read_b128 v[14:17], v30 offset:3584
	;; [unrolled: 1-line block ×4, first 2 shown]
	s_waitcnt lgkmcnt(0)
	s_barrier
	buffer_gl0_inv
	v_mul_f64 v[18:19], v[12:13], v[16:17]
	v_mul_f64 v[20:21], v[10:11], v[16:17]
	v_fma_f64 v[18:19], v[10:11], v[14:15], -v[18:19]
	v_fma_f64 v[20:21], v[12:13], v[14:15], v[20:21]
	v_add_f64 v[22:23], v[3:4], v[18:19]
	v_mul_f64 v[3:4], v[12:13], v[34:35]
	v_add_f64 v[24:25], v[20:21], v[40:41]
	v_fma_f64 v[3:4], v[10:11], v[32:33], -v[3:4]
	v_mul_f64 v[10:11], v[10:11], v[34:35]
	v_fma_f64 v[12:13], v[12:13], v[32:33], v[10:11]
	v_add_f64 v[10:11], v[42:43], v[3:4]
	v_mul_f64 v[3:4], v[38:39], v[16:17]
	v_mul_f64 v[16:17], v[36:37], v[16:17]
	v_add_f64 v[12:13], v[12:13], v[44:45]
	v_fma_f64 v[3:4], v[36:37], v[14:15], -v[3:4]
	v_fma_f64 v[14:15], v[38:39], v[14:15], v[16:17]
	v_add_f64 v[18:19], v[46:47], v[3:4]
	v_add_f64 v[20:21], v[14:15], v[48:49]
	v_mul_f64 v[3:4], v[38:39], v[34:35]
	v_mul_f64 v[14:15], v[36:37], v[34:35]
	v_fma_f64 v[3:4], v[36:37], v[32:33], -v[3:4]
	v_fma_f64 v[16:17], v[38:39], v[32:33], v[14:15]
	v_add_f64 v[14:15], v[50:51], v[3:4]
	v_add_f64 v[16:17], v[16:17], v[52:53]
	s_cbranch_vccz .LBB547_12
.LBB547_3:                              ; =>This Inner Loop Header: Depth=1
	v_add_co_u32 v3, s9, v27, s22
	v_add_co_ci_u32_e64 v4, null, 0, s23, s9
	v_cmp_le_i64_e32 vcc_lo, s[16:17], v[3:4]
	s_or_b32 s9, s1, vcc_lo
	s_and_saveexec_b32 s24, s9
	s_xor_b32 s9, exec_lo, s24
	s_cbranch_execz .LBB547_5
; %bb.4:                                ;   in Loop: Header=BB547_3 Depth=1
	v_mov_b32_e32 v3, v2
	v_mov_b32_e32 v4, v2
	v_mov_b32_e32 v5, v2
	ds_write_b128 v28, v[2:5]
.LBB547_5:                              ;   in Loop: Header=BB547_3 Depth=1
	s_andn2_saveexec_b32 s9, s9
	s_cbranch_execz .LBB547_7
; %bb.6:                                ;   in Loop: Header=BB547_3 Depth=1
	global_load_dwordx4 v[32:35], v[8:9], off
	s_waitcnt vmcnt(0)
	ds_write2_b64 v28, v[32:33], v[34:35] offset1:1
.LBB547_7:                              ;   in Loop: Header=BB547_3 Depth=1
	s_or_b32 exec_lo, exec_lo, s9
	v_add_co_u32 v3, s9, v26, s22
	v_add_co_ci_u32_e64 v4, null, 0, s23, s9
	v_cmp_le_i64_e32 vcc_lo, s[16:17], v[3:4]
	s_or_b32 s9, vcc_lo, s0
	s_and_saveexec_b32 s24, s9
	s_xor_b32 s9, exec_lo, s24
	s_cbranch_execz .LBB547_9
; %bb.8:                                ;   in Loop: Header=BB547_3 Depth=1
	v_mov_b32_e32 v3, v2
	v_mov_b32_e32 v4, v2
	;; [unrolled: 1-line block ×3, first 2 shown]
	ds_write_b128 v29, v[2:5]
.LBB547_9:                              ;   in Loop: Header=BB547_3 Depth=1
	s_andn2_saveexec_b32 s9, s9
	s_cbranch_execz .LBB547_2
; %bb.10:                               ;   in Loop: Header=BB547_3 Depth=1
	global_load_dwordx4 v[32:35], v[6:7], off
	s_waitcnt vmcnt(0)
	ds_write2_b64 v29, v[32:33], v[34:35] offset1:1
	s_branch .LBB547_2
.LBB547_11:
	v_mov_b32_e32 v22, 0
	v_mov_b32_e32 v24, 0
	;; [unrolled: 1-line block ×16, first 2 shown]
.LBB547_12:
	s_clause 0x1
	s_load_dwordx2 s[0:1], s[4:5], 0x90
	s_load_dwordx4 s[4:7], s[4:5], 0x80
	v_cmp_neq_f64_e64 s9, s[42:43], 0
	v_cmp_neq_f64_e64 s16, s[44:45], 0
	v_add_co_u32 v1, s2, s2, v1
	v_add_co_ci_u32_e64 v2, null, s3, 0, s2
	s_waitcnt lgkmcnt(0)
	s_mul_i32 s1, s1, s8
	s_mul_hi_u32 s17, s0, s8
	s_mul_i32 s0, s0, s8
	s_add_i32 s1, s17, s1
	s_lshl_b64 s[0:1], s[0:1], 4
	s_add_u32 s3, s4, s0
	v_cmp_gt_i64_e64 s0, s[14:15], v[1:2]
	s_addc_u32 s4, s5, s1
	s_or_b32 s1, s9, s16
	s_and_b32 vcc_lo, exec_lo, s1
	s_mov_b32 s1, -1
	s_cbranch_vccnz .LBB547_24
; %bb.13:
	s_and_saveexec_b32 s5, s0
	s_cbranch_execz .LBB547_23
; %bb.14:
	v_mul_lo_u32 v5, v2, s6
	v_mul_lo_u32 v6, v1, s7
	v_mad_u64_u32 v[3:4], null, v1, s6, 0
	v_add3_u32 v4, v4, v6, v5
	v_add_co_u32 v5, s1, s10, v0
	v_add_co_ci_u32_e64 v6, null, s11, 0, s1
	v_lshlrev_b64 v[7:8], 4, v[3:4]
	v_cmp_gt_i64_e32 vcc_lo, s[12:13], v[5:6]
	v_lshlrev_b64 v[3:4], 4, v[5:6]
	v_add_co_u32 v7, s1, s3, v7
	v_add_co_ci_u32_e64 v8, null, s4, v8, s1
	s_and_saveexec_b32 s2, vcc_lo
	s_cbranch_execz .LBB547_16
; %bb.15:
	v_mul_f64 v[26:27], s[20:21], v[24:25]
	v_mul_f64 v[28:29], s[18:19], v[24:25]
	v_add_co_u32 v30, s1, v7, v3
	v_add_co_ci_u32_e64 v31, null, v8, v4, s1
	v_fma_f64 v[26:27], s[18:19], v[22:23], -v[26:27]
	v_fma_f64 v[28:29], s[20:21], v[22:23], v[28:29]
	global_store_dwordx4 v[30:31], v[26:29], off
.LBB547_16:
	s_or_b32 exec_lo, exec_lo, s2
	v_add_co_u32 v5, s1, v5, 16
	v_add_co_ci_u32_e64 v6, null, 0, v6, s1
	v_cmp_gt_i64_e64 s1, s[12:13], v[5:6]
	s_and_saveexec_b32 s9, s1
	s_cbranch_execz .LBB547_18
; %bb.17:
	v_mul_f64 v[5:6], s[20:21], v[12:13]
	v_mul_f64 v[28:29], s[18:19], v[12:13]
	v_fma_f64 v[26:27], s[18:19], v[10:11], -v[5:6]
	v_fma_f64 v[28:29], s[20:21], v[10:11], v[28:29]
	v_add_co_u32 v5, s2, v7, v3
	v_add_co_ci_u32_e64 v6, null, v8, v4, s2
	global_store_dwordx4 v[5:6], v[26:29], off offset:256
.LBB547_18:
	s_or_b32 exec_lo, exec_lo, s9
	v_add_co_u32 v5, s2, v1, 16
	v_add_co_ci_u32_e64 v6, null, 0, v2, s2
	v_cmp_gt_i64_e64 s2, s[14:15], v[5:6]
	s_and_b32 exec_lo, exec_lo, s2
	s_cbranch_execz .LBB547_23
; %bb.19:
	s_lshl_b64 s[16:17], s[6:7], 8
	v_add_co_u32 v5, s2, v7, s16
	v_add_co_ci_u32_e64 v6, null, s17, v8, s2
	v_add_co_u32 v3, s2, v5, v3
	v_add_co_ci_u32_e64 v4, null, v6, v4, s2
	s_and_saveexec_b32 s2, vcc_lo
	s_cbranch_execz .LBB547_21
; %bb.20:
	v_mul_f64 v[5:6], s[20:21], v[20:21]
	v_mul_f64 v[7:8], s[18:19], v[20:21]
	v_fma_f64 v[5:6], s[18:19], v[18:19], -v[5:6]
	v_fma_f64 v[7:8], s[20:21], v[18:19], v[7:8]
	global_store_dwordx4 v[3:4], v[5:8], off
.LBB547_21:
	s_or_b32 exec_lo, exec_lo, s2
	s_and_b32 exec_lo, exec_lo, s1
	s_cbranch_execz .LBB547_23
; %bb.22:
	v_mul_f64 v[5:6], s[20:21], v[16:17]
	v_mul_f64 v[7:8], s[18:19], v[16:17]
	v_fma_f64 v[5:6], s[18:19], v[14:15], -v[5:6]
	v_fma_f64 v[7:8], s[20:21], v[14:15], v[7:8]
	global_store_dwordx4 v[3:4], v[5:8], off offset:256
.LBB547_23:
	s_or_b32 exec_lo, exec_lo, s5
	s_mov_b32 s1, 0
.LBB547_24:
	s_andn2_b32 vcc_lo, exec_lo, s1
	s_cbranch_vccnz .LBB547_35
; %bb.25:
	s_and_saveexec_b32 s1, s0
	s_cbranch_execz .LBB547_35
; %bb.26:
	v_mul_lo_u32 v5, v2, s48
	v_mul_lo_u32 v6, v1, s49
	v_mad_u64_u32 v[3:4], null, v1, s48, 0
	v_mul_lo_u32 v9, v2, s6
	v_mul_lo_u32 v26, v1, s7
	v_mad_u64_u32 v[7:8], null, v1, s6, 0
	s_mul_i32 s0, s51, s8
	s_mul_hi_u32 s1, s50, s8
	v_add3_u32 v4, v4, v6, v5
	s_add_i32 s1, s1, s0
	s_mul_i32 s0, s50, s8
	v_add_co_u32 v5, s2, s10, v0
	v_add3_u32 v8, v8, v26, v9
	v_lshlrev_b64 v[3:4], 4, v[3:4]
	s_lshl_b64 s[0:1], s[0:1], 4
	v_add_co_ci_u32_e64 v6, null, s11, 0, s2
	v_lshlrev_b64 v[8:9], 4, v[7:8]
	s_add_u32 s0, s46, s0
	s_addc_u32 s1, s47, s1
	v_add_co_u32 v0, s0, s0, v3
	v_add_co_ci_u32_e64 v7, null, s1, v4, s0
	v_add_co_u32 v8, s0, s3, v8
	v_cmp_gt_i64_e32 vcc_lo, s[12:13], v[5:6]
	v_lshlrev_b64 v[3:4], 4, v[5:6]
	v_add_co_ci_u32_e64 v9, null, s4, v9, s0
	s_and_saveexec_b32 s1, vcc_lo
	s_cbranch_execz .LBB547_28
; %bb.27:
	v_add_co_u32 v26, s0, v0, v3
	v_add_co_ci_u32_e64 v27, null, v7, v4, s0
	v_mul_f64 v[30:31], s[20:21], v[24:25]
	v_mul_f64 v[24:25], s[18:19], v[24:25]
	global_load_dwordx4 v[26:29], v[26:27], off
	v_fma_f64 v[30:31], s[18:19], v[22:23], -v[30:31]
	v_fma_f64 v[24:25], s[20:21], v[22:23], v[24:25]
	s_waitcnt vmcnt(0)
	v_mul_f64 v[32:33], s[44:45], v[28:29]
	v_mul_f64 v[28:29], s[42:43], v[28:29]
	v_fma_f64 v[22:23], s[42:43], v[26:27], -v[32:33]
	v_fma_f64 v[26:27], s[44:45], v[26:27], v[28:29]
	v_add_f64 v[22:23], v[30:31], v[22:23]
	v_add_f64 v[24:25], v[24:25], v[26:27]
	v_add_co_u32 v26, s0, v8, v3
	v_add_co_ci_u32_e64 v27, null, v9, v4, s0
	global_store_dwordx4 v[26:27], v[22:25], off
.LBB547_28:
	s_or_b32 exec_lo, exec_lo, s1
	v_add_co_u32 v5, s0, v5, 16
	v_add_co_ci_u32_e64 v6, null, 0, v6, s0
	v_cmp_gt_i64_e64 s0, s[12:13], v[5:6]
	s_and_saveexec_b32 s2, s0
	s_cbranch_execz .LBB547_30
; %bb.29:
	v_add_co_u32 v5, s1, v0, v3
	v_add_co_ci_u32_e64 v6, null, v7, v4, s1
	global_load_dwordx4 v[22:25], v[5:6], off offset:256
	v_mul_f64 v[5:6], s[20:21], v[12:13]
	v_mul_f64 v[12:13], s[18:19], v[12:13]
	v_fma_f64 v[5:6], s[18:19], v[10:11], -v[5:6]
	v_fma_f64 v[12:13], s[20:21], v[10:11], v[12:13]
	s_waitcnt vmcnt(0)
	v_mul_f64 v[26:27], s[44:45], v[24:25]
	v_mul_f64 v[24:25], s[42:43], v[24:25]
	v_fma_f64 v[10:11], s[42:43], v[22:23], -v[26:27]
	v_fma_f64 v[22:23], s[44:45], v[22:23], v[24:25]
	v_add_f64 v[10:11], v[5:6], v[10:11]
	v_add_f64 v[12:13], v[12:13], v[22:23]
	v_add_co_u32 v5, s1, v8, v3
	v_add_co_ci_u32_e64 v6, null, v9, v4, s1
	global_store_dwordx4 v[5:6], v[10:13], off offset:256
.LBB547_30:
	s_or_b32 exec_lo, exec_lo, s2
	v_add_co_u32 v1, s1, v1, 16
	v_add_co_ci_u32_e64 v2, null, 0, v2, s1
	v_cmp_gt_i64_e64 s1, s[14:15], v[1:2]
	s_and_b32 exec_lo, exec_lo, s1
	s_cbranch_execz .LBB547_35
; %bb.31:
	s_lshl_b64 s[2:3], s[48:49], 8
	v_add_co_u32 v0, s1, v0, s2
	v_add_co_ci_u32_e64 v1, null, s3, v7, s1
	s_lshl_b64 s[2:3], s[6:7], 8
	v_add_co_u32 v2, s1, v8, s2
	v_add_co_ci_u32_e64 v7, null, s3, v9, s1
	v_add_co_u32 v5, s1, v0, v3
	v_add_co_ci_u32_e64 v6, null, v1, v4, s1
	;; [unrolled: 2-line block ×3, first 2 shown]
	s_and_saveexec_b32 s1, vcc_lo
	s_cbranch_execz .LBB547_33
; %bb.32:
	global_load_dwordx4 v[7:10], v[5:6], off
	v_mul_f64 v[2:3], s[20:21], v[20:21]
	v_mul_f64 v[11:12], s[18:19], v[20:21]
	v_fma_f64 v[2:3], s[18:19], v[18:19], -v[2:3]
	v_fma_f64 v[11:12], s[20:21], v[18:19], v[11:12]
	s_waitcnt vmcnt(0)
	v_mul_f64 v[20:21], s[44:45], v[9:10]
	v_mul_f64 v[9:10], s[42:43], v[9:10]
	v_fma_f64 v[18:19], s[42:43], v[7:8], -v[20:21]
	v_fma_f64 v[9:10], s[44:45], v[7:8], v[9:10]
	v_add_f64 v[7:8], v[2:3], v[18:19]
	v_add_f64 v[9:10], v[11:12], v[9:10]
	global_store_dwordx4 v[0:1], v[7:10], off
.LBB547_33:
	s_or_b32 exec_lo, exec_lo, s1
	s_and_b32 exec_lo, exec_lo, s0
	s_cbranch_execz .LBB547_35
; %bb.34:
	global_load_dwordx4 v[2:5], v[5:6], off offset:256
	v_mul_f64 v[6:7], s[20:21], v[16:17]
	v_mul_f64 v[8:9], s[18:19], v[16:17]
	v_fma_f64 v[6:7], s[18:19], v[14:15], -v[6:7]
	v_fma_f64 v[8:9], s[20:21], v[14:15], v[8:9]
	s_waitcnt vmcnt(0)
	v_mul_f64 v[10:11], s[44:45], v[4:5]
	v_mul_f64 v[4:5], s[42:43], v[4:5]
	v_fma_f64 v[10:11], s[42:43], v[2:3], -v[10:11]
	v_fma_f64 v[4:5], s[44:45], v[2:3], v[4:5]
	v_add_f64 v[2:3], v[6:7], v[10:11]
	v_add_f64 v[4:5], v[8:9], v[4:5]
	global_store_dwordx4 v[0:1], v[2:5], off offset:256
.LBB547_35:
	s_endpgm
	.section	.rodata,"a",@progbits
	.p2align	6, 0x0
	.amdhsa_kernel _ZN12_GLOBAL__N_135rocblas_gemm_batched_general_kernelI19rocblas_complex_numIdELi16ELi16ELi32ELi32ELi8ELi32ELi8ELi8ELi32ELc78ELc78EKS2_S3_S2_EEvlllT_PT11_llS6_llS4_PT12_llPT13_lli
		.amdhsa_group_segment_fixed_size 8192
		.amdhsa_private_segment_fixed_size 0
		.amdhsa_kernarg_size 156
		.amdhsa_user_sgpr_count 6
		.amdhsa_user_sgpr_private_segment_buffer 1
		.amdhsa_user_sgpr_dispatch_ptr 0
		.amdhsa_user_sgpr_queue_ptr 0
		.amdhsa_user_sgpr_kernarg_segment_ptr 1
		.amdhsa_user_sgpr_dispatch_id 0
		.amdhsa_user_sgpr_flat_scratch_init 0
		.amdhsa_user_sgpr_private_segment_size 0
		.amdhsa_wavefront_size32 1
		.amdhsa_uses_dynamic_stack 0
		.amdhsa_system_sgpr_private_segment_wavefront_offset 0
		.amdhsa_system_sgpr_workgroup_id_x 1
		.amdhsa_system_sgpr_workgroup_id_y 1
		.amdhsa_system_sgpr_workgroup_id_z 1
		.amdhsa_system_sgpr_workgroup_info 0
		.amdhsa_system_vgpr_workitem_id 1
		.amdhsa_next_free_vgpr 56
		.amdhsa_next_free_sgpr 52
		.amdhsa_reserve_vcc 1
		.amdhsa_reserve_flat_scratch 0
		.amdhsa_float_round_mode_32 0
		.amdhsa_float_round_mode_16_64 0
		.amdhsa_float_denorm_mode_32 3
		.amdhsa_float_denorm_mode_16_64 3
		.amdhsa_dx10_clamp 1
		.amdhsa_ieee_mode 1
		.amdhsa_fp16_overflow 0
		.amdhsa_workgroup_processor_mode 1
		.amdhsa_memory_ordered 1
		.amdhsa_forward_progress 1
		.amdhsa_shared_vgpr_count 0
		.amdhsa_exception_fp_ieee_invalid_op 0
		.amdhsa_exception_fp_denorm_src 0
		.amdhsa_exception_fp_ieee_div_zero 0
		.amdhsa_exception_fp_ieee_overflow 0
		.amdhsa_exception_fp_ieee_underflow 0
		.amdhsa_exception_fp_ieee_inexact 0
		.amdhsa_exception_int_div_zero 0
	.end_amdhsa_kernel
	.section	.text._ZN12_GLOBAL__N_135rocblas_gemm_batched_general_kernelI19rocblas_complex_numIdELi16ELi16ELi32ELi32ELi8ELi32ELi8ELi8ELi32ELc78ELc78EKS2_S3_S2_EEvlllT_PT11_llS6_llS4_PT12_llPT13_lli,"axG",@progbits,_ZN12_GLOBAL__N_135rocblas_gemm_batched_general_kernelI19rocblas_complex_numIdELi16ELi16ELi32ELi32ELi8ELi32ELi8ELi8ELi32ELc78ELc78EKS2_S3_S2_EEvlllT_PT11_llS6_llS4_PT12_llPT13_lli,comdat
.Lfunc_end547:
	.size	_ZN12_GLOBAL__N_135rocblas_gemm_batched_general_kernelI19rocblas_complex_numIdELi16ELi16ELi32ELi32ELi8ELi32ELi8ELi8ELi32ELc78ELc78EKS2_S3_S2_EEvlllT_PT11_llS6_llS4_PT12_llPT13_lli, .Lfunc_end547-_ZN12_GLOBAL__N_135rocblas_gemm_batched_general_kernelI19rocblas_complex_numIdELi16ELi16ELi32ELi32ELi8ELi32ELi8ELi8ELi32ELc78ELc78EKS2_S3_S2_EEvlllT_PT11_llS6_llS4_PT12_llPT13_lli
                                        ; -- End function
	.set _ZN12_GLOBAL__N_135rocblas_gemm_batched_general_kernelI19rocblas_complex_numIdELi16ELi16ELi32ELi32ELi8ELi32ELi8ELi8ELi32ELc78ELc78EKS2_S3_S2_EEvlllT_PT11_llS6_llS4_PT12_llPT13_lli.num_vgpr, 56
	.set _ZN12_GLOBAL__N_135rocblas_gemm_batched_general_kernelI19rocblas_complex_numIdELi16ELi16ELi32ELi32ELi8ELi32ELi8ELi8ELi32ELc78ELc78EKS2_S3_S2_EEvlllT_PT11_llS6_llS4_PT12_llPT13_lli.num_agpr, 0
	.set _ZN12_GLOBAL__N_135rocblas_gemm_batched_general_kernelI19rocblas_complex_numIdELi16ELi16ELi32ELi32ELi8ELi32ELi8ELi8ELi32ELc78ELc78EKS2_S3_S2_EEvlllT_PT11_llS6_llS4_PT12_llPT13_lli.numbered_sgpr, 52
	.set _ZN12_GLOBAL__N_135rocblas_gemm_batched_general_kernelI19rocblas_complex_numIdELi16ELi16ELi32ELi32ELi8ELi32ELi8ELi8ELi32ELc78ELc78EKS2_S3_S2_EEvlllT_PT11_llS6_llS4_PT12_llPT13_lli.num_named_barrier, 0
	.set _ZN12_GLOBAL__N_135rocblas_gemm_batched_general_kernelI19rocblas_complex_numIdELi16ELi16ELi32ELi32ELi8ELi32ELi8ELi8ELi32ELc78ELc78EKS2_S3_S2_EEvlllT_PT11_llS6_llS4_PT12_llPT13_lli.private_seg_size, 0
	.set _ZN12_GLOBAL__N_135rocblas_gemm_batched_general_kernelI19rocblas_complex_numIdELi16ELi16ELi32ELi32ELi8ELi32ELi8ELi8ELi32ELc78ELc78EKS2_S3_S2_EEvlllT_PT11_llS6_llS4_PT12_llPT13_lli.uses_vcc, 1
	.set _ZN12_GLOBAL__N_135rocblas_gemm_batched_general_kernelI19rocblas_complex_numIdELi16ELi16ELi32ELi32ELi8ELi32ELi8ELi8ELi32ELc78ELc78EKS2_S3_S2_EEvlllT_PT11_llS6_llS4_PT12_llPT13_lli.uses_flat_scratch, 0
	.set _ZN12_GLOBAL__N_135rocblas_gemm_batched_general_kernelI19rocblas_complex_numIdELi16ELi16ELi32ELi32ELi8ELi32ELi8ELi8ELi32ELc78ELc78EKS2_S3_S2_EEvlllT_PT11_llS6_llS4_PT12_llPT13_lli.has_dyn_sized_stack, 0
	.set _ZN12_GLOBAL__N_135rocblas_gemm_batched_general_kernelI19rocblas_complex_numIdELi16ELi16ELi32ELi32ELi8ELi32ELi8ELi8ELi32ELc78ELc78EKS2_S3_S2_EEvlllT_PT11_llS6_llS4_PT12_llPT13_lli.has_recursion, 0
	.set _ZN12_GLOBAL__N_135rocblas_gemm_batched_general_kernelI19rocblas_complex_numIdELi16ELi16ELi32ELi32ELi8ELi32ELi8ELi8ELi32ELc78ELc78EKS2_S3_S2_EEvlllT_PT11_llS6_llS4_PT12_llPT13_lli.has_indirect_call, 0
	.section	.AMDGPU.csdata,"",@progbits
; Kernel info:
; codeLenInByte = 4048
; TotalNumSgprs: 54
; NumVgprs: 56
; ScratchSize: 0
; MemoryBound: 0
; FloatMode: 240
; IeeeMode: 1
; LDSByteSize: 8192 bytes/workgroup (compile time only)
; SGPRBlocks: 0
; VGPRBlocks: 6
; NumSGPRsForWavesPerEU: 54
; NumVGPRsForWavesPerEU: 56
; Occupancy: 16
; WaveLimiterHint : 0
; COMPUTE_PGM_RSRC2:SCRATCH_EN: 0
; COMPUTE_PGM_RSRC2:USER_SGPR: 6
; COMPUTE_PGM_RSRC2:TRAP_HANDLER: 0
; COMPUTE_PGM_RSRC2:TGID_X_EN: 1
; COMPUTE_PGM_RSRC2:TGID_Y_EN: 1
; COMPUTE_PGM_RSRC2:TGID_Z_EN: 1
; COMPUTE_PGM_RSRC2:TIDIG_COMP_CNT: 1
	.section	.text._ZN12_GLOBAL__N_135rocblas_gemm_batched_general_kernelI19rocblas_complex_numIdELi16ELi16ELi32ELi32ELi8ELi32ELi8ELi8ELi32ELc84ELc78EKS2_S3_S2_EEvlllT_PT11_llS6_llS4_PT12_llPT13_lli,"axG",@progbits,_ZN12_GLOBAL__N_135rocblas_gemm_batched_general_kernelI19rocblas_complex_numIdELi16ELi16ELi32ELi32ELi8ELi32ELi8ELi8ELi32ELc84ELc78EKS2_S3_S2_EEvlllT_PT11_llS6_llS4_PT12_llPT13_lli,comdat
	.globl	_ZN12_GLOBAL__N_135rocblas_gemm_batched_general_kernelI19rocblas_complex_numIdELi16ELi16ELi32ELi32ELi8ELi32ELi8ELi8ELi32ELc84ELc78EKS2_S3_S2_EEvlllT_PT11_llS6_llS4_PT12_llPT13_lli ; -- Begin function _ZN12_GLOBAL__N_135rocblas_gemm_batched_general_kernelI19rocblas_complex_numIdELi16ELi16ELi32ELi32ELi8ELi32ELi8ELi8ELi32ELc84ELc78EKS2_S3_S2_EEvlllT_PT11_llS6_llS4_PT12_llPT13_lli
	.p2align	8
	.type	_ZN12_GLOBAL__N_135rocblas_gemm_batched_general_kernelI19rocblas_complex_numIdELi16ELi16ELi32ELi32ELi8ELi32ELi8ELi8ELi32ELc84ELc78EKS2_S3_S2_EEvlllT_PT11_llS6_llS4_PT12_llPT13_lli,@function
_ZN12_GLOBAL__N_135rocblas_gemm_batched_general_kernelI19rocblas_complex_numIdELi16ELi16ELi32ELi32ELi8ELi32ELi8ELi8ELi32ELc84ELc78EKS2_S3_S2_EEvlllT_PT11_llS6_llS4_PT12_llPT13_lli: ; @_ZN12_GLOBAL__N_135rocblas_gemm_batched_general_kernelI19rocblas_complex_numIdELi16ELi16ELi32ELi32ELi8ELi32ELi8ELi8ELi32ELc84ELc78EKS2_S3_S2_EEvlllT_PT11_llS6_llS4_PT12_llPT13_lli
; %bb.0:
	s_clause 0x1
	s_load_dwordx16 s[12:27], s[4:5], 0x0
	s_load_dwordx16 s[36:51], s[4:5], 0x40
	s_mov_b32 s0, s7
	v_mov_b32_e32 v2, 0
	s_ashr_i32 s7, s6, 31
	s_ashr_i32 s1, s0, 31
	s_lshl_b64 s[10:11], s[6:7], 5
	s_waitcnt lgkmcnt(0)
	v_cmp_lt_i64_e64 s2, s[16:17], 1
	s_and_b32 vcc_lo, exec_lo, s2
	s_lshl_b64 s[2:3], s[0:1], 5
	s_cbranch_vccnz .LBB548_11
; %bb.1:
	v_lshl_add_u32 v3, v1, 4, v0
	v_and_b32_e32 v26, 7, v0
	v_mov_b32_e32 v4, s11
	s_mul_hi_u32 s6, s40, s8
	v_mov_b32_e32 v16, 0
	v_lshrrev_b32_e32 v8, 3, v3
	v_and_b32_e32 v7, 31, v3
	v_lshrrev_b32_e32 v27, 5, v3
	v_lshlrev_b32_e32 v10, 4, v26
	v_mov_b32_e32 v14, 0
	v_add_co_u32 v5, s0, v8, s2
	v_or_b32_e32 v3, s10, v7
	v_lshlrev_b32_e32 v9, 4, v7
	v_add_co_ci_u32_e64 v6, null, 0, s3, s0
	v_add_co_u32 v7, s1, s10, v7
	v_cmp_gt_i64_e32 vcc_lo, s[12:13], v[3:4]
	v_lshl_or_b32 v28, v27, 9, v9
	v_cmp_gt_i64_e64 s0, s[14:15], v[5:6]
	v_mul_lo_u32 v9, s39, v5
	v_mul_lo_u32 v6, s38, v6
	v_mad_u64_u32 v[3:4], null, s38, v5, 0
	v_lshl_or_b32 v5, v8, 7, v10
	v_add_co_ci_u32_e64 v8, null, s11, 0, s1
	s_mul_i32 s1, s41, s8
	v_mov_b32_e32 v20, 0
	v_add_nc_u32_e32 v29, 0x1000, v5
	v_add3_u32 v4, v4, v6, v9
	v_mul_lo_u32 v9, s25, v7
	v_mul_lo_u32 v8, s24, v8
	v_mad_u64_u32 v[5:6], null, s24, v7, 0
	v_lshlrev_b64 v[3:4], 4, v[3:4]
	s_add_i32 s7, s6, s1
	s_mul_i32 s6, s40, s8
	v_mov_b32_e32 v18, 0
	s_lshl_b64 s[6:7], s[6:7], 4
	v_mov_b32_e32 v12, 0
	v_add3_u32 v6, v6, v8, v9
	v_add_co_u32 v7, s1, v3, s6
	v_add_co_ci_u32_e64 v8, null, s7, v4, s1
	s_mul_i32 s1, s27, s8
	s_mul_hi_u32 s6, s26, s8
	v_lshlrev_b64 v[3:4], 4, v[5:6]
	s_add_i32 s7, s6, s1
	s_mul_i32 s6, s26, s8
	v_add_co_u32 v5, s1, v7, v10
	s_lshl_b64 s[6:7], s[6:7], 4
	v_add_co_ci_u32_e64 v7, null, 0, v8, s1
	v_add_co_u32 v3, s1, v3, s6
	v_lshlrev_b32_e32 v8, 4, v27
	v_add_co_ci_u32_e64 v4, null, s7, v4, s1
	v_add_co_u32 v6, s1, s36, v5
	v_add_co_ci_u32_e64 v7, null, s37, v7, s1
	v_add_co_u32 v3, s1, v3, v8
	v_add_co_ci_u32_e64 v4, null, 0, v4, s1
	v_mov_b32_e32 v10, 0
	v_add_co_u32 v8, s1, s22, v3
	v_mov_b32_e32 v24, 0
	v_mov_b32_e32 v22, 0
	v_lshlrev_b32_e32 v30, 4, v0
	v_lshl_add_u32 v31, v1, 7, 0x1000
	v_mov_b32_e32 v17, 0
	v_mov_b32_e32 v15, 0
	;; [unrolled: 1-line block ×8, first 2 shown]
	v_add_co_ci_u32_e64 v9, null, s23, v4, s1
	s_mov_b64 s[6:7], 0
	s_xor_b32 s1, vcc_lo, -1
	s_xor_b32 s0, s0, -1
	s_branch .LBB548_3
.LBB548_2:                              ;   in Loop: Header=BB548_3 Depth=1
	s_or_b32 exec_lo, exec_lo, s9
	s_waitcnt lgkmcnt(0)
	s_barrier
	buffer_gl0_inv
	ds_read_b128 v[32:35], v31
	ds_read_b128 v[36:39], v31 offset:16
	ds_read_b128 v[40:43], v31 offset:32
	;; [unrolled: 1-line block ×3, first 2 shown]
	ds_read_b128 v[48:51], v30
	s_add_u32 s6, s6, 8
	s_addc_u32 s7, s7, 0
	v_add_co_u32 v6, vcc_lo, 0x80, v6
	v_cmp_lt_i64_e64 s9, s[6:7], s[16:17]
	v_add_co_ci_u32_e64 v7, null, 0, v7, vcc_lo
	v_add_co_u32 v8, vcc_lo, 0x80, v8
	v_add_co_ci_u32_e64 v9, null, 0, v9, vcc_lo
	s_and_b32 vcc_lo, exec_lo, s9
	s_waitcnt lgkmcnt(0)
	v_mul_f64 v[3:4], v[34:35], v[50:51]
	v_mul_f64 v[52:53], v[32:33], v[50:51]
	v_fma_f64 v[3:4], v[32:33], v[48:49], -v[3:4]
	v_fma_f64 v[52:53], v[34:35], v[48:49], v[52:53]
	v_add_f64 v[3:4], v[22:23], v[3:4]
	v_add_f64 v[52:53], v[52:53], v[24:25]
	ds_read_b128 v[22:25], v30 offset:256
	s_waitcnt lgkmcnt(0)
	v_mul_f64 v[54:55], v[34:35], v[24:25]
	v_fma_f64 v[54:55], v[32:33], v[22:23], -v[54:55]
	v_mul_f64 v[32:33], v[32:33], v[24:25]
	v_fma_f64 v[32:33], v[34:35], v[22:23], v[32:33]
	v_add_f64 v[34:35], v[10:11], v[54:55]
	v_add_f64 v[32:33], v[32:33], v[12:13]
	ds_read_b128 v[10:13], v31 offset:2048
	s_waitcnt lgkmcnt(0)
	v_mul_f64 v[54:55], v[12:13], v[50:51]
	v_mul_f64 v[50:51], v[10:11], v[50:51]
	v_fma_f64 v[54:55], v[10:11], v[48:49], -v[54:55]
	v_fma_f64 v[48:49], v[12:13], v[48:49], v[50:51]
	v_add_f64 v[50:51], v[18:19], v[54:55]
	v_mul_f64 v[18:19], v[12:13], v[24:25]
	v_add_f64 v[48:49], v[48:49], v[20:21]
	v_fma_f64 v[18:19], v[10:11], v[22:23], -v[18:19]
	v_mul_f64 v[10:11], v[10:11], v[24:25]
	v_fma_f64 v[10:11], v[12:13], v[22:23], v[10:11]
	v_add_f64 v[22:23], v[14:15], v[18:19]
	v_add_f64 v[24:25], v[10:11], v[16:17]
	ds_read_b128 v[10:13], v30 offset:512
	s_waitcnt lgkmcnt(0)
	v_mul_f64 v[14:15], v[38:39], v[12:13]
	v_mul_f64 v[16:17], v[36:37], v[12:13]
	v_fma_f64 v[14:15], v[36:37], v[10:11], -v[14:15]
	v_fma_f64 v[16:17], v[38:39], v[10:11], v[16:17]
	v_add_f64 v[3:4], v[3:4], v[14:15]
	v_add_f64 v[52:53], v[16:17], v[52:53]
	ds_read_b128 v[14:17], v30 offset:768
	s_waitcnt lgkmcnt(0)
	v_mul_f64 v[18:19], v[38:39], v[16:17]
	v_mul_f64 v[20:21], v[36:37], v[16:17]
	v_fma_f64 v[18:19], v[36:37], v[14:15], -v[18:19]
	;; [unrolled: 8-line block ×3, first 2 shown]
	v_fma_f64 v[10:11], v[20:21], v[10:11], v[12:13]
	v_mul_f64 v[12:13], v[18:19], v[16:17]
	v_add_f64 v[36:37], v[50:51], v[36:37]
	v_add_f64 v[38:39], v[10:11], v[48:49]
	v_mul_f64 v[10:11], v[20:21], v[16:17]
	v_fma_f64 v[12:13], v[20:21], v[14:15], v[12:13]
	v_fma_f64 v[10:11], v[18:19], v[14:15], -v[10:11]
	v_add_f64 v[24:25], v[12:13], v[24:25]
	v_add_f64 v[22:23], v[22:23], v[10:11]
	ds_read_b128 v[10:13], v30 offset:1024
	s_waitcnt lgkmcnt(0)
	v_mul_f64 v[14:15], v[42:43], v[12:13]
	v_mul_f64 v[16:17], v[40:41], v[12:13]
	v_fma_f64 v[14:15], v[40:41], v[10:11], -v[14:15]
	v_fma_f64 v[16:17], v[42:43], v[10:11], v[16:17]
	v_add_f64 v[3:4], v[3:4], v[14:15]
	v_add_f64 v[48:49], v[16:17], v[52:53]
	ds_read_b128 v[14:17], v30 offset:1280
	s_waitcnt lgkmcnt(0)
	v_mul_f64 v[18:19], v[42:43], v[16:17]
	v_mul_f64 v[20:21], v[40:41], v[16:17]
	v_fma_f64 v[18:19], v[40:41], v[14:15], -v[18:19]
	v_fma_f64 v[20:21], v[42:43], v[14:15], v[20:21]
	;; [unrolled: 8-line block ×3, first 2 shown]
	v_mul_f64 v[12:13], v[18:19], v[16:17]
	v_add_f64 v[36:37], v[36:37], v[40:41]
	v_add_f64 v[38:39], v[10:11], v[38:39]
	v_mul_f64 v[10:11], v[20:21], v[16:17]
	v_fma_f64 v[12:13], v[20:21], v[14:15], v[12:13]
	v_fma_f64 v[10:11], v[18:19], v[14:15], -v[10:11]
	v_add_f64 v[24:25], v[12:13], v[24:25]
	v_add_f64 v[22:23], v[22:23], v[10:11]
	ds_read_b128 v[10:13], v30 offset:1536
	s_waitcnt lgkmcnt(0)
	v_mul_f64 v[14:15], v[46:47], v[12:13]
	v_mul_f64 v[16:17], v[44:45], v[12:13]
	v_fma_f64 v[14:15], v[44:45], v[10:11], -v[14:15]
	v_fma_f64 v[16:17], v[46:47], v[10:11], v[16:17]
	v_add_f64 v[3:4], v[3:4], v[14:15]
	v_add_f64 v[40:41], v[16:17], v[48:49]
	ds_read_b128 v[14:17], v30 offset:1792
	s_waitcnt lgkmcnt(0)
	v_mul_f64 v[18:19], v[46:47], v[16:17]
	v_mul_f64 v[20:21], v[44:45], v[16:17]
	v_fma_f64 v[18:19], v[44:45], v[14:15], -v[18:19]
	v_fma_f64 v[20:21], v[46:47], v[14:15], v[20:21]
	;; [unrolled: 8-line block ×3, first 2 shown]
	v_mul_f64 v[12:13], v[18:19], v[16:17]
	v_add_f64 v[36:37], v[36:37], v[42:43]
	v_add_f64 v[38:39], v[10:11], v[38:39]
	v_mul_f64 v[10:11], v[20:21], v[16:17]
	v_fma_f64 v[12:13], v[20:21], v[14:15], v[12:13]
	v_fma_f64 v[10:11], v[18:19], v[14:15], -v[10:11]
	v_add_f64 v[24:25], v[12:13], v[24:25]
	v_add_f64 v[22:23], v[22:23], v[10:11]
	ds_read_b128 v[10:13], v31 offset:64
	ds_read_b128 v[14:17], v30 offset:2048
	s_waitcnt lgkmcnt(0)
	v_mul_f64 v[18:19], v[12:13], v[16:17]
	v_mul_f64 v[20:21], v[10:11], v[16:17]
	v_fma_f64 v[18:19], v[10:11], v[14:15], -v[18:19]
	v_fma_f64 v[20:21], v[12:13], v[14:15], v[20:21]
	v_add_f64 v[3:4], v[3:4], v[18:19]
	v_add_f64 v[40:41], v[20:21], v[40:41]
	ds_read_b128 v[18:21], v30 offset:2304
	s_waitcnt lgkmcnt(0)
	v_mul_f64 v[42:43], v[12:13], v[20:21]
	v_fma_f64 v[42:43], v[10:11], v[18:19], -v[42:43]
	v_mul_f64 v[10:11], v[10:11], v[20:21]
	v_add_f64 v[34:35], v[34:35], v[42:43]
	v_fma_f64 v[10:11], v[12:13], v[18:19], v[10:11]
	v_add_f64 v[32:33], v[10:11], v[32:33]
	ds_read_b128 v[10:13], v31 offset:2112
	s_waitcnt lgkmcnt(0)
	v_mul_f64 v[42:43], v[12:13], v[16:17]
	v_mul_f64 v[16:17], v[10:11], v[16:17]
	v_fma_f64 v[42:43], v[10:11], v[14:15], -v[42:43]
	v_fma_f64 v[14:15], v[12:13], v[14:15], v[16:17]
	v_add_f64 v[36:37], v[36:37], v[42:43]
	v_add_f64 v[38:39], v[14:15], v[38:39]
	v_mul_f64 v[14:15], v[12:13], v[20:21]
	v_fma_f64 v[14:15], v[10:11], v[18:19], -v[14:15]
	v_mul_f64 v[10:11], v[10:11], v[20:21]
	v_add_f64 v[22:23], v[22:23], v[14:15]
	v_fma_f64 v[10:11], v[12:13], v[18:19], v[10:11]
	v_add_f64 v[24:25], v[10:11], v[24:25]
	ds_read_b128 v[10:13], v31 offset:80
	ds_read_b128 v[14:17], v30 offset:2560
	s_waitcnt lgkmcnt(0)
	v_mul_f64 v[18:19], v[12:13], v[16:17]
	v_mul_f64 v[20:21], v[10:11], v[16:17]
	v_fma_f64 v[18:19], v[10:11], v[14:15], -v[18:19]
	v_fma_f64 v[20:21], v[12:13], v[14:15], v[20:21]
	v_add_f64 v[3:4], v[3:4], v[18:19]
	v_add_f64 v[40:41], v[20:21], v[40:41]
	ds_read_b128 v[18:21], v30 offset:2816
	s_waitcnt lgkmcnt(0)
	v_mul_f64 v[42:43], v[12:13], v[20:21]
	v_fma_f64 v[42:43], v[10:11], v[18:19], -v[42:43]
	v_mul_f64 v[10:11], v[10:11], v[20:21]
	v_add_f64 v[34:35], v[34:35], v[42:43]
	v_fma_f64 v[10:11], v[12:13], v[18:19], v[10:11]
	v_add_f64 v[32:33], v[10:11], v[32:33]
	ds_read_b128 v[10:13], v31 offset:2128
	s_waitcnt lgkmcnt(0)
	v_mul_f64 v[42:43], v[12:13], v[16:17]
	v_mul_f64 v[16:17], v[10:11], v[16:17]
	v_fma_f64 v[42:43], v[10:11], v[14:15], -v[42:43]
	v_fma_f64 v[14:15], v[12:13], v[14:15], v[16:17]
	v_add_f64 v[36:37], v[36:37], v[42:43]
	v_add_f64 v[38:39], v[14:15], v[38:39]
	v_mul_f64 v[14:15], v[12:13], v[20:21]
	v_fma_f64 v[14:15], v[10:11], v[18:19], -v[14:15]
	v_mul_f64 v[10:11], v[10:11], v[20:21]
	v_add_f64 v[22:23], v[22:23], v[14:15]
	v_fma_f64 v[10:11], v[12:13], v[18:19], v[10:11]
	;; [unrolled: 31-line block ×3, first 2 shown]
	v_add_f64 v[52:53], v[10:11], v[24:25]
	ds_read_b128 v[10:13], v31 offset:112
	ds_read_b128 v[14:17], v30 offset:3584
	;; [unrolled: 1-line block ×4, first 2 shown]
	s_waitcnt lgkmcnt(0)
	s_barrier
	buffer_gl0_inv
	v_mul_f64 v[18:19], v[12:13], v[16:17]
	v_mul_f64 v[20:21], v[10:11], v[16:17]
	v_fma_f64 v[18:19], v[10:11], v[14:15], -v[18:19]
	v_fma_f64 v[20:21], v[12:13], v[14:15], v[20:21]
	v_add_f64 v[22:23], v[3:4], v[18:19]
	v_mul_f64 v[3:4], v[12:13], v[34:35]
	v_add_f64 v[24:25], v[20:21], v[40:41]
	v_fma_f64 v[3:4], v[10:11], v[32:33], -v[3:4]
	v_mul_f64 v[10:11], v[10:11], v[34:35]
	v_fma_f64 v[12:13], v[12:13], v[32:33], v[10:11]
	v_add_f64 v[10:11], v[42:43], v[3:4]
	v_mul_f64 v[3:4], v[38:39], v[16:17]
	v_mul_f64 v[16:17], v[36:37], v[16:17]
	v_add_f64 v[12:13], v[12:13], v[44:45]
	v_fma_f64 v[3:4], v[36:37], v[14:15], -v[3:4]
	v_fma_f64 v[14:15], v[38:39], v[14:15], v[16:17]
	v_add_f64 v[18:19], v[46:47], v[3:4]
	v_add_f64 v[20:21], v[14:15], v[48:49]
	v_mul_f64 v[3:4], v[38:39], v[34:35]
	v_mul_f64 v[14:15], v[36:37], v[34:35]
	v_fma_f64 v[3:4], v[36:37], v[32:33], -v[3:4]
	v_fma_f64 v[16:17], v[38:39], v[32:33], v[14:15]
	v_add_f64 v[14:15], v[50:51], v[3:4]
	v_add_f64 v[16:17], v[16:17], v[52:53]
	s_cbranch_vccz .LBB548_12
.LBB548_3:                              ; =>This Inner Loop Header: Depth=1
	v_add_co_u32 v3, s9, v27, s6
	v_add_co_ci_u32_e64 v4, null, 0, s7, s9
	v_cmp_le_i64_e32 vcc_lo, s[16:17], v[3:4]
	s_or_b32 s9, s1, vcc_lo
	s_and_saveexec_b32 s22, s9
	s_xor_b32 s9, exec_lo, s22
	s_cbranch_execz .LBB548_5
; %bb.4:                                ;   in Loop: Header=BB548_3 Depth=1
	v_mov_b32_e32 v3, v2
	v_mov_b32_e32 v4, v2
	;; [unrolled: 1-line block ×3, first 2 shown]
	ds_write_b128 v28, v[2:5]
.LBB548_5:                              ;   in Loop: Header=BB548_3 Depth=1
	s_andn2_saveexec_b32 s9, s9
	s_cbranch_execz .LBB548_7
; %bb.6:                                ;   in Loop: Header=BB548_3 Depth=1
	global_load_dwordx4 v[32:35], v[8:9], off
	s_waitcnt vmcnt(0)
	ds_write2_b64 v28, v[32:33], v[34:35] offset1:1
.LBB548_7:                              ;   in Loop: Header=BB548_3 Depth=1
	s_or_b32 exec_lo, exec_lo, s9
	v_add_co_u32 v3, s9, v26, s6
	v_add_co_ci_u32_e64 v4, null, 0, s7, s9
	v_cmp_le_i64_e32 vcc_lo, s[16:17], v[3:4]
	s_or_b32 s9, vcc_lo, s0
	s_and_saveexec_b32 s22, s9
	s_xor_b32 s9, exec_lo, s22
	s_cbranch_execz .LBB548_9
; %bb.8:                                ;   in Loop: Header=BB548_3 Depth=1
	v_mov_b32_e32 v3, v2
	v_mov_b32_e32 v4, v2
	;; [unrolled: 1-line block ×3, first 2 shown]
	ds_write_b128 v29, v[2:5]
.LBB548_9:                              ;   in Loop: Header=BB548_3 Depth=1
	s_andn2_saveexec_b32 s9, s9
	s_cbranch_execz .LBB548_2
; %bb.10:                               ;   in Loop: Header=BB548_3 Depth=1
	global_load_dwordx4 v[32:35], v[6:7], off
	s_waitcnt vmcnt(0)
	ds_write2_b64 v29, v[32:33], v[34:35] offset1:1
	s_branch .LBB548_2
.LBB548_11:
	v_mov_b32_e32 v22, 0
	v_mov_b32_e32 v24, 0
	;; [unrolled: 1-line block ×16, first 2 shown]
.LBB548_12:
	s_clause 0x1
	s_load_dwordx2 s[0:1], s[4:5], 0x90
	s_load_dwordx4 s[4:7], s[4:5], 0x80
	v_cmp_neq_f64_e64 s9, s[42:43], 0
	v_cmp_neq_f64_e64 s16, s[44:45], 0
	v_add_co_u32 v1, s2, s2, v1
	v_add_co_ci_u32_e64 v2, null, s3, 0, s2
	s_waitcnt lgkmcnt(0)
	s_mul_i32 s1, s1, s8
	s_mul_hi_u32 s17, s0, s8
	s_mul_i32 s0, s0, s8
	s_add_i32 s1, s17, s1
	s_lshl_b64 s[0:1], s[0:1], 4
	s_add_u32 s3, s4, s0
	v_cmp_gt_i64_e64 s0, s[14:15], v[1:2]
	s_addc_u32 s4, s5, s1
	s_or_b32 s1, s9, s16
	s_and_b32 vcc_lo, exec_lo, s1
	s_mov_b32 s1, -1
	s_cbranch_vccnz .LBB548_24
; %bb.13:
	s_and_saveexec_b32 s5, s0
	s_cbranch_execz .LBB548_23
; %bb.14:
	v_mul_lo_u32 v5, v2, s6
	v_mul_lo_u32 v6, v1, s7
	v_mad_u64_u32 v[3:4], null, v1, s6, 0
	v_add3_u32 v4, v4, v6, v5
	v_add_co_u32 v5, s1, s10, v0
	v_add_co_ci_u32_e64 v6, null, s11, 0, s1
	v_lshlrev_b64 v[7:8], 4, v[3:4]
	v_cmp_gt_i64_e32 vcc_lo, s[12:13], v[5:6]
	v_lshlrev_b64 v[3:4], 4, v[5:6]
	v_add_co_u32 v7, s1, s3, v7
	v_add_co_ci_u32_e64 v8, null, s4, v8, s1
	s_and_saveexec_b32 s2, vcc_lo
	s_cbranch_execz .LBB548_16
; %bb.15:
	v_mul_f64 v[26:27], s[20:21], v[24:25]
	v_mul_f64 v[28:29], s[18:19], v[24:25]
	v_add_co_u32 v30, s1, v7, v3
	v_add_co_ci_u32_e64 v31, null, v8, v4, s1
	v_fma_f64 v[26:27], s[18:19], v[22:23], -v[26:27]
	v_fma_f64 v[28:29], s[20:21], v[22:23], v[28:29]
	global_store_dwordx4 v[30:31], v[26:29], off
.LBB548_16:
	s_or_b32 exec_lo, exec_lo, s2
	v_add_co_u32 v5, s1, v5, 16
	v_add_co_ci_u32_e64 v6, null, 0, v6, s1
	v_cmp_gt_i64_e64 s1, s[12:13], v[5:6]
	s_and_saveexec_b32 s9, s1
	s_cbranch_execz .LBB548_18
; %bb.17:
	v_mul_f64 v[5:6], s[20:21], v[12:13]
	v_mul_f64 v[28:29], s[18:19], v[12:13]
	v_fma_f64 v[26:27], s[18:19], v[10:11], -v[5:6]
	v_fma_f64 v[28:29], s[20:21], v[10:11], v[28:29]
	v_add_co_u32 v5, s2, v7, v3
	v_add_co_ci_u32_e64 v6, null, v8, v4, s2
	global_store_dwordx4 v[5:6], v[26:29], off offset:256
.LBB548_18:
	s_or_b32 exec_lo, exec_lo, s9
	v_add_co_u32 v5, s2, v1, 16
	v_add_co_ci_u32_e64 v6, null, 0, v2, s2
	v_cmp_gt_i64_e64 s2, s[14:15], v[5:6]
	s_and_b32 exec_lo, exec_lo, s2
	s_cbranch_execz .LBB548_23
; %bb.19:
	s_lshl_b64 s[16:17], s[6:7], 8
	v_add_co_u32 v5, s2, v7, s16
	v_add_co_ci_u32_e64 v6, null, s17, v8, s2
	v_add_co_u32 v3, s2, v5, v3
	v_add_co_ci_u32_e64 v4, null, v6, v4, s2
	s_and_saveexec_b32 s2, vcc_lo
	s_cbranch_execz .LBB548_21
; %bb.20:
	v_mul_f64 v[5:6], s[20:21], v[20:21]
	v_mul_f64 v[7:8], s[18:19], v[20:21]
	v_fma_f64 v[5:6], s[18:19], v[18:19], -v[5:6]
	v_fma_f64 v[7:8], s[20:21], v[18:19], v[7:8]
	global_store_dwordx4 v[3:4], v[5:8], off
.LBB548_21:
	s_or_b32 exec_lo, exec_lo, s2
	s_and_b32 exec_lo, exec_lo, s1
	s_cbranch_execz .LBB548_23
; %bb.22:
	v_mul_f64 v[5:6], s[20:21], v[16:17]
	v_mul_f64 v[7:8], s[18:19], v[16:17]
	v_fma_f64 v[5:6], s[18:19], v[14:15], -v[5:6]
	v_fma_f64 v[7:8], s[20:21], v[14:15], v[7:8]
	global_store_dwordx4 v[3:4], v[5:8], off offset:256
.LBB548_23:
	s_or_b32 exec_lo, exec_lo, s5
	s_mov_b32 s1, 0
.LBB548_24:
	s_andn2_b32 vcc_lo, exec_lo, s1
	s_cbranch_vccnz .LBB548_35
; %bb.25:
	s_and_saveexec_b32 s1, s0
	s_cbranch_execz .LBB548_35
; %bb.26:
	v_mul_lo_u32 v5, v2, s48
	v_mul_lo_u32 v6, v1, s49
	v_mad_u64_u32 v[3:4], null, v1, s48, 0
	v_mul_lo_u32 v9, v2, s6
	v_mul_lo_u32 v26, v1, s7
	v_mad_u64_u32 v[7:8], null, v1, s6, 0
	s_mul_i32 s0, s51, s8
	s_mul_hi_u32 s1, s50, s8
	v_add3_u32 v4, v4, v6, v5
	s_add_i32 s1, s1, s0
	s_mul_i32 s0, s50, s8
	v_add_co_u32 v5, s2, s10, v0
	v_add3_u32 v8, v8, v26, v9
	v_lshlrev_b64 v[3:4], 4, v[3:4]
	s_lshl_b64 s[0:1], s[0:1], 4
	v_add_co_ci_u32_e64 v6, null, s11, 0, s2
	v_lshlrev_b64 v[8:9], 4, v[7:8]
	s_add_u32 s0, s46, s0
	s_addc_u32 s1, s47, s1
	v_add_co_u32 v0, s0, s0, v3
	v_add_co_ci_u32_e64 v7, null, s1, v4, s0
	v_add_co_u32 v8, s0, s3, v8
	v_cmp_gt_i64_e32 vcc_lo, s[12:13], v[5:6]
	v_lshlrev_b64 v[3:4], 4, v[5:6]
	v_add_co_ci_u32_e64 v9, null, s4, v9, s0
	s_and_saveexec_b32 s1, vcc_lo
	s_cbranch_execz .LBB548_28
; %bb.27:
	v_add_co_u32 v26, s0, v0, v3
	v_add_co_ci_u32_e64 v27, null, v7, v4, s0
	v_mul_f64 v[30:31], s[20:21], v[24:25]
	v_mul_f64 v[24:25], s[18:19], v[24:25]
	global_load_dwordx4 v[26:29], v[26:27], off
	v_fma_f64 v[30:31], s[18:19], v[22:23], -v[30:31]
	v_fma_f64 v[24:25], s[20:21], v[22:23], v[24:25]
	s_waitcnt vmcnt(0)
	v_mul_f64 v[32:33], s[44:45], v[28:29]
	v_mul_f64 v[28:29], s[42:43], v[28:29]
	v_fma_f64 v[22:23], s[42:43], v[26:27], -v[32:33]
	v_fma_f64 v[26:27], s[44:45], v[26:27], v[28:29]
	v_add_f64 v[22:23], v[30:31], v[22:23]
	v_add_f64 v[24:25], v[24:25], v[26:27]
	v_add_co_u32 v26, s0, v8, v3
	v_add_co_ci_u32_e64 v27, null, v9, v4, s0
	global_store_dwordx4 v[26:27], v[22:25], off
.LBB548_28:
	s_or_b32 exec_lo, exec_lo, s1
	v_add_co_u32 v5, s0, v5, 16
	v_add_co_ci_u32_e64 v6, null, 0, v6, s0
	v_cmp_gt_i64_e64 s0, s[12:13], v[5:6]
	s_and_saveexec_b32 s2, s0
	s_cbranch_execz .LBB548_30
; %bb.29:
	v_add_co_u32 v5, s1, v0, v3
	v_add_co_ci_u32_e64 v6, null, v7, v4, s1
	global_load_dwordx4 v[22:25], v[5:6], off offset:256
	v_mul_f64 v[5:6], s[20:21], v[12:13]
	v_mul_f64 v[12:13], s[18:19], v[12:13]
	v_fma_f64 v[5:6], s[18:19], v[10:11], -v[5:6]
	v_fma_f64 v[12:13], s[20:21], v[10:11], v[12:13]
	s_waitcnt vmcnt(0)
	v_mul_f64 v[26:27], s[44:45], v[24:25]
	v_mul_f64 v[24:25], s[42:43], v[24:25]
	v_fma_f64 v[10:11], s[42:43], v[22:23], -v[26:27]
	v_fma_f64 v[22:23], s[44:45], v[22:23], v[24:25]
	v_add_f64 v[10:11], v[5:6], v[10:11]
	v_add_f64 v[12:13], v[12:13], v[22:23]
	v_add_co_u32 v5, s1, v8, v3
	v_add_co_ci_u32_e64 v6, null, v9, v4, s1
	global_store_dwordx4 v[5:6], v[10:13], off offset:256
.LBB548_30:
	s_or_b32 exec_lo, exec_lo, s2
	v_add_co_u32 v1, s1, v1, 16
	v_add_co_ci_u32_e64 v2, null, 0, v2, s1
	v_cmp_gt_i64_e64 s1, s[14:15], v[1:2]
	s_and_b32 exec_lo, exec_lo, s1
	s_cbranch_execz .LBB548_35
; %bb.31:
	s_lshl_b64 s[2:3], s[48:49], 8
	v_add_co_u32 v0, s1, v0, s2
	v_add_co_ci_u32_e64 v1, null, s3, v7, s1
	s_lshl_b64 s[2:3], s[6:7], 8
	v_add_co_u32 v2, s1, v8, s2
	v_add_co_ci_u32_e64 v7, null, s3, v9, s1
	v_add_co_u32 v5, s1, v0, v3
	v_add_co_ci_u32_e64 v6, null, v1, v4, s1
	;; [unrolled: 2-line block ×3, first 2 shown]
	s_and_saveexec_b32 s1, vcc_lo
	s_cbranch_execz .LBB548_33
; %bb.32:
	global_load_dwordx4 v[7:10], v[5:6], off
	v_mul_f64 v[2:3], s[20:21], v[20:21]
	v_mul_f64 v[11:12], s[18:19], v[20:21]
	v_fma_f64 v[2:3], s[18:19], v[18:19], -v[2:3]
	v_fma_f64 v[11:12], s[20:21], v[18:19], v[11:12]
	s_waitcnt vmcnt(0)
	v_mul_f64 v[20:21], s[44:45], v[9:10]
	v_mul_f64 v[9:10], s[42:43], v[9:10]
	v_fma_f64 v[18:19], s[42:43], v[7:8], -v[20:21]
	v_fma_f64 v[9:10], s[44:45], v[7:8], v[9:10]
	v_add_f64 v[7:8], v[2:3], v[18:19]
	v_add_f64 v[9:10], v[11:12], v[9:10]
	global_store_dwordx4 v[0:1], v[7:10], off
.LBB548_33:
	s_or_b32 exec_lo, exec_lo, s1
	s_and_b32 exec_lo, exec_lo, s0
	s_cbranch_execz .LBB548_35
; %bb.34:
	global_load_dwordx4 v[2:5], v[5:6], off offset:256
	v_mul_f64 v[6:7], s[20:21], v[16:17]
	v_mul_f64 v[8:9], s[18:19], v[16:17]
	v_fma_f64 v[6:7], s[18:19], v[14:15], -v[6:7]
	v_fma_f64 v[8:9], s[20:21], v[14:15], v[8:9]
	s_waitcnt vmcnt(0)
	v_mul_f64 v[10:11], s[44:45], v[4:5]
	v_mul_f64 v[4:5], s[42:43], v[4:5]
	v_fma_f64 v[10:11], s[42:43], v[2:3], -v[10:11]
	v_fma_f64 v[4:5], s[44:45], v[2:3], v[4:5]
	v_add_f64 v[2:3], v[6:7], v[10:11]
	v_add_f64 v[4:5], v[8:9], v[4:5]
	global_store_dwordx4 v[0:1], v[2:5], off offset:256
.LBB548_35:
	s_endpgm
	.section	.rodata,"a",@progbits
	.p2align	6, 0x0
	.amdhsa_kernel _ZN12_GLOBAL__N_135rocblas_gemm_batched_general_kernelI19rocblas_complex_numIdELi16ELi16ELi32ELi32ELi8ELi32ELi8ELi8ELi32ELc84ELc78EKS2_S3_S2_EEvlllT_PT11_llS6_llS4_PT12_llPT13_lli
		.amdhsa_group_segment_fixed_size 8192
		.amdhsa_private_segment_fixed_size 0
		.amdhsa_kernarg_size 156
		.amdhsa_user_sgpr_count 6
		.amdhsa_user_sgpr_private_segment_buffer 1
		.amdhsa_user_sgpr_dispatch_ptr 0
		.amdhsa_user_sgpr_queue_ptr 0
		.amdhsa_user_sgpr_kernarg_segment_ptr 1
		.amdhsa_user_sgpr_dispatch_id 0
		.amdhsa_user_sgpr_flat_scratch_init 0
		.amdhsa_user_sgpr_private_segment_size 0
		.amdhsa_wavefront_size32 1
		.amdhsa_uses_dynamic_stack 0
		.amdhsa_system_sgpr_private_segment_wavefront_offset 0
		.amdhsa_system_sgpr_workgroup_id_x 1
		.amdhsa_system_sgpr_workgroup_id_y 1
		.amdhsa_system_sgpr_workgroup_id_z 1
		.amdhsa_system_sgpr_workgroup_info 0
		.amdhsa_system_vgpr_workitem_id 1
		.amdhsa_next_free_vgpr 56
		.amdhsa_next_free_sgpr 52
		.amdhsa_reserve_vcc 1
		.amdhsa_reserve_flat_scratch 0
		.amdhsa_float_round_mode_32 0
		.amdhsa_float_round_mode_16_64 0
		.amdhsa_float_denorm_mode_32 3
		.amdhsa_float_denorm_mode_16_64 3
		.amdhsa_dx10_clamp 1
		.amdhsa_ieee_mode 1
		.amdhsa_fp16_overflow 0
		.amdhsa_workgroup_processor_mode 1
		.amdhsa_memory_ordered 1
		.amdhsa_forward_progress 1
		.amdhsa_shared_vgpr_count 0
		.amdhsa_exception_fp_ieee_invalid_op 0
		.amdhsa_exception_fp_denorm_src 0
		.amdhsa_exception_fp_ieee_div_zero 0
		.amdhsa_exception_fp_ieee_overflow 0
		.amdhsa_exception_fp_ieee_underflow 0
		.amdhsa_exception_fp_ieee_inexact 0
		.amdhsa_exception_int_div_zero 0
	.end_amdhsa_kernel
	.section	.text._ZN12_GLOBAL__N_135rocblas_gemm_batched_general_kernelI19rocblas_complex_numIdELi16ELi16ELi32ELi32ELi8ELi32ELi8ELi8ELi32ELc84ELc78EKS2_S3_S2_EEvlllT_PT11_llS6_llS4_PT12_llPT13_lli,"axG",@progbits,_ZN12_GLOBAL__N_135rocblas_gemm_batched_general_kernelI19rocblas_complex_numIdELi16ELi16ELi32ELi32ELi8ELi32ELi8ELi8ELi32ELc84ELc78EKS2_S3_S2_EEvlllT_PT11_llS6_llS4_PT12_llPT13_lli,comdat
.Lfunc_end548:
	.size	_ZN12_GLOBAL__N_135rocblas_gemm_batched_general_kernelI19rocblas_complex_numIdELi16ELi16ELi32ELi32ELi8ELi32ELi8ELi8ELi32ELc84ELc78EKS2_S3_S2_EEvlllT_PT11_llS6_llS4_PT12_llPT13_lli, .Lfunc_end548-_ZN12_GLOBAL__N_135rocblas_gemm_batched_general_kernelI19rocblas_complex_numIdELi16ELi16ELi32ELi32ELi8ELi32ELi8ELi8ELi32ELc84ELc78EKS2_S3_S2_EEvlllT_PT11_llS6_llS4_PT12_llPT13_lli
                                        ; -- End function
	.set _ZN12_GLOBAL__N_135rocblas_gemm_batched_general_kernelI19rocblas_complex_numIdELi16ELi16ELi32ELi32ELi8ELi32ELi8ELi8ELi32ELc84ELc78EKS2_S3_S2_EEvlllT_PT11_llS6_llS4_PT12_llPT13_lli.num_vgpr, 56
	.set _ZN12_GLOBAL__N_135rocblas_gemm_batched_general_kernelI19rocblas_complex_numIdELi16ELi16ELi32ELi32ELi8ELi32ELi8ELi8ELi32ELc84ELc78EKS2_S3_S2_EEvlllT_PT11_llS6_llS4_PT12_llPT13_lli.num_agpr, 0
	.set _ZN12_GLOBAL__N_135rocblas_gemm_batched_general_kernelI19rocblas_complex_numIdELi16ELi16ELi32ELi32ELi8ELi32ELi8ELi8ELi32ELc84ELc78EKS2_S3_S2_EEvlllT_PT11_llS6_llS4_PT12_llPT13_lli.numbered_sgpr, 52
	.set _ZN12_GLOBAL__N_135rocblas_gemm_batched_general_kernelI19rocblas_complex_numIdELi16ELi16ELi32ELi32ELi8ELi32ELi8ELi8ELi32ELc84ELc78EKS2_S3_S2_EEvlllT_PT11_llS6_llS4_PT12_llPT13_lli.num_named_barrier, 0
	.set _ZN12_GLOBAL__N_135rocblas_gemm_batched_general_kernelI19rocblas_complex_numIdELi16ELi16ELi32ELi32ELi8ELi32ELi8ELi8ELi32ELc84ELc78EKS2_S3_S2_EEvlllT_PT11_llS6_llS4_PT12_llPT13_lli.private_seg_size, 0
	.set _ZN12_GLOBAL__N_135rocblas_gemm_batched_general_kernelI19rocblas_complex_numIdELi16ELi16ELi32ELi32ELi8ELi32ELi8ELi8ELi32ELc84ELc78EKS2_S3_S2_EEvlllT_PT11_llS6_llS4_PT12_llPT13_lli.uses_vcc, 1
	.set _ZN12_GLOBAL__N_135rocblas_gemm_batched_general_kernelI19rocblas_complex_numIdELi16ELi16ELi32ELi32ELi8ELi32ELi8ELi8ELi32ELc84ELc78EKS2_S3_S2_EEvlllT_PT11_llS6_llS4_PT12_llPT13_lli.uses_flat_scratch, 0
	.set _ZN12_GLOBAL__N_135rocblas_gemm_batched_general_kernelI19rocblas_complex_numIdELi16ELi16ELi32ELi32ELi8ELi32ELi8ELi8ELi32ELc84ELc78EKS2_S3_S2_EEvlllT_PT11_llS6_llS4_PT12_llPT13_lli.has_dyn_sized_stack, 0
	.set _ZN12_GLOBAL__N_135rocblas_gemm_batched_general_kernelI19rocblas_complex_numIdELi16ELi16ELi32ELi32ELi8ELi32ELi8ELi8ELi32ELc84ELc78EKS2_S3_S2_EEvlllT_PT11_llS6_llS4_PT12_llPT13_lli.has_recursion, 0
	.set _ZN12_GLOBAL__N_135rocblas_gemm_batched_general_kernelI19rocblas_complex_numIdELi16ELi16ELi32ELi32ELi8ELi32ELi8ELi8ELi32ELc84ELc78EKS2_S3_S2_EEvlllT_PT11_llS6_llS4_PT12_llPT13_lli.has_indirect_call, 0
	.section	.AMDGPU.csdata,"",@progbits
; Kernel info:
; codeLenInByte = 4064
; TotalNumSgprs: 54
; NumVgprs: 56
; ScratchSize: 0
; MemoryBound: 0
; FloatMode: 240
; IeeeMode: 1
; LDSByteSize: 8192 bytes/workgroup (compile time only)
; SGPRBlocks: 0
; VGPRBlocks: 6
; NumSGPRsForWavesPerEU: 54
; NumVGPRsForWavesPerEU: 56
; Occupancy: 16
; WaveLimiterHint : 0
; COMPUTE_PGM_RSRC2:SCRATCH_EN: 0
; COMPUTE_PGM_RSRC2:USER_SGPR: 6
; COMPUTE_PGM_RSRC2:TRAP_HANDLER: 0
; COMPUTE_PGM_RSRC2:TGID_X_EN: 1
; COMPUTE_PGM_RSRC2:TGID_Y_EN: 1
; COMPUTE_PGM_RSRC2:TGID_Z_EN: 1
; COMPUTE_PGM_RSRC2:TIDIG_COMP_CNT: 1
	.section	.text._ZN12_GLOBAL__N_135rocblas_gemm_batched_general_kernelI19rocblas_complex_numIdELi16ELi16ELi32ELi32ELi8ELi32ELi8ELi8ELi32ELc78ELc84EKS2_S3_S2_EEvlllT_PT11_llS6_llS4_PT12_llPT13_lli,"axG",@progbits,_ZN12_GLOBAL__N_135rocblas_gemm_batched_general_kernelI19rocblas_complex_numIdELi16ELi16ELi32ELi32ELi8ELi32ELi8ELi8ELi32ELc78ELc84EKS2_S3_S2_EEvlllT_PT11_llS6_llS4_PT12_llPT13_lli,comdat
	.globl	_ZN12_GLOBAL__N_135rocblas_gemm_batched_general_kernelI19rocblas_complex_numIdELi16ELi16ELi32ELi32ELi8ELi32ELi8ELi8ELi32ELc78ELc84EKS2_S3_S2_EEvlllT_PT11_llS6_llS4_PT12_llPT13_lli ; -- Begin function _ZN12_GLOBAL__N_135rocblas_gemm_batched_general_kernelI19rocblas_complex_numIdELi16ELi16ELi32ELi32ELi8ELi32ELi8ELi8ELi32ELc78ELc84EKS2_S3_S2_EEvlllT_PT11_llS6_llS4_PT12_llPT13_lli
	.p2align	8
	.type	_ZN12_GLOBAL__N_135rocblas_gemm_batched_general_kernelI19rocblas_complex_numIdELi16ELi16ELi32ELi32ELi8ELi32ELi8ELi8ELi32ELc78ELc84EKS2_S3_S2_EEvlllT_PT11_llS6_llS4_PT12_llPT13_lli,@function
_ZN12_GLOBAL__N_135rocblas_gemm_batched_general_kernelI19rocblas_complex_numIdELi16ELi16ELi32ELi32ELi8ELi32ELi8ELi8ELi32ELc78ELc84EKS2_S3_S2_EEvlllT_PT11_llS6_llS4_PT12_llPT13_lli: ; @_ZN12_GLOBAL__N_135rocblas_gemm_batched_general_kernelI19rocblas_complex_numIdELi16ELi16ELi32ELi32ELi8ELi32ELi8ELi8ELi32ELc78ELc84EKS2_S3_S2_EEvlllT_PT11_llS6_llS4_PT12_llPT13_lli
; %bb.0:
	s_clause 0x1
	s_load_dwordx16 s[12:27], s[4:5], 0x0
	s_load_dwordx16 s[36:51], s[4:5], 0x40
	s_mov_b32 s28, s7
	v_mov_b32_e32 v2, 0
	s_ashr_i32 s7, s6, 31
	s_ashr_i32 s29, s28, 31
	s_lshl_b64 s[10:11], s[6:7], 5
	s_lshl_b64 s[2:3], s[28:29], 5
	s_waitcnt lgkmcnt(0)
	v_cmp_lt_i64_e64 s0, s[16:17], 1
	s_and_b32 vcc_lo, exec_lo, s0
	s_cbranch_vccnz .LBB549_11
; %bb.1:
	v_lshl_add_u32 v3, v1, 4, v0
	v_and_b32_e32 v26, 7, v0
	v_mov_b32_e32 v4, s11
	s_mul_i32 s1, s41, s8
	s_mul_hi_u32 s9, s40, s8
	v_and_b32_e32 v7, 31, v3
	v_lshrrev_b32_e32 v10, 3, v3
	v_mad_u64_u32 v[5:6], null, s38, v26, 0
	v_lshrrev_b32_e32 v27, 5, v3
	v_or_b32_e32 v3, s10, v7
	v_lshlrev_b32_e32 v11, 4, v7
	v_add_co_u32 v7, s0, v10, s2
	v_add_co_ci_u32_e64 v8, null, 0, s3, s0
	v_cmp_gt_i64_e32 vcc_lo, s[12:13], v[3:4]
	v_mad_u64_u32 v[3:4], null, s39, v26, v[6:7]
	v_cmp_gt_i64_e64 s0, s[14:15], v[7:8]
	v_mad_u64_u32 v[7:8], null, s24, v27, 0
	v_lshlrev_b32_e32 v9, 4, v26
	s_add_i32 s31, s9, s1
	s_mul_i32 s30, s40, s8
	v_mov_b32_e32 v6, v3
	s_lshl_b64 s[30:31], s[30:31], 4
	v_lshl_or_b32 v9, v10, 7, v9
	v_mov_b32_e32 v3, v8
	s_lshl_b64 s[28:29], s[28:29], 9
	v_lshlrev_b64 v[4:5], 4, v[5:6]
	s_add_u32 s1, s28, s30
	v_add_nc_u32_e32 v29, 0x1000, v9
	s_addc_u32 s9, s29, s31
	s_lshl_b64 s[28:29], s[6:7], 9
	s_lshl_b64 s[6:7], s[38:39], 7
	v_mad_u64_u32 v[8:9], null, s25, v27, v[3:4]
	v_add_co_u32 v6, s1, s1, v4
	v_add_co_ci_u32_e64 v5, null, s9, v5, s1
	s_mul_i32 s1, s27, s8
	s_mul_hi_u32 s9, s26, s8
	s_mul_i32 s26, s26, s8
	s_add_i32 s27, s9, s1
	v_lshlrev_b64 v[3:4], 4, v[7:8]
	s_lshl_b64 s[26:27], s[26:27], 4
	v_lshlrev_b32_e32 v9, 4, v10
	s_add_u32 s1, s28, s26
	s_addc_u32 s9, s29, s27
	v_lshl_or_b32 v28, v27, 9, v11
	v_add_co_u32 v3, s1, s1, v3
	v_add_co_ci_u32_e64 v4, null, s9, v4, s1
	v_add_co_u32 v6, s1, v6, v9
	v_add_co_ci_u32_e64 v5, null, 0, v5, s1
	;; [unrolled: 2-line block ×4, first 2 shown]
	v_add_co_u32 v8, s1, s22, v3
	v_mov_b32_e32 v16, 0
	v_mov_b32_e32 v14, 0
	;; [unrolled: 1-line block ×8, first 2 shown]
	v_lshlrev_b32_e32 v30, 4, v0
	v_lshl_add_u32 v31, v1, 7, 0x1000
	v_add_co_ci_u32_e64 v9, null, s23, v4, s1
	v_mov_b32_e32 v17, 0
	v_mov_b32_e32 v15, 0
	;; [unrolled: 1-line block ×8, first 2 shown]
	s_lshl_b64 s[22:23], s[24:25], 7
	s_mov_b64 s[24:25], 0
	s_xor_b32 s1, vcc_lo, -1
	s_xor_b32 s0, s0, -1
	s_branch .LBB549_3
.LBB549_2:                              ;   in Loop: Header=BB549_3 Depth=1
	s_or_b32 exec_lo, exec_lo, s9
	s_waitcnt lgkmcnt(0)
	s_barrier
	buffer_gl0_inv
	ds_read_b128 v[32:35], v31
	ds_read_b128 v[36:39], v31 offset:16
	ds_read_b128 v[40:43], v31 offset:32
	;; [unrolled: 1-line block ×3, first 2 shown]
	ds_read_b128 v[48:51], v30
	s_add_u32 s24, s24, 8
	s_addc_u32 s25, s25, 0
	v_add_co_u32 v6, vcc_lo, v6, s6
	v_cmp_lt_i64_e64 s9, s[24:25], s[16:17]
	v_add_co_ci_u32_e64 v7, null, s7, v7, vcc_lo
	v_add_co_u32 v8, vcc_lo, v8, s22
	v_add_co_ci_u32_e64 v9, null, s23, v9, vcc_lo
	s_and_b32 vcc_lo, exec_lo, s9
	s_waitcnt lgkmcnt(0)
	v_mul_f64 v[3:4], v[34:35], v[50:51]
	v_mul_f64 v[52:53], v[32:33], v[50:51]
	v_fma_f64 v[3:4], v[32:33], v[48:49], -v[3:4]
	v_fma_f64 v[52:53], v[34:35], v[48:49], v[52:53]
	v_add_f64 v[3:4], v[22:23], v[3:4]
	v_add_f64 v[52:53], v[52:53], v[24:25]
	ds_read_b128 v[22:25], v30 offset:256
	s_waitcnt lgkmcnt(0)
	v_mul_f64 v[54:55], v[34:35], v[24:25]
	v_fma_f64 v[54:55], v[32:33], v[22:23], -v[54:55]
	v_mul_f64 v[32:33], v[32:33], v[24:25]
	v_fma_f64 v[32:33], v[34:35], v[22:23], v[32:33]
	v_add_f64 v[34:35], v[10:11], v[54:55]
	v_add_f64 v[32:33], v[32:33], v[12:13]
	ds_read_b128 v[10:13], v31 offset:2048
	s_waitcnt lgkmcnt(0)
	v_mul_f64 v[54:55], v[12:13], v[50:51]
	v_mul_f64 v[50:51], v[10:11], v[50:51]
	v_fma_f64 v[54:55], v[10:11], v[48:49], -v[54:55]
	v_fma_f64 v[48:49], v[12:13], v[48:49], v[50:51]
	v_add_f64 v[50:51], v[18:19], v[54:55]
	v_mul_f64 v[18:19], v[12:13], v[24:25]
	v_add_f64 v[48:49], v[48:49], v[20:21]
	v_fma_f64 v[18:19], v[10:11], v[22:23], -v[18:19]
	v_mul_f64 v[10:11], v[10:11], v[24:25]
	v_fma_f64 v[10:11], v[12:13], v[22:23], v[10:11]
	v_add_f64 v[22:23], v[14:15], v[18:19]
	v_add_f64 v[24:25], v[10:11], v[16:17]
	ds_read_b128 v[10:13], v30 offset:512
	s_waitcnt lgkmcnt(0)
	v_mul_f64 v[14:15], v[38:39], v[12:13]
	v_mul_f64 v[16:17], v[36:37], v[12:13]
	v_fma_f64 v[14:15], v[36:37], v[10:11], -v[14:15]
	v_fma_f64 v[16:17], v[38:39], v[10:11], v[16:17]
	v_add_f64 v[3:4], v[3:4], v[14:15]
	v_add_f64 v[52:53], v[16:17], v[52:53]
	ds_read_b128 v[14:17], v30 offset:768
	s_waitcnt lgkmcnt(0)
	v_mul_f64 v[18:19], v[38:39], v[16:17]
	v_mul_f64 v[20:21], v[36:37], v[16:17]
	v_fma_f64 v[18:19], v[36:37], v[14:15], -v[18:19]
	v_fma_f64 v[20:21], v[38:39], v[14:15], v[20:21]
	v_add_f64 v[34:35], v[34:35], v[18:19]
	v_add_f64 v[32:33], v[20:21], v[32:33]
	ds_read_b128 v[18:21], v31 offset:2064
	s_waitcnt lgkmcnt(0)
	v_mul_f64 v[36:37], v[20:21], v[12:13]
	v_mul_f64 v[12:13], v[18:19], v[12:13]
	v_fma_f64 v[36:37], v[18:19], v[10:11], -v[36:37]
	v_fma_f64 v[10:11], v[20:21], v[10:11], v[12:13]
	v_mul_f64 v[12:13], v[18:19], v[16:17]
	v_add_f64 v[36:37], v[50:51], v[36:37]
	v_add_f64 v[38:39], v[10:11], v[48:49]
	v_mul_f64 v[10:11], v[20:21], v[16:17]
	v_fma_f64 v[12:13], v[20:21], v[14:15], v[12:13]
	v_fma_f64 v[10:11], v[18:19], v[14:15], -v[10:11]
	v_add_f64 v[24:25], v[12:13], v[24:25]
	v_add_f64 v[22:23], v[22:23], v[10:11]
	ds_read_b128 v[10:13], v30 offset:1024
	s_waitcnt lgkmcnt(0)
	v_mul_f64 v[14:15], v[42:43], v[12:13]
	v_mul_f64 v[16:17], v[40:41], v[12:13]
	v_fma_f64 v[14:15], v[40:41], v[10:11], -v[14:15]
	v_fma_f64 v[16:17], v[42:43], v[10:11], v[16:17]
	v_add_f64 v[3:4], v[3:4], v[14:15]
	v_add_f64 v[48:49], v[16:17], v[52:53]
	ds_read_b128 v[14:17], v30 offset:1280
	s_waitcnt lgkmcnt(0)
	v_mul_f64 v[18:19], v[42:43], v[16:17]
	v_mul_f64 v[20:21], v[40:41], v[16:17]
	v_fma_f64 v[18:19], v[40:41], v[14:15], -v[18:19]
	v_fma_f64 v[20:21], v[42:43], v[14:15], v[20:21]
	;; [unrolled: 8-line block ×3, first 2 shown]
	v_mul_f64 v[12:13], v[18:19], v[16:17]
	v_add_f64 v[36:37], v[36:37], v[40:41]
	v_add_f64 v[38:39], v[10:11], v[38:39]
	v_mul_f64 v[10:11], v[20:21], v[16:17]
	v_fma_f64 v[12:13], v[20:21], v[14:15], v[12:13]
	v_fma_f64 v[10:11], v[18:19], v[14:15], -v[10:11]
	v_add_f64 v[24:25], v[12:13], v[24:25]
	v_add_f64 v[22:23], v[22:23], v[10:11]
	ds_read_b128 v[10:13], v30 offset:1536
	s_waitcnt lgkmcnt(0)
	v_mul_f64 v[14:15], v[46:47], v[12:13]
	v_mul_f64 v[16:17], v[44:45], v[12:13]
	v_fma_f64 v[14:15], v[44:45], v[10:11], -v[14:15]
	v_fma_f64 v[16:17], v[46:47], v[10:11], v[16:17]
	v_add_f64 v[3:4], v[3:4], v[14:15]
	v_add_f64 v[40:41], v[16:17], v[48:49]
	ds_read_b128 v[14:17], v30 offset:1792
	s_waitcnt lgkmcnt(0)
	v_mul_f64 v[18:19], v[46:47], v[16:17]
	v_mul_f64 v[20:21], v[44:45], v[16:17]
	v_fma_f64 v[18:19], v[44:45], v[14:15], -v[18:19]
	v_fma_f64 v[20:21], v[46:47], v[14:15], v[20:21]
	;; [unrolled: 8-line block ×3, first 2 shown]
	v_mul_f64 v[12:13], v[18:19], v[16:17]
	v_add_f64 v[36:37], v[36:37], v[42:43]
	v_add_f64 v[38:39], v[10:11], v[38:39]
	v_mul_f64 v[10:11], v[20:21], v[16:17]
	v_fma_f64 v[12:13], v[20:21], v[14:15], v[12:13]
	v_fma_f64 v[10:11], v[18:19], v[14:15], -v[10:11]
	v_add_f64 v[24:25], v[12:13], v[24:25]
	v_add_f64 v[22:23], v[22:23], v[10:11]
	ds_read_b128 v[10:13], v31 offset:64
	ds_read_b128 v[14:17], v30 offset:2048
	s_waitcnt lgkmcnt(0)
	v_mul_f64 v[18:19], v[12:13], v[16:17]
	v_mul_f64 v[20:21], v[10:11], v[16:17]
	v_fma_f64 v[18:19], v[10:11], v[14:15], -v[18:19]
	v_fma_f64 v[20:21], v[12:13], v[14:15], v[20:21]
	v_add_f64 v[3:4], v[3:4], v[18:19]
	v_add_f64 v[40:41], v[20:21], v[40:41]
	ds_read_b128 v[18:21], v30 offset:2304
	s_waitcnt lgkmcnt(0)
	v_mul_f64 v[42:43], v[12:13], v[20:21]
	v_fma_f64 v[42:43], v[10:11], v[18:19], -v[42:43]
	v_mul_f64 v[10:11], v[10:11], v[20:21]
	v_add_f64 v[34:35], v[34:35], v[42:43]
	v_fma_f64 v[10:11], v[12:13], v[18:19], v[10:11]
	v_add_f64 v[32:33], v[10:11], v[32:33]
	ds_read_b128 v[10:13], v31 offset:2112
	s_waitcnt lgkmcnt(0)
	v_mul_f64 v[42:43], v[12:13], v[16:17]
	v_mul_f64 v[16:17], v[10:11], v[16:17]
	v_fma_f64 v[42:43], v[10:11], v[14:15], -v[42:43]
	v_fma_f64 v[14:15], v[12:13], v[14:15], v[16:17]
	v_add_f64 v[36:37], v[36:37], v[42:43]
	v_add_f64 v[38:39], v[14:15], v[38:39]
	v_mul_f64 v[14:15], v[12:13], v[20:21]
	v_fma_f64 v[14:15], v[10:11], v[18:19], -v[14:15]
	v_mul_f64 v[10:11], v[10:11], v[20:21]
	v_add_f64 v[22:23], v[22:23], v[14:15]
	v_fma_f64 v[10:11], v[12:13], v[18:19], v[10:11]
	v_add_f64 v[24:25], v[10:11], v[24:25]
	ds_read_b128 v[10:13], v31 offset:80
	ds_read_b128 v[14:17], v30 offset:2560
	s_waitcnt lgkmcnt(0)
	v_mul_f64 v[18:19], v[12:13], v[16:17]
	v_mul_f64 v[20:21], v[10:11], v[16:17]
	v_fma_f64 v[18:19], v[10:11], v[14:15], -v[18:19]
	v_fma_f64 v[20:21], v[12:13], v[14:15], v[20:21]
	v_add_f64 v[3:4], v[3:4], v[18:19]
	v_add_f64 v[40:41], v[20:21], v[40:41]
	ds_read_b128 v[18:21], v30 offset:2816
	s_waitcnt lgkmcnt(0)
	v_mul_f64 v[42:43], v[12:13], v[20:21]
	v_fma_f64 v[42:43], v[10:11], v[18:19], -v[42:43]
	v_mul_f64 v[10:11], v[10:11], v[20:21]
	v_add_f64 v[34:35], v[34:35], v[42:43]
	v_fma_f64 v[10:11], v[12:13], v[18:19], v[10:11]
	v_add_f64 v[32:33], v[10:11], v[32:33]
	ds_read_b128 v[10:13], v31 offset:2128
	s_waitcnt lgkmcnt(0)
	v_mul_f64 v[42:43], v[12:13], v[16:17]
	v_mul_f64 v[16:17], v[10:11], v[16:17]
	v_fma_f64 v[42:43], v[10:11], v[14:15], -v[42:43]
	v_fma_f64 v[14:15], v[12:13], v[14:15], v[16:17]
	v_add_f64 v[36:37], v[36:37], v[42:43]
	v_add_f64 v[38:39], v[14:15], v[38:39]
	v_mul_f64 v[14:15], v[12:13], v[20:21]
	v_fma_f64 v[14:15], v[10:11], v[18:19], -v[14:15]
	v_mul_f64 v[10:11], v[10:11], v[20:21]
	v_add_f64 v[22:23], v[22:23], v[14:15]
	v_fma_f64 v[10:11], v[12:13], v[18:19], v[10:11]
	;; [unrolled: 31-line block ×3, first 2 shown]
	v_add_f64 v[52:53], v[10:11], v[24:25]
	ds_read_b128 v[10:13], v31 offset:112
	ds_read_b128 v[14:17], v30 offset:3584
	;; [unrolled: 1-line block ×4, first 2 shown]
	s_waitcnt lgkmcnt(0)
	s_barrier
	buffer_gl0_inv
	v_mul_f64 v[18:19], v[12:13], v[16:17]
	v_mul_f64 v[20:21], v[10:11], v[16:17]
	v_fma_f64 v[18:19], v[10:11], v[14:15], -v[18:19]
	v_fma_f64 v[20:21], v[12:13], v[14:15], v[20:21]
	v_add_f64 v[22:23], v[3:4], v[18:19]
	v_mul_f64 v[3:4], v[12:13], v[34:35]
	v_add_f64 v[24:25], v[20:21], v[40:41]
	v_fma_f64 v[3:4], v[10:11], v[32:33], -v[3:4]
	v_mul_f64 v[10:11], v[10:11], v[34:35]
	v_fma_f64 v[12:13], v[12:13], v[32:33], v[10:11]
	v_add_f64 v[10:11], v[42:43], v[3:4]
	v_mul_f64 v[3:4], v[38:39], v[16:17]
	v_mul_f64 v[16:17], v[36:37], v[16:17]
	v_add_f64 v[12:13], v[12:13], v[44:45]
	v_fma_f64 v[3:4], v[36:37], v[14:15], -v[3:4]
	v_fma_f64 v[14:15], v[38:39], v[14:15], v[16:17]
	v_add_f64 v[18:19], v[46:47], v[3:4]
	v_add_f64 v[20:21], v[14:15], v[48:49]
	v_mul_f64 v[3:4], v[38:39], v[34:35]
	v_mul_f64 v[14:15], v[36:37], v[34:35]
	v_fma_f64 v[3:4], v[36:37], v[32:33], -v[3:4]
	v_fma_f64 v[16:17], v[38:39], v[32:33], v[14:15]
	v_add_f64 v[14:15], v[50:51], v[3:4]
	v_add_f64 v[16:17], v[16:17], v[52:53]
	s_cbranch_vccz .LBB549_12
.LBB549_3:                              ; =>This Inner Loop Header: Depth=1
	v_add_co_u32 v3, s9, v27, s24
	v_add_co_ci_u32_e64 v4, null, 0, s25, s9
	v_cmp_le_i64_e32 vcc_lo, s[16:17], v[3:4]
	s_or_b32 s9, s1, vcc_lo
	s_and_saveexec_b32 s26, s9
	s_xor_b32 s9, exec_lo, s26
	s_cbranch_execz .LBB549_5
; %bb.4:                                ;   in Loop: Header=BB549_3 Depth=1
	v_mov_b32_e32 v3, v2
	v_mov_b32_e32 v4, v2
	v_mov_b32_e32 v5, v2
	ds_write_b128 v28, v[2:5]
.LBB549_5:                              ;   in Loop: Header=BB549_3 Depth=1
	s_andn2_saveexec_b32 s9, s9
	s_cbranch_execz .LBB549_7
; %bb.6:                                ;   in Loop: Header=BB549_3 Depth=1
	global_load_dwordx4 v[32:35], v[8:9], off
	s_waitcnt vmcnt(0)
	ds_write2_b64 v28, v[32:33], v[34:35] offset1:1
.LBB549_7:                              ;   in Loop: Header=BB549_3 Depth=1
	s_or_b32 exec_lo, exec_lo, s9
	v_add_co_u32 v3, s9, v26, s24
	v_add_co_ci_u32_e64 v4, null, 0, s25, s9
	v_cmp_le_i64_e32 vcc_lo, s[16:17], v[3:4]
	s_or_b32 s9, vcc_lo, s0
	s_and_saveexec_b32 s26, s9
	s_xor_b32 s9, exec_lo, s26
	s_cbranch_execz .LBB549_9
; %bb.8:                                ;   in Loop: Header=BB549_3 Depth=1
	v_mov_b32_e32 v3, v2
	v_mov_b32_e32 v4, v2
	;; [unrolled: 1-line block ×3, first 2 shown]
	ds_write_b128 v29, v[2:5]
.LBB549_9:                              ;   in Loop: Header=BB549_3 Depth=1
	s_andn2_saveexec_b32 s9, s9
	s_cbranch_execz .LBB549_2
; %bb.10:                               ;   in Loop: Header=BB549_3 Depth=1
	global_load_dwordx4 v[32:35], v[6:7], off
	s_waitcnt vmcnt(0)
	ds_write2_b64 v29, v[32:33], v[34:35] offset1:1
	s_branch .LBB549_2
.LBB549_11:
	v_mov_b32_e32 v22, 0
	v_mov_b32_e32 v24, 0
	v_mov_b32_e32 v10, 0
	v_mov_b32_e32 v12, 0
	v_mov_b32_e32 v18, 0
	v_mov_b32_e32 v20, 0
	v_mov_b32_e32 v14, 0
	v_mov_b32_e32 v16, 0
	v_mov_b32_e32 v23, 0
	v_mov_b32_e32 v25, 0
	v_mov_b32_e32 v11, 0
	v_mov_b32_e32 v13, 0
	v_mov_b32_e32 v19, 0
	v_mov_b32_e32 v21, 0
	v_mov_b32_e32 v15, 0
	v_mov_b32_e32 v17, 0
.LBB549_12:
	s_clause 0x1
	s_load_dwordx2 s[0:1], s[4:5], 0x90
	s_load_dwordx4 s[4:7], s[4:5], 0x80
	v_cmp_neq_f64_e64 s9, s[42:43], 0
	v_cmp_neq_f64_e64 s16, s[44:45], 0
	v_add_co_u32 v1, s2, s2, v1
	v_add_co_ci_u32_e64 v2, null, s3, 0, s2
	s_waitcnt lgkmcnt(0)
	s_mul_i32 s1, s1, s8
	s_mul_hi_u32 s17, s0, s8
	s_mul_i32 s0, s0, s8
	s_add_i32 s1, s17, s1
	s_lshl_b64 s[0:1], s[0:1], 4
	s_add_u32 s3, s4, s0
	v_cmp_gt_i64_e64 s0, s[14:15], v[1:2]
	s_addc_u32 s4, s5, s1
	s_or_b32 s1, s9, s16
	s_and_b32 vcc_lo, exec_lo, s1
	s_mov_b32 s1, -1
	s_cbranch_vccnz .LBB549_24
; %bb.13:
	s_and_saveexec_b32 s5, s0
	s_cbranch_execz .LBB549_23
; %bb.14:
	v_mul_lo_u32 v5, v2, s6
	v_mul_lo_u32 v6, v1, s7
	v_mad_u64_u32 v[3:4], null, v1, s6, 0
	v_add3_u32 v4, v4, v6, v5
	v_add_co_u32 v5, s1, s10, v0
	v_add_co_ci_u32_e64 v6, null, s11, 0, s1
	v_lshlrev_b64 v[7:8], 4, v[3:4]
	v_cmp_gt_i64_e32 vcc_lo, s[12:13], v[5:6]
	v_lshlrev_b64 v[3:4], 4, v[5:6]
	v_add_co_u32 v7, s1, s3, v7
	v_add_co_ci_u32_e64 v8, null, s4, v8, s1
	s_and_saveexec_b32 s2, vcc_lo
	s_cbranch_execz .LBB549_16
; %bb.15:
	v_mul_f64 v[26:27], s[20:21], v[24:25]
	v_mul_f64 v[28:29], s[18:19], v[24:25]
	v_add_co_u32 v30, s1, v7, v3
	v_add_co_ci_u32_e64 v31, null, v8, v4, s1
	v_fma_f64 v[26:27], s[18:19], v[22:23], -v[26:27]
	v_fma_f64 v[28:29], s[20:21], v[22:23], v[28:29]
	global_store_dwordx4 v[30:31], v[26:29], off
.LBB549_16:
	s_or_b32 exec_lo, exec_lo, s2
	v_add_co_u32 v5, s1, v5, 16
	v_add_co_ci_u32_e64 v6, null, 0, v6, s1
	v_cmp_gt_i64_e64 s1, s[12:13], v[5:6]
	s_and_saveexec_b32 s9, s1
	s_cbranch_execz .LBB549_18
; %bb.17:
	v_mul_f64 v[5:6], s[20:21], v[12:13]
	v_mul_f64 v[28:29], s[18:19], v[12:13]
	v_fma_f64 v[26:27], s[18:19], v[10:11], -v[5:6]
	v_fma_f64 v[28:29], s[20:21], v[10:11], v[28:29]
	v_add_co_u32 v5, s2, v7, v3
	v_add_co_ci_u32_e64 v6, null, v8, v4, s2
	global_store_dwordx4 v[5:6], v[26:29], off offset:256
.LBB549_18:
	s_or_b32 exec_lo, exec_lo, s9
	v_add_co_u32 v5, s2, v1, 16
	v_add_co_ci_u32_e64 v6, null, 0, v2, s2
	v_cmp_gt_i64_e64 s2, s[14:15], v[5:6]
	s_and_b32 exec_lo, exec_lo, s2
	s_cbranch_execz .LBB549_23
; %bb.19:
	s_lshl_b64 s[16:17], s[6:7], 8
	v_add_co_u32 v5, s2, v7, s16
	v_add_co_ci_u32_e64 v6, null, s17, v8, s2
	v_add_co_u32 v3, s2, v5, v3
	v_add_co_ci_u32_e64 v4, null, v6, v4, s2
	s_and_saveexec_b32 s2, vcc_lo
	s_cbranch_execz .LBB549_21
; %bb.20:
	v_mul_f64 v[5:6], s[20:21], v[20:21]
	v_mul_f64 v[7:8], s[18:19], v[20:21]
	v_fma_f64 v[5:6], s[18:19], v[18:19], -v[5:6]
	v_fma_f64 v[7:8], s[20:21], v[18:19], v[7:8]
	global_store_dwordx4 v[3:4], v[5:8], off
.LBB549_21:
	s_or_b32 exec_lo, exec_lo, s2
	s_and_b32 exec_lo, exec_lo, s1
	s_cbranch_execz .LBB549_23
; %bb.22:
	v_mul_f64 v[5:6], s[20:21], v[16:17]
	v_mul_f64 v[7:8], s[18:19], v[16:17]
	v_fma_f64 v[5:6], s[18:19], v[14:15], -v[5:6]
	v_fma_f64 v[7:8], s[20:21], v[14:15], v[7:8]
	global_store_dwordx4 v[3:4], v[5:8], off offset:256
.LBB549_23:
	s_or_b32 exec_lo, exec_lo, s5
	s_mov_b32 s1, 0
.LBB549_24:
	s_andn2_b32 vcc_lo, exec_lo, s1
	s_cbranch_vccnz .LBB549_35
; %bb.25:
	s_and_saveexec_b32 s1, s0
	s_cbranch_execz .LBB549_35
; %bb.26:
	v_mul_lo_u32 v5, v2, s48
	v_mul_lo_u32 v6, v1, s49
	v_mad_u64_u32 v[3:4], null, v1, s48, 0
	v_mul_lo_u32 v9, v2, s6
	v_mul_lo_u32 v26, v1, s7
	v_mad_u64_u32 v[7:8], null, v1, s6, 0
	s_mul_i32 s0, s51, s8
	s_mul_hi_u32 s1, s50, s8
	v_add3_u32 v4, v4, v6, v5
	s_add_i32 s1, s1, s0
	s_mul_i32 s0, s50, s8
	v_add_co_u32 v5, s2, s10, v0
	v_add3_u32 v8, v8, v26, v9
	v_lshlrev_b64 v[3:4], 4, v[3:4]
	s_lshl_b64 s[0:1], s[0:1], 4
	v_add_co_ci_u32_e64 v6, null, s11, 0, s2
	v_lshlrev_b64 v[8:9], 4, v[7:8]
	s_add_u32 s0, s46, s0
	s_addc_u32 s1, s47, s1
	v_add_co_u32 v0, s0, s0, v3
	v_add_co_ci_u32_e64 v7, null, s1, v4, s0
	v_add_co_u32 v8, s0, s3, v8
	v_cmp_gt_i64_e32 vcc_lo, s[12:13], v[5:6]
	v_lshlrev_b64 v[3:4], 4, v[5:6]
	v_add_co_ci_u32_e64 v9, null, s4, v9, s0
	s_and_saveexec_b32 s1, vcc_lo
	s_cbranch_execz .LBB549_28
; %bb.27:
	v_add_co_u32 v26, s0, v0, v3
	v_add_co_ci_u32_e64 v27, null, v7, v4, s0
	v_mul_f64 v[30:31], s[20:21], v[24:25]
	v_mul_f64 v[24:25], s[18:19], v[24:25]
	global_load_dwordx4 v[26:29], v[26:27], off
	v_fma_f64 v[30:31], s[18:19], v[22:23], -v[30:31]
	v_fma_f64 v[24:25], s[20:21], v[22:23], v[24:25]
	s_waitcnt vmcnt(0)
	v_mul_f64 v[32:33], s[44:45], v[28:29]
	v_mul_f64 v[28:29], s[42:43], v[28:29]
	v_fma_f64 v[22:23], s[42:43], v[26:27], -v[32:33]
	v_fma_f64 v[26:27], s[44:45], v[26:27], v[28:29]
	v_add_f64 v[22:23], v[30:31], v[22:23]
	v_add_f64 v[24:25], v[24:25], v[26:27]
	v_add_co_u32 v26, s0, v8, v3
	v_add_co_ci_u32_e64 v27, null, v9, v4, s0
	global_store_dwordx4 v[26:27], v[22:25], off
.LBB549_28:
	s_or_b32 exec_lo, exec_lo, s1
	v_add_co_u32 v5, s0, v5, 16
	v_add_co_ci_u32_e64 v6, null, 0, v6, s0
	v_cmp_gt_i64_e64 s0, s[12:13], v[5:6]
	s_and_saveexec_b32 s2, s0
	s_cbranch_execz .LBB549_30
; %bb.29:
	v_add_co_u32 v5, s1, v0, v3
	v_add_co_ci_u32_e64 v6, null, v7, v4, s1
	global_load_dwordx4 v[22:25], v[5:6], off offset:256
	v_mul_f64 v[5:6], s[20:21], v[12:13]
	v_mul_f64 v[12:13], s[18:19], v[12:13]
	v_fma_f64 v[5:6], s[18:19], v[10:11], -v[5:6]
	v_fma_f64 v[12:13], s[20:21], v[10:11], v[12:13]
	s_waitcnt vmcnt(0)
	v_mul_f64 v[26:27], s[44:45], v[24:25]
	v_mul_f64 v[24:25], s[42:43], v[24:25]
	v_fma_f64 v[10:11], s[42:43], v[22:23], -v[26:27]
	v_fma_f64 v[22:23], s[44:45], v[22:23], v[24:25]
	v_add_f64 v[10:11], v[5:6], v[10:11]
	v_add_f64 v[12:13], v[12:13], v[22:23]
	v_add_co_u32 v5, s1, v8, v3
	v_add_co_ci_u32_e64 v6, null, v9, v4, s1
	global_store_dwordx4 v[5:6], v[10:13], off offset:256
.LBB549_30:
	s_or_b32 exec_lo, exec_lo, s2
	v_add_co_u32 v1, s1, v1, 16
	v_add_co_ci_u32_e64 v2, null, 0, v2, s1
	v_cmp_gt_i64_e64 s1, s[14:15], v[1:2]
	s_and_b32 exec_lo, exec_lo, s1
	s_cbranch_execz .LBB549_35
; %bb.31:
	s_lshl_b64 s[2:3], s[48:49], 8
	v_add_co_u32 v0, s1, v0, s2
	v_add_co_ci_u32_e64 v1, null, s3, v7, s1
	s_lshl_b64 s[2:3], s[6:7], 8
	v_add_co_u32 v2, s1, v8, s2
	v_add_co_ci_u32_e64 v7, null, s3, v9, s1
	v_add_co_u32 v5, s1, v0, v3
	v_add_co_ci_u32_e64 v6, null, v1, v4, s1
	v_add_co_u32 v0, s1, v2, v3
	v_add_co_ci_u32_e64 v1, null, v7, v4, s1
	s_and_saveexec_b32 s1, vcc_lo
	s_cbranch_execz .LBB549_33
; %bb.32:
	global_load_dwordx4 v[7:10], v[5:6], off
	v_mul_f64 v[2:3], s[20:21], v[20:21]
	v_mul_f64 v[11:12], s[18:19], v[20:21]
	v_fma_f64 v[2:3], s[18:19], v[18:19], -v[2:3]
	v_fma_f64 v[11:12], s[20:21], v[18:19], v[11:12]
	s_waitcnt vmcnt(0)
	v_mul_f64 v[20:21], s[44:45], v[9:10]
	v_mul_f64 v[9:10], s[42:43], v[9:10]
	v_fma_f64 v[18:19], s[42:43], v[7:8], -v[20:21]
	v_fma_f64 v[9:10], s[44:45], v[7:8], v[9:10]
	v_add_f64 v[7:8], v[2:3], v[18:19]
	v_add_f64 v[9:10], v[11:12], v[9:10]
	global_store_dwordx4 v[0:1], v[7:10], off
.LBB549_33:
	s_or_b32 exec_lo, exec_lo, s1
	s_and_b32 exec_lo, exec_lo, s0
	s_cbranch_execz .LBB549_35
; %bb.34:
	global_load_dwordx4 v[2:5], v[5:6], off offset:256
	v_mul_f64 v[6:7], s[20:21], v[16:17]
	v_mul_f64 v[8:9], s[18:19], v[16:17]
	v_fma_f64 v[6:7], s[18:19], v[14:15], -v[6:7]
	v_fma_f64 v[8:9], s[20:21], v[14:15], v[8:9]
	s_waitcnt vmcnt(0)
	v_mul_f64 v[10:11], s[44:45], v[4:5]
	v_mul_f64 v[4:5], s[42:43], v[4:5]
	v_fma_f64 v[10:11], s[42:43], v[2:3], -v[10:11]
	v_fma_f64 v[4:5], s[44:45], v[2:3], v[4:5]
	v_add_f64 v[2:3], v[6:7], v[10:11]
	v_add_f64 v[4:5], v[8:9], v[4:5]
	global_store_dwordx4 v[0:1], v[2:5], off offset:256
.LBB549_35:
	s_endpgm
	.section	.rodata,"a",@progbits
	.p2align	6, 0x0
	.amdhsa_kernel _ZN12_GLOBAL__N_135rocblas_gemm_batched_general_kernelI19rocblas_complex_numIdELi16ELi16ELi32ELi32ELi8ELi32ELi8ELi8ELi32ELc78ELc84EKS2_S3_S2_EEvlllT_PT11_llS6_llS4_PT12_llPT13_lli
		.amdhsa_group_segment_fixed_size 8192
		.amdhsa_private_segment_fixed_size 0
		.amdhsa_kernarg_size 156
		.amdhsa_user_sgpr_count 6
		.amdhsa_user_sgpr_private_segment_buffer 1
		.amdhsa_user_sgpr_dispatch_ptr 0
		.amdhsa_user_sgpr_queue_ptr 0
		.amdhsa_user_sgpr_kernarg_segment_ptr 1
		.amdhsa_user_sgpr_dispatch_id 0
		.amdhsa_user_sgpr_flat_scratch_init 0
		.amdhsa_user_sgpr_private_segment_size 0
		.amdhsa_wavefront_size32 1
		.amdhsa_uses_dynamic_stack 0
		.amdhsa_system_sgpr_private_segment_wavefront_offset 0
		.amdhsa_system_sgpr_workgroup_id_x 1
		.amdhsa_system_sgpr_workgroup_id_y 1
		.amdhsa_system_sgpr_workgroup_id_z 1
		.amdhsa_system_sgpr_workgroup_info 0
		.amdhsa_system_vgpr_workitem_id 1
		.amdhsa_next_free_vgpr 56
		.amdhsa_next_free_sgpr 52
		.amdhsa_reserve_vcc 1
		.amdhsa_reserve_flat_scratch 0
		.amdhsa_float_round_mode_32 0
		.amdhsa_float_round_mode_16_64 0
		.amdhsa_float_denorm_mode_32 3
		.amdhsa_float_denorm_mode_16_64 3
		.amdhsa_dx10_clamp 1
		.amdhsa_ieee_mode 1
		.amdhsa_fp16_overflow 0
		.amdhsa_workgroup_processor_mode 1
		.amdhsa_memory_ordered 1
		.amdhsa_forward_progress 1
		.amdhsa_shared_vgpr_count 0
		.amdhsa_exception_fp_ieee_invalid_op 0
		.amdhsa_exception_fp_denorm_src 0
		.amdhsa_exception_fp_ieee_div_zero 0
		.amdhsa_exception_fp_ieee_overflow 0
		.amdhsa_exception_fp_ieee_underflow 0
		.amdhsa_exception_fp_ieee_inexact 0
		.amdhsa_exception_int_div_zero 0
	.end_amdhsa_kernel
	.section	.text._ZN12_GLOBAL__N_135rocblas_gemm_batched_general_kernelI19rocblas_complex_numIdELi16ELi16ELi32ELi32ELi8ELi32ELi8ELi8ELi32ELc78ELc84EKS2_S3_S2_EEvlllT_PT11_llS6_llS4_PT12_llPT13_lli,"axG",@progbits,_ZN12_GLOBAL__N_135rocblas_gemm_batched_general_kernelI19rocblas_complex_numIdELi16ELi16ELi32ELi32ELi8ELi32ELi8ELi8ELi32ELc78ELc84EKS2_S3_S2_EEvlllT_PT11_llS6_llS4_PT12_llPT13_lli,comdat
.Lfunc_end549:
	.size	_ZN12_GLOBAL__N_135rocblas_gemm_batched_general_kernelI19rocblas_complex_numIdELi16ELi16ELi32ELi32ELi8ELi32ELi8ELi8ELi32ELc78ELc84EKS2_S3_S2_EEvlllT_PT11_llS6_llS4_PT12_llPT13_lli, .Lfunc_end549-_ZN12_GLOBAL__N_135rocblas_gemm_batched_general_kernelI19rocblas_complex_numIdELi16ELi16ELi32ELi32ELi8ELi32ELi8ELi8ELi32ELc78ELc84EKS2_S3_S2_EEvlllT_PT11_llS6_llS4_PT12_llPT13_lli
                                        ; -- End function
	.set _ZN12_GLOBAL__N_135rocblas_gemm_batched_general_kernelI19rocblas_complex_numIdELi16ELi16ELi32ELi32ELi8ELi32ELi8ELi8ELi32ELc78ELc84EKS2_S3_S2_EEvlllT_PT11_llS6_llS4_PT12_llPT13_lli.num_vgpr, 56
	.set _ZN12_GLOBAL__N_135rocblas_gemm_batched_general_kernelI19rocblas_complex_numIdELi16ELi16ELi32ELi32ELi8ELi32ELi8ELi8ELi32ELc78ELc84EKS2_S3_S2_EEvlllT_PT11_llS6_llS4_PT12_llPT13_lli.num_agpr, 0
	.set _ZN12_GLOBAL__N_135rocblas_gemm_batched_general_kernelI19rocblas_complex_numIdELi16ELi16ELi32ELi32ELi8ELi32ELi8ELi8ELi32ELc78ELc84EKS2_S3_S2_EEvlllT_PT11_llS6_llS4_PT12_llPT13_lli.numbered_sgpr, 52
	.set _ZN12_GLOBAL__N_135rocblas_gemm_batched_general_kernelI19rocblas_complex_numIdELi16ELi16ELi32ELi32ELi8ELi32ELi8ELi8ELi32ELc78ELc84EKS2_S3_S2_EEvlllT_PT11_llS6_llS4_PT12_llPT13_lli.num_named_barrier, 0
	.set _ZN12_GLOBAL__N_135rocblas_gemm_batched_general_kernelI19rocblas_complex_numIdELi16ELi16ELi32ELi32ELi8ELi32ELi8ELi8ELi32ELc78ELc84EKS2_S3_S2_EEvlllT_PT11_llS6_llS4_PT12_llPT13_lli.private_seg_size, 0
	.set _ZN12_GLOBAL__N_135rocblas_gemm_batched_general_kernelI19rocblas_complex_numIdELi16ELi16ELi32ELi32ELi8ELi32ELi8ELi8ELi32ELc78ELc84EKS2_S3_S2_EEvlllT_PT11_llS6_llS4_PT12_llPT13_lli.uses_vcc, 1
	.set _ZN12_GLOBAL__N_135rocblas_gemm_batched_general_kernelI19rocblas_complex_numIdELi16ELi16ELi32ELi32ELi8ELi32ELi8ELi8ELi32ELc78ELc84EKS2_S3_S2_EEvlllT_PT11_llS6_llS4_PT12_llPT13_lli.uses_flat_scratch, 0
	.set _ZN12_GLOBAL__N_135rocblas_gemm_batched_general_kernelI19rocblas_complex_numIdELi16ELi16ELi32ELi32ELi8ELi32ELi8ELi8ELi32ELc78ELc84EKS2_S3_S2_EEvlllT_PT11_llS6_llS4_PT12_llPT13_lli.has_dyn_sized_stack, 0
	.set _ZN12_GLOBAL__N_135rocblas_gemm_batched_general_kernelI19rocblas_complex_numIdELi16ELi16ELi32ELi32ELi8ELi32ELi8ELi8ELi32ELc78ELc84EKS2_S3_S2_EEvlllT_PT11_llS6_llS4_PT12_llPT13_lli.has_recursion, 0
	.set _ZN12_GLOBAL__N_135rocblas_gemm_batched_general_kernelI19rocblas_complex_numIdELi16ELi16ELi32ELi32ELi8ELi32ELi8ELi8ELi32ELc78ELc84EKS2_S3_S2_EEvlllT_PT11_llS6_llS4_PT12_llPT13_lli.has_indirect_call, 0
	.section	.AMDGPU.csdata,"",@progbits
; Kernel info:
; codeLenInByte = 4048
; TotalNumSgprs: 54
; NumVgprs: 56
; ScratchSize: 0
; MemoryBound: 0
; FloatMode: 240
; IeeeMode: 1
; LDSByteSize: 8192 bytes/workgroup (compile time only)
; SGPRBlocks: 0
; VGPRBlocks: 6
; NumSGPRsForWavesPerEU: 54
; NumVGPRsForWavesPerEU: 56
; Occupancy: 16
; WaveLimiterHint : 0
; COMPUTE_PGM_RSRC2:SCRATCH_EN: 0
; COMPUTE_PGM_RSRC2:USER_SGPR: 6
; COMPUTE_PGM_RSRC2:TRAP_HANDLER: 0
; COMPUTE_PGM_RSRC2:TGID_X_EN: 1
; COMPUTE_PGM_RSRC2:TGID_Y_EN: 1
; COMPUTE_PGM_RSRC2:TGID_Z_EN: 1
; COMPUTE_PGM_RSRC2:TIDIG_COMP_CNT: 1
	.section	.text._ZN12_GLOBAL__N_135rocblas_gemm_batched_general_kernelI19rocblas_complex_numIdELi16ELi16ELi32ELi32ELi8ELi32ELi8ELi8ELi32ELc84ELc84EKS2_S3_S2_EEvlllT_PT11_llS6_llS4_PT12_llPT13_lli,"axG",@progbits,_ZN12_GLOBAL__N_135rocblas_gemm_batched_general_kernelI19rocblas_complex_numIdELi16ELi16ELi32ELi32ELi8ELi32ELi8ELi8ELi32ELc84ELc84EKS2_S3_S2_EEvlllT_PT11_llS6_llS4_PT12_llPT13_lli,comdat
	.globl	_ZN12_GLOBAL__N_135rocblas_gemm_batched_general_kernelI19rocblas_complex_numIdELi16ELi16ELi32ELi32ELi8ELi32ELi8ELi8ELi32ELc84ELc84EKS2_S3_S2_EEvlllT_PT11_llS6_llS4_PT12_llPT13_lli ; -- Begin function _ZN12_GLOBAL__N_135rocblas_gemm_batched_general_kernelI19rocblas_complex_numIdELi16ELi16ELi32ELi32ELi8ELi32ELi8ELi8ELi32ELc84ELc84EKS2_S3_S2_EEvlllT_PT11_llS6_llS4_PT12_llPT13_lli
	.p2align	8
	.type	_ZN12_GLOBAL__N_135rocblas_gemm_batched_general_kernelI19rocblas_complex_numIdELi16ELi16ELi32ELi32ELi8ELi32ELi8ELi8ELi32ELc84ELc84EKS2_S3_S2_EEvlllT_PT11_llS6_llS4_PT12_llPT13_lli,@function
_ZN12_GLOBAL__N_135rocblas_gemm_batched_general_kernelI19rocblas_complex_numIdELi16ELi16ELi32ELi32ELi8ELi32ELi8ELi8ELi32ELc84ELc84EKS2_S3_S2_EEvlllT_PT11_llS6_llS4_PT12_llPT13_lli: ; @_ZN12_GLOBAL__N_135rocblas_gemm_batched_general_kernelI19rocblas_complex_numIdELi16ELi16ELi32ELi32ELi8ELi32ELi8ELi8ELi32ELc84ELc84EKS2_S3_S2_EEvlllT_PT11_llS6_llS4_PT12_llPT13_lli
; %bb.0:
	s_clause 0x1
	s_load_dwordx16 s[12:27], s[4:5], 0x0
	s_load_dwordx16 s[36:51], s[4:5], 0x40
	s_mov_b32 s28, s7
	v_mov_b32_e32 v2, 0
	s_ashr_i32 s7, s6, 31
	s_ashr_i32 s29, s28, 31
	s_lshl_b64 s[10:11], s[6:7], 5
	s_lshl_b64 s[2:3], s[28:29], 5
	s_waitcnt lgkmcnt(0)
	v_cmp_lt_i64_e64 s0, s[16:17], 1
	s_and_b32 vcc_lo, exec_lo, s0
	s_cbranch_vccnz .LBB550_11
; %bb.1:
	v_lshl_add_u32 v3, v1, 4, v0
	v_and_b32_e32 v26, 7, v0
	v_mov_b32_e32 v4, s11
	s_mul_i32 s1, s41, s8
	s_mul_hi_u32 s6, s40, s8
	v_and_b32_e32 v9, 31, v3
	v_mad_u64_u32 v[5:6], null, s38, v26, 0
	v_lshrrev_b32_e32 v27, 5, v3
	v_lshrrev_b32_e32 v10, 3, v3
	v_or_b32_e32 v3, s10, v9
	v_lshlrev_b32_e32 v11, 4, v26
	s_add_i32 s7, s6, s1
	v_lshlrev_b32_e32 v12, 4, v9
	v_add_co_u32 v7, s0, v10, s2
	v_cmp_gt_i64_e32 vcc_lo, s[12:13], v[3:4]
	v_mov_b32_e32 v3, v6
	v_add_co_ci_u32_e64 v8, null, 0, s3, s0
	v_lshl_or_b32 v6, v10, 7, v11
	s_mul_i32 s6, s40, s8
	v_mad_u64_u32 v[3:4], null, s39, v26, v[3:4]
	v_cmp_gt_i64_e64 s0, s[14:15], v[7:8]
	v_add_co_u32 v7, s1, s10, v9
	v_add_nc_u32_e32 v29, 0x1000, v6
	v_add_co_ci_u32_e64 v8, null, s11, 0, s1
	v_mov_b32_e32 v6, v3
	v_mul_lo_u32 v9, s25, v7
	s_lshl_b64 s[6:7], s[6:7], 4
	v_mul_lo_u32 v8, s24, v8
	s_lshl_b64 s[28:29], s[28:29], 9
	v_lshlrev_b64 v[3:4], 4, v[5:6]
	v_mad_u64_u32 v[5:6], null, s24, v7, 0
	s_add_u32 s1, s28, s6
	s_addc_u32 s6, s29, s7
	v_lshlrev_b32_e32 v7, 4, v10
	v_add_co_u32 v3, s1, s1, v3
	v_add_co_ci_u32_e64 v4, null, s6, v4, s1
	v_add3_u32 v6, v6, v8, v9
	v_add_co_u32 v7, s1, v3, v7
	v_add_co_ci_u32_e64 v8, null, 0, v4, s1
	s_mul_i32 s1, s27, s8
	s_mul_hi_u32 s6, s26, s8
	v_lshlrev_b64 v[3:4], 4, v[5:6]
	s_add_i32 s7, s6, s1
	s_mul_i32 s6, s26, s8
	v_add_co_u32 v6, s1, s36, v7
	s_lshl_b64 s[6:7], s[6:7], 4
	v_add_co_ci_u32_e64 v7, null, s37, v8, s1
	v_lshlrev_b32_e32 v5, 4, v27
	v_add_co_u32 v3, s1, v3, s6
	v_add_co_ci_u32_e64 v4, null, s7, v4, s1
	v_lshl_or_b32 v28, v27, 9, v12
	v_add_co_u32 v3, s1, v3, v5
	v_add_co_ci_u32_e64 v4, null, 0, v4, s1
	v_mov_b32_e32 v16, 0
	v_add_co_u32 v8, s1, s22, v3
	v_mov_b32_e32 v14, 0
	v_mov_b32_e32 v20, 0
	;; [unrolled: 1-line block ×7, first 2 shown]
	v_lshlrev_b32_e32 v30, 4, v0
	v_lshl_add_u32 v31, v1, 7, 0x1000
	v_mov_b32_e32 v17, 0
	v_mov_b32_e32 v15, 0
	;; [unrolled: 1-line block ×8, first 2 shown]
	v_add_co_ci_u32_e64 v9, null, s23, v4, s1
	s_lshl_b64 s[6:7], s[38:39], 7
	s_mov_b64 s[22:23], 0
	s_xor_b32 s1, vcc_lo, -1
	s_xor_b32 s0, s0, -1
	s_branch .LBB550_3
.LBB550_2:                              ;   in Loop: Header=BB550_3 Depth=1
	s_or_b32 exec_lo, exec_lo, s9
	s_waitcnt lgkmcnt(0)
	s_barrier
	buffer_gl0_inv
	ds_read_b128 v[32:35], v31
	ds_read_b128 v[36:39], v31 offset:16
	ds_read_b128 v[40:43], v31 offset:32
	ds_read_b128 v[44:47], v31 offset:48
	ds_read_b128 v[48:51], v30
	s_add_u32 s22, s22, 8
	s_addc_u32 s23, s23, 0
	v_add_co_u32 v6, vcc_lo, v6, s6
	v_cmp_lt_i64_e64 s9, s[22:23], s[16:17]
	v_add_co_ci_u32_e64 v7, null, s7, v7, vcc_lo
	v_add_co_u32 v8, vcc_lo, 0x80, v8
	v_add_co_ci_u32_e64 v9, null, 0, v9, vcc_lo
	s_and_b32 vcc_lo, exec_lo, s9
	s_waitcnt lgkmcnt(0)
	v_mul_f64 v[3:4], v[34:35], v[50:51]
	v_mul_f64 v[52:53], v[32:33], v[50:51]
	v_fma_f64 v[3:4], v[32:33], v[48:49], -v[3:4]
	v_fma_f64 v[52:53], v[34:35], v[48:49], v[52:53]
	v_add_f64 v[3:4], v[22:23], v[3:4]
	v_add_f64 v[52:53], v[52:53], v[24:25]
	ds_read_b128 v[22:25], v30 offset:256
	s_waitcnt lgkmcnt(0)
	v_mul_f64 v[54:55], v[34:35], v[24:25]
	v_fma_f64 v[54:55], v[32:33], v[22:23], -v[54:55]
	v_mul_f64 v[32:33], v[32:33], v[24:25]
	v_fma_f64 v[32:33], v[34:35], v[22:23], v[32:33]
	v_add_f64 v[34:35], v[10:11], v[54:55]
	v_add_f64 v[32:33], v[32:33], v[12:13]
	ds_read_b128 v[10:13], v31 offset:2048
	s_waitcnt lgkmcnt(0)
	v_mul_f64 v[54:55], v[12:13], v[50:51]
	v_mul_f64 v[50:51], v[10:11], v[50:51]
	v_fma_f64 v[54:55], v[10:11], v[48:49], -v[54:55]
	v_fma_f64 v[48:49], v[12:13], v[48:49], v[50:51]
	v_add_f64 v[50:51], v[18:19], v[54:55]
	v_mul_f64 v[18:19], v[12:13], v[24:25]
	v_add_f64 v[48:49], v[48:49], v[20:21]
	v_fma_f64 v[18:19], v[10:11], v[22:23], -v[18:19]
	v_mul_f64 v[10:11], v[10:11], v[24:25]
	v_fma_f64 v[10:11], v[12:13], v[22:23], v[10:11]
	v_add_f64 v[22:23], v[14:15], v[18:19]
	v_add_f64 v[24:25], v[10:11], v[16:17]
	ds_read_b128 v[10:13], v30 offset:512
	s_waitcnt lgkmcnt(0)
	v_mul_f64 v[14:15], v[38:39], v[12:13]
	v_mul_f64 v[16:17], v[36:37], v[12:13]
	v_fma_f64 v[14:15], v[36:37], v[10:11], -v[14:15]
	v_fma_f64 v[16:17], v[38:39], v[10:11], v[16:17]
	v_add_f64 v[3:4], v[3:4], v[14:15]
	v_add_f64 v[52:53], v[16:17], v[52:53]
	ds_read_b128 v[14:17], v30 offset:768
	s_waitcnt lgkmcnt(0)
	v_mul_f64 v[18:19], v[38:39], v[16:17]
	v_mul_f64 v[20:21], v[36:37], v[16:17]
	v_fma_f64 v[18:19], v[36:37], v[14:15], -v[18:19]
	;; [unrolled: 8-line block ×3, first 2 shown]
	v_fma_f64 v[10:11], v[20:21], v[10:11], v[12:13]
	v_mul_f64 v[12:13], v[18:19], v[16:17]
	v_add_f64 v[36:37], v[50:51], v[36:37]
	v_add_f64 v[38:39], v[10:11], v[48:49]
	v_mul_f64 v[10:11], v[20:21], v[16:17]
	v_fma_f64 v[12:13], v[20:21], v[14:15], v[12:13]
	v_fma_f64 v[10:11], v[18:19], v[14:15], -v[10:11]
	v_add_f64 v[24:25], v[12:13], v[24:25]
	v_add_f64 v[22:23], v[22:23], v[10:11]
	ds_read_b128 v[10:13], v30 offset:1024
	s_waitcnt lgkmcnt(0)
	v_mul_f64 v[14:15], v[42:43], v[12:13]
	v_mul_f64 v[16:17], v[40:41], v[12:13]
	v_fma_f64 v[14:15], v[40:41], v[10:11], -v[14:15]
	v_fma_f64 v[16:17], v[42:43], v[10:11], v[16:17]
	v_add_f64 v[3:4], v[3:4], v[14:15]
	v_add_f64 v[48:49], v[16:17], v[52:53]
	ds_read_b128 v[14:17], v30 offset:1280
	s_waitcnt lgkmcnt(0)
	v_mul_f64 v[18:19], v[42:43], v[16:17]
	v_mul_f64 v[20:21], v[40:41], v[16:17]
	v_fma_f64 v[18:19], v[40:41], v[14:15], -v[18:19]
	v_fma_f64 v[20:21], v[42:43], v[14:15], v[20:21]
	;; [unrolled: 8-line block ×3, first 2 shown]
	v_mul_f64 v[12:13], v[18:19], v[16:17]
	v_add_f64 v[36:37], v[36:37], v[40:41]
	v_add_f64 v[38:39], v[10:11], v[38:39]
	v_mul_f64 v[10:11], v[20:21], v[16:17]
	v_fma_f64 v[12:13], v[20:21], v[14:15], v[12:13]
	v_fma_f64 v[10:11], v[18:19], v[14:15], -v[10:11]
	v_add_f64 v[24:25], v[12:13], v[24:25]
	v_add_f64 v[22:23], v[22:23], v[10:11]
	ds_read_b128 v[10:13], v30 offset:1536
	s_waitcnt lgkmcnt(0)
	v_mul_f64 v[14:15], v[46:47], v[12:13]
	v_mul_f64 v[16:17], v[44:45], v[12:13]
	v_fma_f64 v[14:15], v[44:45], v[10:11], -v[14:15]
	v_fma_f64 v[16:17], v[46:47], v[10:11], v[16:17]
	v_add_f64 v[3:4], v[3:4], v[14:15]
	v_add_f64 v[40:41], v[16:17], v[48:49]
	ds_read_b128 v[14:17], v30 offset:1792
	s_waitcnt lgkmcnt(0)
	v_mul_f64 v[18:19], v[46:47], v[16:17]
	v_mul_f64 v[20:21], v[44:45], v[16:17]
	v_fma_f64 v[18:19], v[44:45], v[14:15], -v[18:19]
	v_fma_f64 v[20:21], v[46:47], v[14:15], v[20:21]
	;; [unrolled: 8-line block ×3, first 2 shown]
	v_mul_f64 v[12:13], v[18:19], v[16:17]
	v_add_f64 v[36:37], v[36:37], v[42:43]
	v_add_f64 v[38:39], v[10:11], v[38:39]
	v_mul_f64 v[10:11], v[20:21], v[16:17]
	v_fma_f64 v[12:13], v[20:21], v[14:15], v[12:13]
	v_fma_f64 v[10:11], v[18:19], v[14:15], -v[10:11]
	v_add_f64 v[24:25], v[12:13], v[24:25]
	v_add_f64 v[22:23], v[22:23], v[10:11]
	ds_read_b128 v[10:13], v31 offset:64
	ds_read_b128 v[14:17], v30 offset:2048
	s_waitcnt lgkmcnt(0)
	v_mul_f64 v[18:19], v[12:13], v[16:17]
	v_mul_f64 v[20:21], v[10:11], v[16:17]
	v_fma_f64 v[18:19], v[10:11], v[14:15], -v[18:19]
	v_fma_f64 v[20:21], v[12:13], v[14:15], v[20:21]
	v_add_f64 v[3:4], v[3:4], v[18:19]
	v_add_f64 v[40:41], v[20:21], v[40:41]
	ds_read_b128 v[18:21], v30 offset:2304
	s_waitcnt lgkmcnt(0)
	v_mul_f64 v[42:43], v[12:13], v[20:21]
	v_fma_f64 v[42:43], v[10:11], v[18:19], -v[42:43]
	v_mul_f64 v[10:11], v[10:11], v[20:21]
	v_add_f64 v[34:35], v[34:35], v[42:43]
	v_fma_f64 v[10:11], v[12:13], v[18:19], v[10:11]
	v_add_f64 v[32:33], v[10:11], v[32:33]
	ds_read_b128 v[10:13], v31 offset:2112
	s_waitcnt lgkmcnt(0)
	v_mul_f64 v[42:43], v[12:13], v[16:17]
	v_mul_f64 v[16:17], v[10:11], v[16:17]
	v_fma_f64 v[42:43], v[10:11], v[14:15], -v[42:43]
	v_fma_f64 v[14:15], v[12:13], v[14:15], v[16:17]
	v_add_f64 v[36:37], v[36:37], v[42:43]
	v_add_f64 v[38:39], v[14:15], v[38:39]
	v_mul_f64 v[14:15], v[12:13], v[20:21]
	v_fma_f64 v[14:15], v[10:11], v[18:19], -v[14:15]
	v_mul_f64 v[10:11], v[10:11], v[20:21]
	v_add_f64 v[22:23], v[22:23], v[14:15]
	v_fma_f64 v[10:11], v[12:13], v[18:19], v[10:11]
	v_add_f64 v[24:25], v[10:11], v[24:25]
	ds_read_b128 v[10:13], v31 offset:80
	ds_read_b128 v[14:17], v30 offset:2560
	s_waitcnt lgkmcnt(0)
	v_mul_f64 v[18:19], v[12:13], v[16:17]
	v_mul_f64 v[20:21], v[10:11], v[16:17]
	v_fma_f64 v[18:19], v[10:11], v[14:15], -v[18:19]
	v_fma_f64 v[20:21], v[12:13], v[14:15], v[20:21]
	v_add_f64 v[3:4], v[3:4], v[18:19]
	v_add_f64 v[40:41], v[20:21], v[40:41]
	ds_read_b128 v[18:21], v30 offset:2816
	s_waitcnt lgkmcnt(0)
	v_mul_f64 v[42:43], v[12:13], v[20:21]
	v_fma_f64 v[42:43], v[10:11], v[18:19], -v[42:43]
	v_mul_f64 v[10:11], v[10:11], v[20:21]
	v_add_f64 v[34:35], v[34:35], v[42:43]
	v_fma_f64 v[10:11], v[12:13], v[18:19], v[10:11]
	v_add_f64 v[32:33], v[10:11], v[32:33]
	ds_read_b128 v[10:13], v31 offset:2128
	s_waitcnt lgkmcnt(0)
	v_mul_f64 v[42:43], v[12:13], v[16:17]
	v_mul_f64 v[16:17], v[10:11], v[16:17]
	v_fma_f64 v[42:43], v[10:11], v[14:15], -v[42:43]
	v_fma_f64 v[14:15], v[12:13], v[14:15], v[16:17]
	v_add_f64 v[36:37], v[36:37], v[42:43]
	v_add_f64 v[38:39], v[14:15], v[38:39]
	v_mul_f64 v[14:15], v[12:13], v[20:21]
	v_fma_f64 v[14:15], v[10:11], v[18:19], -v[14:15]
	v_mul_f64 v[10:11], v[10:11], v[20:21]
	v_add_f64 v[22:23], v[22:23], v[14:15]
	v_fma_f64 v[10:11], v[12:13], v[18:19], v[10:11]
	;; [unrolled: 31-line block ×3, first 2 shown]
	v_add_f64 v[52:53], v[10:11], v[24:25]
	ds_read_b128 v[10:13], v31 offset:112
	ds_read_b128 v[14:17], v30 offset:3584
	;; [unrolled: 1-line block ×4, first 2 shown]
	s_waitcnt lgkmcnt(0)
	s_barrier
	buffer_gl0_inv
	v_mul_f64 v[18:19], v[12:13], v[16:17]
	v_mul_f64 v[20:21], v[10:11], v[16:17]
	v_fma_f64 v[18:19], v[10:11], v[14:15], -v[18:19]
	v_fma_f64 v[20:21], v[12:13], v[14:15], v[20:21]
	v_add_f64 v[22:23], v[3:4], v[18:19]
	v_mul_f64 v[3:4], v[12:13], v[34:35]
	v_add_f64 v[24:25], v[20:21], v[40:41]
	v_fma_f64 v[3:4], v[10:11], v[32:33], -v[3:4]
	v_mul_f64 v[10:11], v[10:11], v[34:35]
	v_fma_f64 v[12:13], v[12:13], v[32:33], v[10:11]
	v_add_f64 v[10:11], v[42:43], v[3:4]
	v_mul_f64 v[3:4], v[38:39], v[16:17]
	v_mul_f64 v[16:17], v[36:37], v[16:17]
	v_add_f64 v[12:13], v[12:13], v[44:45]
	v_fma_f64 v[3:4], v[36:37], v[14:15], -v[3:4]
	v_fma_f64 v[14:15], v[38:39], v[14:15], v[16:17]
	v_add_f64 v[18:19], v[46:47], v[3:4]
	v_add_f64 v[20:21], v[14:15], v[48:49]
	v_mul_f64 v[3:4], v[38:39], v[34:35]
	v_mul_f64 v[14:15], v[36:37], v[34:35]
	v_fma_f64 v[3:4], v[36:37], v[32:33], -v[3:4]
	v_fma_f64 v[16:17], v[38:39], v[32:33], v[14:15]
	v_add_f64 v[14:15], v[50:51], v[3:4]
	v_add_f64 v[16:17], v[16:17], v[52:53]
	s_cbranch_vccz .LBB550_12
.LBB550_3:                              ; =>This Inner Loop Header: Depth=1
	v_add_co_u32 v3, s9, v27, s22
	v_add_co_ci_u32_e64 v4, null, 0, s23, s9
	v_cmp_le_i64_e32 vcc_lo, s[16:17], v[3:4]
	s_or_b32 s9, s1, vcc_lo
	s_and_saveexec_b32 s24, s9
	s_xor_b32 s9, exec_lo, s24
	s_cbranch_execz .LBB550_5
; %bb.4:                                ;   in Loop: Header=BB550_3 Depth=1
	v_mov_b32_e32 v3, v2
	v_mov_b32_e32 v4, v2
	;; [unrolled: 1-line block ×3, first 2 shown]
	ds_write_b128 v28, v[2:5]
.LBB550_5:                              ;   in Loop: Header=BB550_3 Depth=1
	s_andn2_saveexec_b32 s9, s9
	s_cbranch_execz .LBB550_7
; %bb.6:                                ;   in Loop: Header=BB550_3 Depth=1
	global_load_dwordx4 v[32:35], v[8:9], off
	s_waitcnt vmcnt(0)
	ds_write2_b64 v28, v[32:33], v[34:35] offset1:1
.LBB550_7:                              ;   in Loop: Header=BB550_3 Depth=1
	s_or_b32 exec_lo, exec_lo, s9
	v_add_co_u32 v3, s9, v26, s22
	v_add_co_ci_u32_e64 v4, null, 0, s23, s9
	v_cmp_le_i64_e32 vcc_lo, s[16:17], v[3:4]
	s_or_b32 s9, vcc_lo, s0
	s_and_saveexec_b32 s24, s9
	s_xor_b32 s9, exec_lo, s24
	s_cbranch_execz .LBB550_9
; %bb.8:                                ;   in Loop: Header=BB550_3 Depth=1
	v_mov_b32_e32 v3, v2
	v_mov_b32_e32 v4, v2
	;; [unrolled: 1-line block ×3, first 2 shown]
	ds_write_b128 v29, v[2:5]
.LBB550_9:                              ;   in Loop: Header=BB550_3 Depth=1
	s_andn2_saveexec_b32 s9, s9
	s_cbranch_execz .LBB550_2
; %bb.10:                               ;   in Loop: Header=BB550_3 Depth=1
	global_load_dwordx4 v[32:35], v[6:7], off
	s_waitcnt vmcnt(0)
	ds_write2_b64 v29, v[32:33], v[34:35] offset1:1
	s_branch .LBB550_2
.LBB550_11:
	v_mov_b32_e32 v22, 0
	v_mov_b32_e32 v24, 0
	;; [unrolled: 1-line block ×16, first 2 shown]
.LBB550_12:
	s_clause 0x1
	s_load_dwordx2 s[0:1], s[4:5], 0x90
	s_load_dwordx4 s[4:7], s[4:5], 0x80
	v_cmp_neq_f64_e64 s9, s[42:43], 0
	v_cmp_neq_f64_e64 s16, s[44:45], 0
	v_add_co_u32 v1, s2, s2, v1
	v_add_co_ci_u32_e64 v2, null, s3, 0, s2
	s_waitcnt lgkmcnt(0)
	s_mul_i32 s1, s1, s8
	s_mul_hi_u32 s17, s0, s8
	s_mul_i32 s0, s0, s8
	s_add_i32 s1, s17, s1
	s_lshl_b64 s[0:1], s[0:1], 4
	s_add_u32 s3, s4, s0
	v_cmp_gt_i64_e64 s0, s[14:15], v[1:2]
	s_addc_u32 s4, s5, s1
	s_or_b32 s1, s9, s16
	s_and_b32 vcc_lo, exec_lo, s1
	s_mov_b32 s1, -1
	s_cbranch_vccnz .LBB550_24
; %bb.13:
	s_and_saveexec_b32 s5, s0
	s_cbranch_execz .LBB550_23
; %bb.14:
	v_mul_lo_u32 v5, v2, s6
	v_mul_lo_u32 v6, v1, s7
	v_mad_u64_u32 v[3:4], null, v1, s6, 0
	v_add3_u32 v4, v4, v6, v5
	v_add_co_u32 v5, s1, s10, v0
	v_add_co_ci_u32_e64 v6, null, s11, 0, s1
	v_lshlrev_b64 v[7:8], 4, v[3:4]
	v_cmp_gt_i64_e32 vcc_lo, s[12:13], v[5:6]
	v_lshlrev_b64 v[3:4], 4, v[5:6]
	v_add_co_u32 v7, s1, s3, v7
	v_add_co_ci_u32_e64 v8, null, s4, v8, s1
	s_and_saveexec_b32 s2, vcc_lo
	s_cbranch_execz .LBB550_16
; %bb.15:
	v_mul_f64 v[26:27], s[20:21], v[24:25]
	v_mul_f64 v[28:29], s[18:19], v[24:25]
	v_add_co_u32 v30, s1, v7, v3
	v_add_co_ci_u32_e64 v31, null, v8, v4, s1
	v_fma_f64 v[26:27], s[18:19], v[22:23], -v[26:27]
	v_fma_f64 v[28:29], s[20:21], v[22:23], v[28:29]
	global_store_dwordx4 v[30:31], v[26:29], off
.LBB550_16:
	s_or_b32 exec_lo, exec_lo, s2
	v_add_co_u32 v5, s1, v5, 16
	v_add_co_ci_u32_e64 v6, null, 0, v6, s1
	v_cmp_gt_i64_e64 s1, s[12:13], v[5:6]
	s_and_saveexec_b32 s9, s1
	s_cbranch_execz .LBB550_18
; %bb.17:
	v_mul_f64 v[5:6], s[20:21], v[12:13]
	v_mul_f64 v[28:29], s[18:19], v[12:13]
	v_fma_f64 v[26:27], s[18:19], v[10:11], -v[5:6]
	v_fma_f64 v[28:29], s[20:21], v[10:11], v[28:29]
	v_add_co_u32 v5, s2, v7, v3
	v_add_co_ci_u32_e64 v6, null, v8, v4, s2
	global_store_dwordx4 v[5:6], v[26:29], off offset:256
.LBB550_18:
	s_or_b32 exec_lo, exec_lo, s9
	v_add_co_u32 v5, s2, v1, 16
	v_add_co_ci_u32_e64 v6, null, 0, v2, s2
	v_cmp_gt_i64_e64 s2, s[14:15], v[5:6]
	s_and_b32 exec_lo, exec_lo, s2
	s_cbranch_execz .LBB550_23
; %bb.19:
	s_lshl_b64 s[16:17], s[6:7], 8
	v_add_co_u32 v5, s2, v7, s16
	v_add_co_ci_u32_e64 v6, null, s17, v8, s2
	v_add_co_u32 v3, s2, v5, v3
	v_add_co_ci_u32_e64 v4, null, v6, v4, s2
	s_and_saveexec_b32 s2, vcc_lo
	s_cbranch_execz .LBB550_21
; %bb.20:
	v_mul_f64 v[5:6], s[20:21], v[20:21]
	v_mul_f64 v[7:8], s[18:19], v[20:21]
	v_fma_f64 v[5:6], s[18:19], v[18:19], -v[5:6]
	v_fma_f64 v[7:8], s[20:21], v[18:19], v[7:8]
	global_store_dwordx4 v[3:4], v[5:8], off
.LBB550_21:
	s_or_b32 exec_lo, exec_lo, s2
	s_and_b32 exec_lo, exec_lo, s1
	s_cbranch_execz .LBB550_23
; %bb.22:
	v_mul_f64 v[5:6], s[20:21], v[16:17]
	v_mul_f64 v[7:8], s[18:19], v[16:17]
	v_fma_f64 v[5:6], s[18:19], v[14:15], -v[5:6]
	v_fma_f64 v[7:8], s[20:21], v[14:15], v[7:8]
	global_store_dwordx4 v[3:4], v[5:8], off offset:256
.LBB550_23:
	s_or_b32 exec_lo, exec_lo, s5
	s_mov_b32 s1, 0
.LBB550_24:
	s_andn2_b32 vcc_lo, exec_lo, s1
	s_cbranch_vccnz .LBB550_35
; %bb.25:
	s_and_saveexec_b32 s1, s0
	s_cbranch_execz .LBB550_35
; %bb.26:
	v_mul_lo_u32 v5, v2, s48
	v_mul_lo_u32 v6, v1, s49
	v_mad_u64_u32 v[3:4], null, v1, s48, 0
	v_mul_lo_u32 v9, v2, s6
	v_mul_lo_u32 v26, v1, s7
	v_mad_u64_u32 v[7:8], null, v1, s6, 0
	s_mul_i32 s0, s51, s8
	s_mul_hi_u32 s1, s50, s8
	v_add3_u32 v4, v4, v6, v5
	s_add_i32 s1, s1, s0
	s_mul_i32 s0, s50, s8
	v_add_co_u32 v5, s2, s10, v0
	v_add3_u32 v8, v8, v26, v9
	v_lshlrev_b64 v[3:4], 4, v[3:4]
	s_lshl_b64 s[0:1], s[0:1], 4
	v_add_co_ci_u32_e64 v6, null, s11, 0, s2
	v_lshlrev_b64 v[8:9], 4, v[7:8]
	s_add_u32 s0, s46, s0
	s_addc_u32 s1, s47, s1
	v_add_co_u32 v0, s0, s0, v3
	v_add_co_ci_u32_e64 v7, null, s1, v4, s0
	v_add_co_u32 v8, s0, s3, v8
	v_cmp_gt_i64_e32 vcc_lo, s[12:13], v[5:6]
	v_lshlrev_b64 v[3:4], 4, v[5:6]
	v_add_co_ci_u32_e64 v9, null, s4, v9, s0
	s_and_saveexec_b32 s1, vcc_lo
	s_cbranch_execz .LBB550_28
; %bb.27:
	v_add_co_u32 v26, s0, v0, v3
	v_add_co_ci_u32_e64 v27, null, v7, v4, s0
	v_mul_f64 v[30:31], s[20:21], v[24:25]
	v_mul_f64 v[24:25], s[18:19], v[24:25]
	global_load_dwordx4 v[26:29], v[26:27], off
	v_fma_f64 v[30:31], s[18:19], v[22:23], -v[30:31]
	v_fma_f64 v[24:25], s[20:21], v[22:23], v[24:25]
	s_waitcnt vmcnt(0)
	v_mul_f64 v[32:33], s[44:45], v[28:29]
	v_mul_f64 v[28:29], s[42:43], v[28:29]
	v_fma_f64 v[22:23], s[42:43], v[26:27], -v[32:33]
	v_fma_f64 v[26:27], s[44:45], v[26:27], v[28:29]
	v_add_f64 v[22:23], v[30:31], v[22:23]
	v_add_f64 v[24:25], v[24:25], v[26:27]
	v_add_co_u32 v26, s0, v8, v3
	v_add_co_ci_u32_e64 v27, null, v9, v4, s0
	global_store_dwordx4 v[26:27], v[22:25], off
.LBB550_28:
	s_or_b32 exec_lo, exec_lo, s1
	v_add_co_u32 v5, s0, v5, 16
	v_add_co_ci_u32_e64 v6, null, 0, v6, s0
	v_cmp_gt_i64_e64 s0, s[12:13], v[5:6]
	s_and_saveexec_b32 s2, s0
	s_cbranch_execz .LBB550_30
; %bb.29:
	v_add_co_u32 v5, s1, v0, v3
	v_add_co_ci_u32_e64 v6, null, v7, v4, s1
	global_load_dwordx4 v[22:25], v[5:6], off offset:256
	v_mul_f64 v[5:6], s[20:21], v[12:13]
	v_mul_f64 v[12:13], s[18:19], v[12:13]
	v_fma_f64 v[5:6], s[18:19], v[10:11], -v[5:6]
	v_fma_f64 v[12:13], s[20:21], v[10:11], v[12:13]
	s_waitcnt vmcnt(0)
	v_mul_f64 v[26:27], s[44:45], v[24:25]
	v_mul_f64 v[24:25], s[42:43], v[24:25]
	v_fma_f64 v[10:11], s[42:43], v[22:23], -v[26:27]
	v_fma_f64 v[22:23], s[44:45], v[22:23], v[24:25]
	v_add_f64 v[10:11], v[5:6], v[10:11]
	v_add_f64 v[12:13], v[12:13], v[22:23]
	v_add_co_u32 v5, s1, v8, v3
	v_add_co_ci_u32_e64 v6, null, v9, v4, s1
	global_store_dwordx4 v[5:6], v[10:13], off offset:256
.LBB550_30:
	s_or_b32 exec_lo, exec_lo, s2
	v_add_co_u32 v1, s1, v1, 16
	v_add_co_ci_u32_e64 v2, null, 0, v2, s1
	v_cmp_gt_i64_e64 s1, s[14:15], v[1:2]
	s_and_b32 exec_lo, exec_lo, s1
	s_cbranch_execz .LBB550_35
; %bb.31:
	s_lshl_b64 s[2:3], s[48:49], 8
	v_add_co_u32 v0, s1, v0, s2
	v_add_co_ci_u32_e64 v1, null, s3, v7, s1
	s_lshl_b64 s[2:3], s[6:7], 8
	v_add_co_u32 v2, s1, v8, s2
	v_add_co_ci_u32_e64 v7, null, s3, v9, s1
	v_add_co_u32 v5, s1, v0, v3
	v_add_co_ci_u32_e64 v6, null, v1, v4, s1
	;; [unrolled: 2-line block ×3, first 2 shown]
	s_and_saveexec_b32 s1, vcc_lo
	s_cbranch_execz .LBB550_33
; %bb.32:
	global_load_dwordx4 v[7:10], v[5:6], off
	v_mul_f64 v[2:3], s[20:21], v[20:21]
	v_mul_f64 v[11:12], s[18:19], v[20:21]
	v_fma_f64 v[2:3], s[18:19], v[18:19], -v[2:3]
	v_fma_f64 v[11:12], s[20:21], v[18:19], v[11:12]
	s_waitcnt vmcnt(0)
	v_mul_f64 v[20:21], s[44:45], v[9:10]
	v_mul_f64 v[9:10], s[42:43], v[9:10]
	v_fma_f64 v[18:19], s[42:43], v[7:8], -v[20:21]
	v_fma_f64 v[9:10], s[44:45], v[7:8], v[9:10]
	v_add_f64 v[7:8], v[2:3], v[18:19]
	v_add_f64 v[9:10], v[11:12], v[9:10]
	global_store_dwordx4 v[0:1], v[7:10], off
.LBB550_33:
	s_or_b32 exec_lo, exec_lo, s1
	s_and_b32 exec_lo, exec_lo, s0
	s_cbranch_execz .LBB550_35
; %bb.34:
	global_load_dwordx4 v[2:5], v[5:6], off offset:256
	v_mul_f64 v[6:7], s[20:21], v[16:17]
	v_mul_f64 v[8:9], s[18:19], v[16:17]
	v_fma_f64 v[6:7], s[18:19], v[14:15], -v[6:7]
	v_fma_f64 v[8:9], s[20:21], v[14:15], v[8:9]
	s_waitcnt vmcnt(0)
	v_mul_f64 v[10:11], s[44:45], v[4:5]
	v_mul_f64 v[4:5], s[42:43], v[4:5]
	v_fma_f64 v[10:11], s[42:43], v[2:3], -v[10:11]
	v_fma_f64 v[4:5], s[44:45], v[2:3], v[4:5]
	v_add_f64 v[2:3], v[6:7], v[10:11]
	v_add_f64 v[4:5], v[8:9], v[4:5]
	global_store_dwordx4 v[0:1], v[2:5], off offset:256
.LBB550_35:
	s_endpgm
	.section	.rodata,"a",@progbits
	.p2align	6, 0x0
	.amdhsa_kernel _ZN12_GLOBAL__N_135rocblas_gemm_batched_general_kernelI19rocblas_complex_numIdELi16ELi16ELi32ELi32ELi8ELi32ELi8ELi8ELi32ELc84ELc84EKS2_S3_S2_EEvlllT_PT11_llS6_llS4_PT12_llPT13_lli
		.amdhsa_group_segment_fixed_size 8192
		.amdhsa_private_segment_fixed_size 0
		.amdhsa_kernarg_size 156
		.amdhsa_user_sgpr_count 6
		.amdhsa_user_sgpr_private_segment_buffer 1
		.amdhsa_user_sgpr_dispatch_ptr 0
		.amdhsa_user_sgpr_queue_ptr 0
		.amdhsa_user_sgpr_kernarg_segment_ptr 1
		.amdhsa_user_sgpr_dispatch_id 0
		.amdhsa_user_sgpr_flat_scratch_init 0
		.amdhsa_user_sgpr_private_segment_size 0
		.amdhsa_wavefront_size32 1
		.amdhsa_uses_dynamic_stack 0
		.amdhsa_system_sgpr_private_segment_wavefront_offset 0
		.amdhsa_system_sgpr_workgroup_id_x 1
		.amdhsa_system_sgpr_workgroup_id_y 1
		.amdhsa_system_sgpr_workgroup_id_z 1
		.amdhsa_system_sgpr_workgroup_info 0
		.amdhsa_system_vgpr_workitem_id 1
		.amdhsa_next_free_vgpr 56
		.amdhsa_next_free_sgpr 52
		.amdhsa_reserve_vcc 1
		.amdhsa_reserve_flat_scratch 0
		.amdhsa_float_round_mode_32 0
		.amdhsa_float_round_mode_16_64 0
		.amdhsa_float_denorm_mode_32 3
		.amdhsa_float_denorm_mode_16_64 3
		.amdhsa_dx10_clamp 1
		.amdhsa_ieee_mode 1
		.amdhsa_fp16_overflow 0
		.amdhsa_workgroup_processor_mode 1
		.amdhsa_memory_ordered 1
		.amdhsa_forward_progress 1
		.amdhsa_shared_vgpr_count 0
		.amdhsa_exception_fp_ieee_invalid_op 0
		.amdhsa_exception_fp_denorm_src 0
		.amdhsa_exception_fp_ieee_div_zero 0
		.amdhsa_exception_fp_ieee_overflow 0
		.amdhsa_exception_fp_ieee_underflow 0
		.amdhsa_exception_fp_ieee_inexact 0
		.amdhsa_exception_int_div_zero 0
	.end_amdhsa_kernel
	.section	.text._ZN12_GLOBAL__N_135rocblas_gemm_batched_general_kernelI19rocblas_complex_numIdELi16ELi16ELi32ELi32ELi8ELi32ELi8ELi8ELi32ELc84ELc84EKS2_S3_S2_EEvlllT_PT11_llS6_llS4_PT12_llPT13_lli,"axG",@progbits,_ZN12_GLOBAL__N_135rocblas_gemm_batched_general_kernelI19rocblas_complex_numIdELi16ELi16ELi32ELi32ELi8ELi32ELi8ELi8ELi32ELc84ELc84EKS2_S3_S2_EEvlllT_PT11_llS6_llS4_PT12_llPT13_lli,comdat
.Lfunc_end550:
	.size	_ZN12_GLOBAL__N_135rocblas_gemm_batched_general_kernelI19rocblas_complex_numIdELi16ELi16ELi32ELi32ELi8ELi32ELi8ELi8ELi32ELc84ELc84EKS2_S3_S2_EEvlllT_PT11_llS6_llS4_PT12_llPT13_lli, .Lfunc_end550-_ZN12_GLOBAL__N_135rocblas_gemm_batched_general_kernelI19rocblas_complex_numIdELi16ELi16ELi32ELi32ELi8ELi32ELi8ELi8ELi32ELc84ELc84EKS2_S3_S2_EEvlllT_PT11_llS6_llS4_PT12_llPT13_lli
                                        ; -- End function
	.set _ZN12_GLOBAL__N_135rocblas_gemm_batched_general_kernelI19rocblas_complex_numIdELi16ELi16ELi32ELi32ELi8ELi32ELi8ELi8ELi32ELc84ELc84EKS2_S3_S2_EEvlllT_PT11_llS6_llS4_PT12_llPT13_lli.num_vgpr, 56
	.set _ZN12_GLOBAL__N_135rocblas_gemm_batched_general_kernelI19rocblas_complex_numIdELi16ELi16ELi32ELi32ELi8ELi32ELi8ELi8ELi32ELc84ELc84EKS2_S3_S2_EEvlllT_PT11_llS6_llS4_PT12_llPT13_lli.num_agpr, 0
	.set _ZN12_GLOBAL__N_135rocblas_gemm_batched_general_kernelI19rocblas_complex_numIdELi16ELi16ELi32ELi32ELi8ELi32ELi8ELi8ELi32ELc84ELc84EKS2_S3_S2_EEvlllT_PT11_llS6_llS4_PT12_llPT13_lli.numbered_sgpr, 52
	.set _ZN12_GLOBAL__N_135rocblas_gemm_batched_general_kernelI19rocblas_complex_numIdELi16ELi16ELi32ELi32ELi8ELi32ELi8ELi8ELi32ELc84ELc84EKS2_S3_S2_EEvlllT_PT11_llS6_llS4_PT12_llPT13_lli.num_named_barrier, 0
	.set _ZN12_GLOBAL__N_135rocblas_gemm_batched_general_kernelI19rocblas_complex_numIdELi16ELi16ELi32ELi32ELi8ELi32ELi8ELi8ELi32ELc84ELc84EKS2_S3_S2_EEvlllT_PT11_llS6_llS4_PT12_llPT13_lli.private_seg_size, 0
	.set _ZN12_GLOBAL__N_135rocblas_gemm_batched_general_kernelI19rocblas_complex_numIdELi16ELi16ELi32ELi32ELi8ELi32ELi8ELi8ELi32ELc84ELc84EKS2_S3_S2_EEvlllT_PT11_llS6_llS4_PT12_llPT13_lli.uses_vcc, 1
	.set _ZN12_GLOBAL__N_135rocblas_gemm_batched_general_kernelI19rocblas_complex_numIdELi16ELi16ELi32ELi32ELi8ELi32ELi8ELi8ELi32ELc84ELc84EKS2_S3_S2_EEvlllT_PT11_llS6_llS4_PT12_llPT13_lli.uses_flat_scratch, 0
	.set _ZN12_GLOBAL__N_135rocblas_gemm_batched_general_kernelI19rocblas_complex_numIdELi16ELi16ELi32ELi32ELi8ELi32ELi8ELi8ELi32ELc84ELc84EKS2_S3_S2_EEvlllT_PT11_llS6_llS4_PT12_llPT13_lli.has_dyn_sized_stack, 0
	.set _ZN12_GLOBAL__N_135rocblas_gemm_batched_general_kernelI19rocblas_complex_numIdELi16ELi16ELi32ELi32ELi8ELi32ELi8ELi8ELi32ELc84ELc84EKS2_S3_S2_EEvlllT_PT11_llS6_llS4_PT12_llPT13_lli.has_recursion, 0
	.set _ZN12_GLOBAL__N_135rocblas_gemm_batched_general_kernelI19rocblas_complex_numIdELi16ELi16ELi32ELi32ELi8ELi32ELi8ELi8ELi32ELc84ELc84EKS2_S3_S2_EEvlllT_PT11_llS6_llS4_PT12_llPT13_lli.has_indirect_call, 0
	.section	.AMDGPU.csdata,"",@progbits
; Kernel info:
; codeLenInByte = 4072
; TotalNumSgprs: 54
; NumVgprs: 56
; ScratchSize: 0
; MemoryBound: 0
; FloatMode: 240
; IeeeMode: 1
; LDSByteSize: 8192 bytes/workgroup (compile time only)
; SGPRBlocks: 0
; VGPRBlocks: 6
; NumSGPRsForWavesPerEU: 54
; NumVGPRsForWavesPerEU: 56
; Occupancy: 16
; WaveLimiterHint : 0
; COMPUTE_PGM_RSRC2:SCRATCH_EN: 0
; COMPUTE_PGM_RSRC2:USER_SGPR: 6
; COMPUTE_PGM_RSRC2:TRAP_HANDLER: 0
; COMPUTE_PGM_RSRC2:TGID_X_EN: 1
; COMPUTE_PGM_RSRC2:TGID_Y_EN: 1
; COMPUTE_PGM_RSRC2:TGID_Z_EN: 1
; COMPUTE_PGM_RSRC2:TIDIG_COMP_CNT: 1
	.section	.text._ZN12_GLOBAL__N_135rocblas_gemm_batched_general_kernelI19rocblas_complex_numIdELi16ELi16ELi32ELi32ELi8ELi32ELi8ELi8ELi32ELc67ELc67EKS2_S3_S2_EEvlllT_PT11_llS6_llS4_PT12_llPT13_lli,"axG",@progbits,_ZN12_GLOBAL__N_135rocblas_gemm_batched_general_kernelI19rocblas_complex_numIdELi16ELi16ELi32ELi32ELi8ELi32ELi8ELi8ELi32ELc67ELc67EKS2_S3_S2_EEvlllT_PT11_llS6_llS4_PT12_llPT13_lli,comdat
	.globl	_ZN12_GLOBAL__N_135rocblas_gemm_batched_general_kernelI19rocblas_complex_numIdELi16ELi16ELi32ELi32ELi8ELi32ELi8ELi8ELi32ELc67ELc67EKS2_S3_S2_EEvlllT_PT11_llS6_llS4_PT12_llPT13_lli ; -- Begin function _ZN12_GLOBAL__N_135rocblas_gemm_batched_general_kernelI19rocblas_complex_numIdELi16ELi16ELi32ELi32ELi8ELi32ELi8ELi8ELi32ELc67ELc67EKS2_S3_S2_EEvlllT_PT11_llS6_llS4_PT12_llPT13_lli
	.p2align	8
	.type	_ZN12_GLOBAL__N_135rocblas_gemm_batched_general_kernelI19rocblas_complex_numIdELi16ELi16ELi32ELi32ELi8ELi32ELi8ELi8ELi32ELc67ELc67EKS2_S3_S2_EEvlllT_PT11_llS6_llS4_PT12_llPT13_lli,@function
_ZN12_GLOBAL__N_135rocblas_gemm_batched_general_kernelI19rocblas_complex_numIdELi16ELi16ELi32ELi32ELi8ELi32ELi8ELi8ELi32ELc67ELc67EKS2_S3_S2_EEvlllT_PT11_llS6_llS4_PT12_llPT13_lli: ; @_ZN12_GLOBAL__N_135rocblas_gemm_batched_general_kernelI19rocblas_complex_numIdELi16ELi16ELi32ELi32ELi8ELi32ELi8ELi8ELi32ELc67ELc67EKS2_S3_S2_EEvlllT_PT11_llS6_llS4_PT12_llPT13_lli
; %bb.0:
	s_clause 0x1
	s_load_dwordx16 s[12:27], s[4:5], 0x0
	s_load_dwordx16 s[36:51], s[4:5], 0x40
	s_mov_b32 s28, s7
	s_ashr_i32 s7, s6, 31
	s_ashr_i32 s29, s28, 31
	s_lshl_b64 s[10:11], s[6:7], 5
	s_lshl_b64 s[2:3], s[28:29], 5
	s_waitcnt lgkmcnt(0)
	v_cmp_lt_i64_e64 s0, s[16:17], 1
	s_and_b32 vcc_lo, exec_lo, s0
	s_cbranch_vccnz .LBB551_7
; %bb.1:
	v_lshl_add_u32 v2, v1, 4, v0
	v_and_b32_e32 v30, 7, v0
	v_mov_b32_e32 v3, s11
	s_mul_i32 s6, s41, s8
	s_mul_hi_u32 s7, s40, s8
	v_and_b32_e32 v8, 31, v2
	v_mad_u64_u32 v[4:5], null, s38, v30, 0
	v_lshrrev_b32_e32 v9, 3, v2
	v_lshrrev_b32_e32 v31, 5, v2
	v_or_b32_e32 v2, s10, v8
	s_add_i32 s7, s7, s6
	s_mul_i32 s6, s40, s8
	v_add_co_u32 v6, s0, v9, s2
	v_add_co_ci_u32_e64 v7, null, 0, s3, s0
	v_cmp_gt_i64_e64 s0, s[12:13], v[2:3]
	v_mov_b32_e32 v2, v5
	s_lshl_b64 s[6:7], s[6:7], 4
	v_cmp_gt_i64_e64 s1, s[14:15], v[6:7]
	v_lshlrev_b32_e32 v10, 4, v30
	v_lshlrev_b32_e32 v11, 4, v8
	v_mad_u64_u32 v[2:3], null, s39, v30, v[2:3]
	v_add_co_u32 v3, s9, s10, v8
	v_add_co_ci_u32_e64 v6, null, s11, 0, s9
	v_lshl_or_b32 v10, v9, 7, v10
	v_mul_lo_u32 v7, s25, v3
	v_mov_b32_e32 v5, v2
	v_mul_lo_u32 v6, s24, v6
	v_mad_u64_u32 v[2:3], null, s24, v3, 0
	s_lshl_b64 s[24:25], s[28:29], 9
	v_lshlrev_b64 v[4:5], 4, v[4:5]
	s_add_u32 s6, s24, s6
	s_addc_u32 s7, s25, s7
	v_lshl_or_b32 v32, v31, 9, v11
	v_add_nc_u32_e32 v33, 0x1000, v10
	v_add3_u32 v3, v3, v6, v7
	v_add_co_u32 v4, vcc_lo, s6, v4
	v_lshlrev_b32_e32 v6, 4, v9
	v_add_co_ci_u32_e64 v5, null, s7, v5, vcc_lo
	s_mul_i32 s6, s27, s8
	s_mul_hi_u32 s7, s26, s8
	v_lshlrev_b64 v[2:3], 4, v[2:3]
	s_add_i32 s7, s7, s6
	s_mul_i32 s6, s26, s8
	v_add_co_u32 v4, vcc_lo, v4, v6
	s_lshl_b64 s[6:7], s[6:7], 4
	v_add_co_ci_u32_e64 v5, null, 0, v5, vcc_lo
	v_add_co_u32 v2, vcc_lo, v2, s6
	v_lshlrev_b32_e32 v6, 4, v31
	v_add_co_ci_u32_e64 v3, null, s7, v3, vcc_lo
	v_add_co_u32 v4, vcc_lo, s36, v4
	v_add_co_ci_u32_e64 v5, null, s37, v5, vcc_lo
	v_add_co_u32 v2, vcc_lo, v2, v6
	;; [unrolled: 2-line block ×4, first 2 shown]
	v_add_co_ci_u32_e64 v3, null, s23, v3, vcc_lo
	v_mov_b32_e32 v12, 0
	v_add_co_u32 v28, vcc_lo, v2, 8
	v_mov_b32_e32 v10, 0
	v_mov_b32_e32 v16, 0
	v_mov_b32_e32 v14, 0
	v_mov_b32_e32 v20, 0
	v_mov_b32_e32 v18, 0
	v_mov_b32_e32 v24, 0
	v_mov_b32_e32 v22, 0
	v_lshlrev_b32_e32 v34, 4, v0
	v_lshl_add_u32 v35, v1, 7, 0x1000
	v_mov_b32_e32 v13, 0
	v_mov_b32_e32 v11, 0
	;; [unrolled: 1-line block ×8, first 2 shown]
	v_add_co_ci_u32_e64 v29, null, 0, v3, vcc_lo
	s_lshl_b64 s[6:7], s[38:39], 7
	s_mov_b64 s[22:23], 0
	s_branch .LBB551_3
.LBB551_2:                              ;   in Loop: Header=BB551_3 Depth=1
	s_or_b32 exec_lo, exec_lo, s9
	ds_write_b128 v33, v[6:9]
	s_waitcnt lgkmcnt(0)
	s_barrier
	buffer_gl0_inv
	ds_read_b128 v[2:5], v35
	ds_read_b128 v[6:9], v34
	ds_read_b128 v[36:39], v34 offset:256
	ds_read_b128 v[40:43], v35 offset:2048
	;; [unrolled: 1-line block ×12, first 2 shown]
	s_add_u32 s22, s22, 8
	s_addc_u32 s23, s23, 0
	v_add_co_u32 v26, vcc_lo, v26, s6
	v_cmp_lt_i64_e64 s9, s[22:23], s[16:17]
	v_add_co_ci_u32_e64 v27, null, s7, v27, vcc_lo
	s_waitcnt lgkmcnt(12)
	v_mul_f64 v[84:85], v[4:5], v[8:9]
	v_mul_f64 v[86:87], v[2:3], v[8:9]
	s_waitcnt lgkmcnt(11)
	v_mul_f64 v[88:89], v[4:5], v[38:39]
	v_mul_f64 v[90:91], v[2:3], v[38:39]
	;; [unrolled: 3-line block ×3, first 2 shown]
	v_mul_f64 v[94:95], v[42:43], v[38:39]
	v_mul_f64 v[38:39], v[40:41], v[38:39]
	s_waitcnt lgkmcnt(8)
	v_mul_f64 v[96:97], v[46:47], v[50:51]
	v_mul_f64 v[98:99], v[44:45], v[50:51]
	s_waitcnt lgkmcnt(7)
	;; [unrolled: 3-line block ×3, first 2 shown]
	v_mul_f64 v[104:105], v[58:59], v[50:51]
	v_mul_f64 v[50:51], v[56:57], v[50:51]
	v_mul_f64 v[106:107], v[58:59], v[54:55]
	v_mul_f64 v[54:55], v[56:57], v[54:55]
	s_waitcnt lgkmcnt(4)
	v_mul_f64 v[108:109], v[62:63], v[66:67]
	v_mul_f64 v[110:111], v[60:61], v[66:67]
	s_waitcnt lgkmcnt(3)
	v_mul_f64 v[112:113], v[62:63], v[70:71]
	v_mul_f64 v[114:115], v[60:61], v[70:71]
	;; [unrolled: 3-line block ×3, first 2 shown]
	v_fma_f64 v[84:85], v[2:3], v[6:7], -v[84:85]
	v_fma_f64 v[86:87], v[4:5], v[6:7], v[86:87]
	v_fma_f64 v[88:89], v[2:3], v[36:37], -v[88:89]
	v_fma_f64 v[90:91], v[4:5], v[36:37], v[90:91]
	;; [unrolled: 2-line block ×4, first 2 shown]
	v_mul_f64 v[122:123], v[74:75], v[70:71]
	v_mul_f64 v[70:71], v[72:73], v[70:71]
	ds_read_b128 v[2:5], v34 offset:1536
	ds_read_b128 v[6:9], v34 offset:1792
	v_fma_f64 v[96:97], v[44:45], v[48:49], -v[96:97]
	v_fma_f64 v[98:99], v[46:47], v[48:49], v[98:99]
	v_fma_f64 v[100:101], v[44:45], v[52:53], -v[100:101]
	v_fma_f64 v[102:103], v[46:47], v[52:53], v[102:103]
	;; [unrolled: 2-line block ×7, first 2 shown]
	v_add_f64 v[22:23], v[22:23], v[84:85]
	v_add_f64 v[24:25], v[86:87], v[24:25]
	;; [unrolled: 1-line block ×4, first 2 shown]
	s_waitcnt lgkmcnt(1)
	v_mul_f64 v[108:109], v[78:79], v[4:5]
	v_mul_f64 v[110:111], v[76:77], v[4:5]
	s_waitcnt lgkmcnt(0)
	v_mul_f64 v[66:67], v[78:79], v[8:9]
	v_mul_f64 v[112:113], v[76:77], v[8:9]
	v_fma_f64 v[72:73], v[72:73], v[68:69], -v[122:123]
	v_mul_f64 v[114:115], v[82:83], v[4:5]
	v_mul_f64 v[4:5], v[80:81], v[4:5]
	v_fma_f64 v[68:69], v[74:75], v[68:69], v[70:71]
	v_add_f64 v[70:71], v[14:15], v[92:93]
	v_add_f64 v[16:17], v[118:119], v[16:17]
	;; [unrolled: 1-line block ×4, first 2 shown]
	ds_read_b128 v[36:39], v35 offset:64
	ds_read_b128 v[40:43], v34 offset:2048
	;; [unrolled: 1-line block ×5, first 2 shown]
	v_mul_f64 v[86:87], v[82:83], v[8:9]
	v_mul_f64 v[92:93], v[80:81], v[8:9]
	v_add_f64 v[22:23], v[22:23], v[96:97]
	v_add_f64 v[24:25], v[98:99], v[24:25]
	;; [unrolled: 1-line block ×4, first 2 shown]
	v_fma_f64 v[88:89], v[76:77], v[2:3], -v[108:109]
	v_fma_f64 v[90:91], v[78:79], v[2:3], v[110:111]
	v_fma_f64 v[66:67], v[76:77], v[6:7], -v[66:67]
	v_fma_f64 v[78:79], v[78:79], v[6:7], v[112:113]
	ds_read_b128 v[8:11], v35 offset:80
	v_add_co_u32 v28, vcc_lo, 0x80, v28
	v_add_co_ci_u32_e64 v29, null, 0, v29, vcc_lo
	v_add_f64 v[70:71], v[70:71], v[104:105]
	s_waitcnt lgkmcnt(4)
	v_mul_f64 v[76:77], v[38:39], v[42:43]
	v_mul_f64 v[94:95], v[36:37], v[42:43]
	s_waitcnt lgkmcnt(2)
	v_mul_f64 v[112:113], v[50:51], v[42:43]
	v_mul_f64 v[42:43], v[48:49], v[42:43]
	v_add_f64 v[98:99], v[124:125], v[16:17]
	v_add_f64 v[56:57], v[74:75], v[56:57]
	;; [unrolled: 1-line block ×3, first 2 shown]
	v_fma_f64 v[74:75], v[80:81], v[2:3], -v[114:115]
	v_fma_f64 v[84:85], v[82:83], v[2:3], v[4:5]
	ds_read_b128 v[2:5], v34 offset:2560
	v_mul_f64 v[108:109], v[38:39], v[46:47]
	v_mul_f64 v[110:111], v[36:37], v[46:47]
	v_fma_f64 v[80:81], v[80:81], v[6:7], -v[86:87]
	v_fma_f64 v[82:83], v[82:83], v[6:7], v[92:93]
	ds_read_b128 v[16:19], v34 offset:2816
	s_and_b32 vcc_lo, exec_lo, s9
	v_fma_f64 v[76:77], v[36:37], v[40:41], -v[76:77]
	v_fma_f64 v[86:87], v[38:39], v[40:41], v[94:95]
	v_add_f64 v[64:65], v[64:65], v[98:99]
	v_add_f64 v[56:57], v[56:57], v[72:73]
	;; [unrolled: 1-line block ×3, first 2 shown]
	s_waitcnt lgkmcnt(1)
	v_mul_f64 v[68:69], v[10:11], v[4:5]
	v_mul_f64 v[98:99], v[14:15], v[4:5]
	;; [unrolled: 1-line block ×3, first 2 shown]
	v_fma_f64 v[92:93], v[36:37], v[44:45], -v[108:109]
	v_fma_f64 v[94:95], v[38:39], v[44:45], v[110:111]
	v_mul_f64 v[36:37], v[50:51], v[46:47]
	v_mul_f64 v[38:39], v[48:49], v[46:47]
	v_fma_f64 v[46:47], v[48:49], v[40:41], -v[112:113]
	v_fma_f64 v[40:41], v[50:51], v[40:41], v[42:43]
	v_add_f64 v[42:43], v[22:23], v[54:55]
	v_add_f64 v[54:55], v[58:59], v[24:25]
	;; [unrolled: 1-line block ×5, first 2 shown]
	v_mul_f64 v[70:71], v[8:9], v[4:5]
	s_waitcnt lgkmcnt(0)
	v_mul_f64 v[72:73], v[10:11], v[18:19]
	v_mul_f64 v[96:97], v[8:9], v[18:19]
	;; [unrolled: 1-line block ×4, first 2 shown]
	ds_read_b128 v[4:7], v35 offset:96
	ds_read_b128 v[18:21], v34 offset:3072
	v_add_f64 v[56:57], v[56:57], v[80:81]
	v_add_f64 v[52:53], v[82:83], v[52:53]
	v_fma_f64 v[48:49], v[48:49], v[44:45], -v[36:37]
	v_fma_f64 v[44:45], v[50:51], v[44:45], v[38:39]
	ds_read_b128 v[22:25], v34 offset:3328
	ds_read_b128 v[36:39], v35 offset:2144
	v_add_f64 v[42:43], v[42:43], v[88:89]
	v_add_f64 v[50:51], v[90:91], v[54:55]
	;; [unrolled: 1-line block ×6, first 2 shown]
	v_fma_f64 v[64:65], v[8:9], v[2:3], -v[68:69]
	v_fma_f64 v[66:67], v[10:11], v[2:3], v[70:71]
	v_fma_f64 v[68:69], v[8:9], v[16:17], -v[72:73]
	v_fma_f64 v[70:71], v[10:11], v[16:17], v[96:97]
	v_fma_f64 v[72:73], v[12:13], v[2:3], -v[98:99]
	v_fma_f64 v[2:3], v[14:15], v[2:3], v[100:101]
	v_fma_f64 v[74:75], v[12:13], v[16:17], -v[102:103]
	s_waitcnt lgkmcnt(2)
	v_mul_f64 v[78:79], v[6:7], v[20:21]
	v_fma_f64 v[16:17], v[14:15], v[16:17], v[104:105]
	v_mul_f64 v[80:81], v[4:5], v[20:21]
	ds_read_b128 v[8:11], v35 offset:112
	ds_read_b128 v[12:15], v35 offset:2160
	s_waitcnt lgkmcnt(3)
	v_mul_f64 v[82:83], v[6:7], v[24:25]
	v_mul_f64 v[84:85], v[4:5], v[24:25]
	s_waitcnt lgkmcnt(2)
	v_mul_f64 v[88:89], v[38:39], v[20:21]
	v_mul_f64 v[20:21], v[36:37], v[20:21]
	v_add_f64 v[76:77], v[42:43], v[76:77]
	v_add_f64 v[50:51], v[86:87], v[50:51]
	;; [unrolled: 1-line block ×8, first 2 shown]
	v_mul_f64 v[56:57], v[38:39], v[24:25]
	v_mul_f64 v[24:25], v[36:37], v[24:25]
	ds_read_b128 v[40:43], v34 offset:3584
	ds_read_b128 v[44:47], v34 offset:3840
	s_waitcnt lgkmcnt(0)
	s_barrier
	v_fma_f64 v[78:79], v[4:5], v[18:19], -v[78:79]
	buffer_gl0_inv
	v_fma_f64 v[80:81], v[6:7], v[18:19], v[80:81]
	v_fma_f64 v[4:5], v[4:5], v[22:23], -v[82:83]
	v_fma_f64 v[6:7], v[6:7], v[22:23], v[84:85]
	v_fma_f64 v[82:83], v[36:37], v[18:19], -v[88:89]
	v_fma_f64 v[18:19], v[38:39], v[18:19], v[20:21]
	v_add_f64 v[20:21], v[76:77], v[64:65]
	v_add_f64 v[50:51], v[66:67], v[50:51]
	;; [unrolled: 1-line block ×8, first 2 shown]
	v_fma_f64 v[36:37], v[36:37], v[22:23], -v[56:57]
	v_fma_f64 v[22:23], v[38:39], v[22:23], v[24:25]
	v_mul_f64 v[24:25], v[10:11], v[42:43]
	v_mul_f64 v[38:39], v[8:9], v[42:43]
	;; [unrolled: 1-line block ×8, first 2 shown]
	v_add_f64 v[20:21], v[20:21], v[78:79]
	v_add_f64 v[50:51], v[80:81], v[50:51]
	;; [unrolled: 1-line block ×8, first 2 shown]
	v_fma_f64 v[16:17], v[8:9], v[40:41], -v[24:25]
	v_fma_f64 v[18:19], v[10:11], v[40:41], v[38:39]
	v_fma_f64 v[8:9], v[8:9], v[44:45], -v[52:53]
	v_fma_f64 v[10:11], v[10:11], v[44:45], v[56:57]
	;; [unrolled: 2-line block ×4, first 2 shown]
	v_add_f64 v[22:23], v[20:21], v[16:17]
	v_add_f64 v[24:25], v[18:19], v[50:51]
	;; [unrolled: 1-line block ×8, first 2 shown]
	s_cbranch_vccz .LBB551_8
.LBB551_3:                              ; =>This Inner Loop Header: Depth=1
	v_add_co_u32 v2, s9, v31, s22
	v_add_co_ci_u32_e64 v3, null, 0, s23, s9
	v_mov_b32_e32 v4, 0
	v_mov_b32_e32 v5, 0
	v_cmp_gt_i64_e32 vcc_lo, s[16:17], v[2:3]
	v_mov_b32_e32 v2, 0
	v_mov_b32_e32 v3, 0
	s_and_b32 s24, s0, vcc_lo
	s_and_saveexec_b32 s9, s24
	s_cbranch_execz .LBB551_5
; %bb.4:                                ;   in Loop: Header=BB551_3 Depth=1
	global_load_dwordx4 v[2:5], v[28:29], off offset:-8
	s_waitcnt vmcnt(0)
	v_xor_b32_e32 v5, 0x80000000, v5
.LBB551_5:                              ;   in Loop: Header=BB551_3 Depth=1
	s_or_b32 exec_lo, exec_lo, s9
	v_add_co_u32 v6, s9, v30, s22
	v_add_co_ci_u32_e64 v7, null, 0, s23, s9
	v_mov_b32_e32 v8, 0
	v_mov_b32_e32 v9, 0
	ds_write_b128 v32, v[2:5]
	v_cmp_gt_i64_e32 vcc_lo, s[16:17], v[6:7]
	v_mov_b32_e32 v6, 0
	v_mov_b32_e32 v7, 0
	s_and_b32 s24, vcc_lo, s1
	s_and_saveexec_b32 s9, s24
	s_cbranch_execz .LBB551_2
; %bb.6:                                ;   in Loop: Header=BB551_3 Depth=1
	global_load_dwordx4 v[6:9], v[26:27], off offset:-8
	s_waitcnt vmcnt(0)
	v_xor_b32_e32 v9, 0x80000000, v9
	s_branch .LBB551_2
.LBB551_7:
	v_mov_b32_e32 v22, 0
	v_mov_b32_e32 v24, 0
	;; [unrolled: 1-line block ×16, first 2 shown]
.LBB551_8:
	s_clause 0x1
	s_load_dwordx2 s[0:1], s[4:5], 0x90
	s_load_dwordx4 s[4:7], s[4:5], 0x80
	v_cmp_neq_f64_e64 s9, s[42:43], 0
	v_cmp_neq_f64_e64 s16, s[44:45], 0
	v_add_co_u32 v1, s2, s2, v1
	v_add_co_ci_u32_e64 v2, null, s3, 0, s2
	s_waitcnt lgkmcnt(0)
	s_mul_i32 s1, s1, s8
	s_mul_hi_u32 s17, s0, s8
	s_mul_i32 s0, s0, s8
	s_add_i32 s1, s17, s1
	s_lshl_b64 s[0:1], s[0:1], 4
	s_add_u32 s3, s4, s0
	v_cmp_gt_i64_e64 s0, s[14:15], v[1:2]
	s_addc_u32 s4, s5, s1
	s_or_b32 s1, s9, s16
	s_and_b32 vcc_lo, exec_lo, s1
	s_mov_b32 s1, -1
	s_cbranch_vccnz .LBB551_20
; %bb.9:
	s_and_saveexec_b32 s5, s0
	s_cbranch_execz .LBB551_19
; %bb.10:
	v_mul_lo_u32 v5, v2, s6
	v_mul_lo_u32 v6, v1, s7
	v_mad_u64_u32 v[3:4], null, v1, s6, 0
	v_add3_u32 v4, v4, v6, v5
	v_add_co_u32 v5, s1, s10, v0
	v_add_co_ci_u32_e64 v6, null, s11, 0, s1
	v_lshlrev_b64 v[7:8], 4, v[3:4]
	v_cmp_gt_i64_e32 vcc_lo, s[12:13], v[5:6]
	v_lshlrev_b64 v[3:4], 4, v[5:6]
	v_add_co_u32 v7, s1, s3, v7
	v_add_co_ci_u32_e64 v8, null, s4, v8, s1
	s_and_saveexec_b32 s2, vcc_lo
	s_cbranch_execz .LBB551_12
; %bb.11:
	v_mul_f64 v[26:27], s[20:21], v[24:25]
	v_mul_f64 v[28:29], s[18:19], v[24:25]
	v_add_co_u32 v30, s1, v7, v3
	v_add_co_ci_u32_e64 v31, null, v8, v4, s1
	v_fma_f64 v[26:27], s[18:19], v[22:23], -v[26:27]
	v_fma_f64 v[28:29], s[20:21], v[22:23], v[28:29]
	global_store_dwordx4 v[30:31], v[26:29], off
.LBB551_12:
	s_or_b32 exec_lo, exec_lo, s2
	v_add_co_u32 v5, s1, v5, 16
	v_add_co_ci_u32_e64 v6, null, 0, v6, s1
	v_cmp_gt_i64_e64 s1, s[12:13], v[5:6]
	s_and_saveexec_b32 s9, s1
	s_cbranch_execz .LBB551_14
; %bb.13:
	v_mul_f64 v[5:6], s[20:21], v[20:21]
	v_mul_f64 v[28:29], s[18:19], v[20:21]
	v_fma_f64 v[26:27], s[18:19], v[18:19], -v[5:6]
	v_fma_f64 v[28:29], s[20:21], v[18:19], v[28:29]
	v_add_co_u32 v5, s2, v7, v3
	v_add_co_ci_u32_e64 v6, null, v8, v4, s2
	global_store_dwordx4 v[5:6], v[26:29], off offset:256
.LBB551_14:
	s_or_b32 exec_lo, exec_lo, s9
	v_add_co_u32 v5, s2, v1, 16
	v_add_co_ci_u32_e64 v6, null, 0, v2, s2
	v_cmp_gt_i64_e64 s2, s[14:15], v[5:6]
	s_and_b32 exec_lo, exec_lo, s2
	s_cbranch_execz .LBB551_19
; %bb.15:
	s_lshl_b64 s[16:17], s[6:7], 8
	v_add_co_u32 v5, s2, v7, s16
	v_add_co_ci_u32_e64 v6, null, s17, v8, s2
	v_add_co_u32 v3, s2, v5, v3
	v_add_co_ci_u32_e64 v4, null, v6, v4, s2
	s_and_saveexec_b32 s2, vcc_lo
	s_cbranch_execz .LBB551_17
; %bb.16:
	v_mul_f64 v[5:6], s[20:21], v[16:17]
	v_mul_f64 v[7:8], s[18:19], v[16:17]
	v_fma_f64 v[5:6], s[18:19], v[14:15], -v[5:6]
	v_fma_f64 v[7:8], s[20:21], v[14:15], v[7:8]
	global_store_dwordx4 v[3:4], v[5:8], off
.LBB551_17:
	s_or_b32 exec_lo, exec_lo, s2
	s_and_b32 exec_lo, exec_lo, s1
	s_cbranch_execz .LBB551_19
; %bb.18:
	v_mul_f64 v[5:6], s[20:21], v[12:13]
	v_mul_f64 v[7:8], s[18:19], v[12:13]
	v_fma_f64 v[5:6], s[18:19], v[10:11], -v[5:6]
	v_fma_f64 v[7:8], s[20:21], v[10:11], v[7:8]
	global_store_dwordx4 v[3:4], v[5:8], off offset:256
.LBB551_19:
	s_or_b32 exec_lo, exec_lo, s5
	s_mov_b32 s1, 0
.LBB551_20:
	s_andn2_b32 vcc_lo, exec_lo, s1
	s_cbranch_vccnz .LBB551_31
; %bb.21:
	s_and_saveexec_b32 s1, s0
	s_cbranch_execz .LBB551_31
; %bb.22:
	v_mul_lo_u32 v5, v2, s48
	v_mul_lo_u32 v6, v1, s49
	v_mad_u64_u32 v[3:4], null, v1, s48, 0
	v_mul_lo_u32 v9, v2, s6
	v_mul_lo_u32 v26, v1, s7
	v_mad_u64_u32 v[7:8], null, v1, s6, 0
	s_mul_i32 s0, s51, s8
	s_mul_hi_u32 s1, s50, s8
	v_add3_u32 v4, v4, v6, v5
	s_add_i32 s1, s1, s0
	s_mul_i32 s0, s50, s8
	v_add_co_u32 v5, s2, s10, v0
	v_add3_u32 v8, v8, v26, v9
	v_lshlrev_b64 v[3:4], 4, v[3:4]
	s_lshl_b64 s[0:1], s[0:1], 4
	v_add_co_ci_u32_e64 v6, null, s11, 0, s2
	v_lshlrev_b64 v[8:9], 4, v[7:8]
	s_add_u32 s0, s46, s0
	s_addc_u32 s1, s47, s1
	v_add_co_u32 v0, s0, s0, v3
	v_add_co_ci_u32_e64 v7, null, s1, v4, s0
	v_add_co_u32 v8, s0, s3, v8
	v_cmp_gt_i64_e32 vcc_lo, s[12:13], v[5:6]
	v_lshlrev_b64 v[3:4], 4, v[5:6]
	v_add_co_ci_u32_e64 v9, null, s4, v9, s0
	s_and_saveexec_b32 s1, vcc_lo
	s_cbranch_execz .LBB551_24
; %bb.23:
	v_add_co_u32 v26, s0, v0, v3
	v_add_co_ci_u32_e64 v27, null, v7, v4, s0
	v_mul_f64 v[30:31], s[20:21], v[24:25]
	v_mul_f64 v[24:25], s[18:19], v[24:25]
	global_load_dwordx4 v[26:29], v[26:27], off
	v_fma_f64 v[30:31], s[18:19], v[22:23], -v[30:31]
	v_fma_f64 v[24:25], s[20:21], v[22:23], v[24:25]
	s_waitcnt vmcnt(0)
	v_mul_f64 v[32:33], s[44:45], v[28:29]
	v_mul_f64 v[28:29], s[42:43], v[28:29]
	v_fma_f64 v[22:23], s[42:43], v[26:27], -v[32:33]
	v_fma_f64 v[26:27], s[44:45], v[26:27], v[28:29]
	v_add_f64 v[22:23], v[30:31], v[22:23]
	v_add_f64 v[24:25], v[24:25], v[26:27]
	v_add_co_u32 v26, s0, v8, v3
	v_add_co_ci_u32_e64 v27, null, v9, v4, s0
	global_store_dwordx4 v[26:27], v[22:25], off
.LBB551_24:
	s_or_b32 exec_lo, exec_lo, s1
	v_add_co_u32 v5, s0, v5, 16
	v_add_co_ci_u32_e64 v6, null, 0, v6, s0
	v_cmp_gt_i64_e64 s0, s[12:13], v[5:6]
	s_and_saveexec_b32 s2, s0
	s_cbranch_execz .LBB551_26
; %bb.25:
	v_add_co_u32 v5, s1, v0, v3
	v_add_co_ci_u32_e64 v6, null, v7, v4, s1
	global_load_dwordx4 v[22:25], v[5:6], off offset:256
	v_mul_f64 v[5:6], s[20:21], v[20:21]
	v_mul_f64 v[20:21], s[18:19], v[20:21]
	v_fma_f64 v[5:6], s[18:19], v[18:19], -v[5:6]
	v_fma_f64 v[20:21], s[20:21], v[18:19], v[20:21]
	s_waitcnt vmcnt(0)
	v_mul_f64 v[26:27], s[44:45], v[24:25]
	v_mul_f64 v[24:25], s[42:43], v[24:25]
	v_fma_f64 v[18:19], s[42:43], v[22:23], -v[26:27]
	v_fma_f64 v[22:23], s[44:45], v[22:23], v[24:25]
	v_add_f64 v[18:19], v[5:6], v[18:19]
	v_add_f64 v[20:21], v[20:21], v[22:23]
	v_add_co_u32 v5, s1, v8, v3
	v_add_co_ci_u32_e64 v6, null, v9, v4, s1
	global_store_dwordx4 v[5:6], v[18:21], off offset:256
.LBB551_26:
	s_or_b32 exec_lo, exec_lo, s2
	v_add_co_u32 v1, s1, v1, 16
	v_add_co_ci_u32_e64 v2, null, 0, v2, s1
	v_cmp_gt_i64_e64 s1, s[14:15], v[1:2]
	s_and_b32 exec_lo, exec_lo, s1
	s_cbranch_execz .LBB551_31
; %bb.27:
	s_lshl_b64 s[2:3], s[48:49], 8
	v_add_co_u32 v0, s1, v0, s2
	v_add_co_ci_u32_e64 v1, null, s3, v7, s1
	s_lshl_b64 s[2:3], s[6:7], 8
	v_add_co_u32 v2, s1, v8, s2
	v_add_co_ci_u32_e64 v7, null, s3, v9, s1
	v_add_co_u32 v5, s1, v0, v3
	v_add_co_ci_u32_e64 v6, null, v1, v4, s1
	;; [unrolled: 2-line block ×3, first 2 shown]
	s_and_saveexec_b32 s1, vcc_lo
	s_cbranch_execz .LBB551_29
; %bb.28:
	global_load_dwordx4 v[18:21], v[5:6], off
	v_mul_f64 v[2:3], s[20:21], v[16:17]
	v_mul_f64 v[7:8], s[18:19], v[16:17]
	v_fma_f64 v[2:3], s[18:19], v[14:15], -v[2:3]
	v_fma_f64 v[7:8], s[20:21], v[14:15], v[7:8]
	s_waitcnt vmcnt(0)
	v_mul_f64 v[16:17], s[44:45], v[20:21]
	v_mul_f64 v[20:21], s[42:43], v[20:21]
	v_fma_f64 v[14:15], s[42:43], v[18:19], -v[16:17]
	v_fma_f64 v[16:17], s[44:45], v[18:19], v[20:21]
	v_add_f64 v[14:15], v[2:3], v[14:15]
	v_add_f64 v[16:17], v[7:8], v[16:17]
	global_store_dwordx4 v[0:1], v[14:17], off
.LBB551_29:
	s_or_b32 exec_lo, exec_lo, s1
	s_and_b32 exec_lo, exec_lo, s0
	s_cbranch_execz .LBB551_31
; %bb.30:
	global_load_dwordx4 v[2:5], v[5:6], off offset:256
	v_mul_f64 v[6:7], s[20:21], v[12:13]
	v_mul_f64 v[8:9], s[18:19], v[12:13]
	v_fma_f64 v[6:7], s[18:19], v[10:11], -v[6:7]
	v_fma_f64 v[8:9], s[20:21], v[10:11], v[8:9]
	s_waitcnt vmcnt(0)
	v_mul_f64 v[12:13], s[44:45], v[4:5]
	v_mul_f64 v[4:5], s[42:43], v[4:5]
	v_fma_f64 v[10:11], s[42:43], v[2:3], -v[12:13]
	v_fma_f64 v[4:5], s[44:45], v[2:3], v[4:5]
	v_add_f64 v[2:3], v[6:7], v[10:11]
	v_add_f64 v[4:5], v[8:9], v[4:5]
	global_store_dwordx4 v[0:1], v[2:5], off offset:256
.LBB551_31:
	s_endpgm
	.section	.rodata,"a",@progbits
	.p2align	6, 0x0
	.amdhsa_kernel _ZN12_GLOBAL__N_135rocblas_gemm_batched_general_kernelI19rocblas_complex_numIdELi16ELi16ELi32ELi32ELi8ELi32ELi8ELi8ELi32ELc67ELc67EKS2_S3_S2_EEvlllT_PT11_llS6_llS4_PT12_llPT13_lli
		.amdhsa_group_segment_fixed_size 8192
		.amdhsa_private_segment_fixed_size 0
		.amdhsa_kernarg_size 156
		.amdhsa_user_sgpr_count 6
		.amdhsa_user_sgpr_private_segment_buffer 1
		.amdhsa_user_sgpr_dispatch_ptr 0
		.amdhsa_user_sgpr_queue_ptr 0
		.amdhsa_user_sgpr_kernarg_segment_ptr 1
		.amdhsa_user_sgpr_dispatch_id 0
		.amdhsa_user_sgpr_flat_scratch_init 0
		.amdhsa_user_sgpr_private_segment_size 0
		.amdhsa_wavefront_size32 1
		.amdhsa_uses_dynamic_stack 0
		.amdhsa_system_sgpr_private_segment_wavefront_offset 0
		.amdhsa_system_sgpr_workgroup_id_x 1
		.amdhsa_system_sgpr_workgroup_id_y 1
		.amdhsa_system_sgpr_workgroup_id_z 1
		.amdhsa_system_sgpr_workgroup_info 0
		.amdhsa_system_vgpr_workitem_id 1
		.amdhsa_next_free_vgpr 126
		.amdhsa_next_free_sgpr 52
		.amdhsa_reserve_vcc 1
		.amdhsa_reserve_flat_scratch 0
		.amdhsa_float_round_mode_32 0
		.amdhsa_float_round_mode_16_64 0
		.amdhsa_float_denorm_mode_32 3
		.amdhsa_float_denorm_mode_16_64 3
		.amdhsa_dx10_clamp 1
		.amdhsa_ieee_mode 1
		.amdhsa_fp16_overflow 0
		.amdhsa_workgroup_processor_mode 1
		.amdhsa_memory_ordered 1
		.amdhsa_forward_progress 1
		.amdhsa_shared_vgpr_count 0
		.amdhsa_exception_fp_ieee_invalid_op 0
		.amdhsa_exception_fp_denorm_src 0
		.amdhsa_exception_fp_ieee_div_zero 0
		.amdhsa_exception_fp_ieee_overflow 0
		.amdhsa_exception_fp_ieee_underflow 0
		.amdhsa_exception_fp_ieee_inexact 0
		.amdhsa_exception_int_div_zero 0
	.end_amdhsa_kernel
	.section	.text._ZN12_GLOBAL__N_135rocblas_gemm_batched_general_kernelI19rocblas_complex_numIdELi16ELi16ELi32ELi32ELi8ELi32ELi8ELi8ELi32ELc67ELc67EKS2_S3_S2_EEvlllT_PT11_llS6_llS4_PT12_llPT13_lli,"axG",@progbits,_ZN12_GLOBAL__N_135rocblas_gemm_batched_general_kernelI19rocblas_complex_numIdELi16ELi16ELi32ELi32ELi8ELi32ELi8ELi8ELi32ELc67ELc67EKS2_S3_S2_EEvlllT_PT11_llS6_llS4_PT12_llPT13_lli,comdat
.Lfunc_end551:
	.size	_ZN12_GLOBAL__N_135rocblas_gemm_batched_general_kernelI19rocblas_complex_numIdELi16ELi16ELi32ELi32ELi8ELi32ELi8ELi8ELi32ELc67ELc67EKS2_S3_S2_EEvlllT_PT11_llS6_llS4_PT12_llPT13_lli, .Lfunc_end551-_ZN12_GLOBAL__N_135rocblas_gemm_batched_general_kernelI19rocblas_complex_numIdELi16ELi16ELi32ELi32ELi8ELi32ELi8ELi8ELi32ELc67ELc67EKS2_S3_S2_EEvlllT_PT11_llS6_llS4_PT12_llPT13_lli
                                        ; -- End function
	.set _ZN12_GLOBAL__N_135rocblas_gemm_batched_general_kernelI19rocblas_complex_numIdELi16ELi16ELi32ELi32ELi8ELi32ELi8ELi8ELi32ELc67ELc67EKS2_S3_S2_EEvlllT_PT11_llS6_llS4_PT12_llPT13_lli.num_vgpr, 126
	.set _ZN12_GLOBAL__N_135rocblas_gemm_batched_general_kernelI19rocblas_complex_numIdELi16ELi16ELi32ELi32ELi8ELi32ELi8ELi8ELi32ELc67ELc67EKS2_S3_S2_EEvlllT_PT11_llS6_llS4_PT12_llPT13_lli.num_agpr, 0
	.set _ZN12_GLOBAL__N_135rocblas_gemm_batched_general_kernelI19rocblas_complex_numIdELi16ELi16ELi32ELi32ELi8ELi32ELi8ELi8ELi32ELc67ELc67EKS2_S3_S2_EEvlllT_PT11_llS6_llS4_PT12_llPT13_lli.numbered_sgpr, 52
	.set _ZN12_GLOBAL__N_135rocblas_gemm_batched_general_kernelI19rocblas_complex_numIdELi16ELi16ELi32ELi32ELi8ELi32ELi8ELi8ELi32ELc67ELc67EKS2_S3_S2_EEvlllT_PT11_llS6_llS4_PT12_llPT13_lli.num_named_barrier, 0
	.set _ZN12_GLOBAL__N_135rocblas_gemm_batched_general_kernelI19rocblas_complex_numIdELi16ELi16ELi32ELi32ELi8ELi32ELi8ELi8ELi32ELc67ELc67EKS2_S3_S2_EEvlllT_PT11_llS6_llS4_PT12_llPT13_lli.private_seg_size, 0
	.set _ZN12_GLOBAL__N_135rocblas_gemm_batched_general_kernelI19rocblas_complex_numIdELi16ELi16ELi32ELi32ELi8ELi32ELi8ELi8ELi32ELc67ELc67EKS2_S3_S2_EEvlllT_PT11_llS6_llS4_PT12_llPT13_lli.uses_vcc, 1
	.set _ZN12_GLOBAL__N_135rocblas_gemm_batched_general_kernelI19rocblas_complex_numIdELi16ELi16ELi32ELi32ELi8ELi32ELi8ELi8ELi32ELc67ELc67EKS2_S3_S2_EEvlllT_PT11_llS6_llS4_PT12_llPT13_lli.uses_flat_scratch, 0
	.set _ZN12_GLOBAL__N_135rocblas_gemm_batched_general_kernelI19rocblas_complex_numIdELi16ELi16ELi32ELi32ELi8ELi32ELi8ELi8ELi32ELc67ELc67EKS2_S3_S2_EEvlllT_PT11_llS6_llS4_PT12_llPT13_lli.has_dyn_sized_stack, 0
	.set _ZN12_GLOBAL__N_135rocblas_gemm_batched_general_kernelI19rocblas_complex_numIdELi16ELi16ELi32ELi32ELi8ELi32ELi8ELi8ELi32ELc67ELc67EKS2_S3_S2_EEvlllT_PT11_llS6_llS4_PT12_llPT13_lli.has_recursion, 0
	.set _ZN12_GLOBAL__N_135rocblas_gemm_batched_general_kernelI19rocblas_complex_numIdELi16ELi16ELi32ELi32ELi8ELi32ELi8ELi8ELi32ELc67ELc67EKS2_S3_S2_EEvlllT_PT11_llS6_llS4_PT12_llPT13_lli.has_indirect_call, 0
	.section	.AMDGPU.csdata,"",@progbits
; Kernel info:
; codeLenInByte = 4068
; TotalNumSgprs: 54
; NumVgprs: 126
; ScratchSize: 0
; MemoryBound: 1
; FloatMode: 240
; IeeeMode: 1
; LDSByteSize: 8192 bytes/workgroup (compile time only)
; SGPRBlocks: 0
; VGPRBlocks: 15
; NumSGPRsForWavesPerEU: 54
; NumVGPRsForWavesPerEU: 126
; Occupancy: 8
; WaveLimiterHint : 0
; COMPUTE_PGM_RSRC2:SCRATCH_EN: 0
; COMPUTE_PGM_RSRC2:USER_SGPR: 6
; COMPUTE_PGM_RSRC2:TRAP_HANDLER: 0
; COMPUTE_PGM_RSRC2:TGID_X_EN: 1
; COMPUTE_PGM_RSRC2:TGID_Y_EN: 1
; COMPUTE_PGM_RSRC2:TGID_Z_EN: 1
; COMPUTE_PGM_RSRC2:TIDIG_COMP_CNT: 1
	.section	.text._ZN12_GLOBAL__N_135rocblas_gemm_batched_general_kernelI19rocblas_complex_numIdELi16ELi16ELi32ELi32ELi8ELi32ELi8ELi8ELi32ELc67ELc78EKS2_S3_S2_EEvlllT_PT11_llS6_llS4_PT12_llPT13_lli,"axG",@progbits,_ZN12_GLOBAL__N_135rocblas_gemm_batched_general_kernelI19rocblas_complex_numIdELi16ELi16ELi32ELi32ELi8ELi32ELi8ELi8ELi32ELc67ELc78EKS2_S3_S2_EEvlllT_PT11_llS6_llS4_PT12_llPT13_lli,comdat
	.globl	_ZN12_GLOBAL__N_135rocblas_gemm_batched_general_kernelI19rocblas_complex_numIdELi16ELi16ELi32ELi32ELi8ELi32ELi8ELi8ELi32ELc67ELc78EKS2_S3_S2_EEvlllT_PT11_llS6_llS4_PT12_llPT13_lli ; -- Begin function _ZN12_GLOBAL__N_135rocblas_gemm_batched_general_kernelI19rocblas_complex_numIdELi16ELi16ELi32ELi32ELi8ELi32ELi8ELi8ELi32ELc67ELc78EKS2_S3_S2_EEvlllT_PT11_llS6_llS4_PT12_llPT13_lli
	.p2align	8
	.type	_ZN12_GLOBAL__N_135rocblas_gemm_batched_general_kernelI19rocblas_complex_numIdELi16ELi16ELi32ELi32ELi8ELi32ELi8ELi8ELi32ELc67ELc78EKS2_S3_S2_EEvlllT_PT11_llS6_llS4_PT12_llPT13_lli,@function
_ZN12_GLOBAL__N_135rocblas_gemm_batched_general_kernelI19rocblas_complex_numIdELi16ELi16ELi32ELi32ELi8ELi32ELi8ELi8ELi32ELc67ELc78EKS2_S3_S2_EEvlllT_PT11_llS6_llS4_PT12_llPT13_lli: ; @_ZN12_GLOBAL__N_135rocblas_gemm_batched_general_kernelI19rocblas_complex_numIdELi16ELi16ELi32ELi32ELi8ELi32ELi8ELi8ELi32ELc67ELc78EKS2_S3_S2_EEvlllT_PT11_llS6_llS4_PT12_llPT13_lli
; %bb.0:
	s_clause 0x1
	s_load_dwordx16 s[12:27], s[4:5], 0x0
	s_load_dwordx16 s[36:51], s[4:5], 0x40
	s_mov_b32 s0, s7
	v_mov_b32_e32 v2, 0
	s_ashr_i32 s7, s6, 31
	s_ashr_i32 s1, s0, 31
	s_lshl_b64 s[10:11], s[6:7], 5
	s_waitcnt lgkmcnt(0)
	v_cmp_lt_i64_e64 s2, s[16:17], 1
	s_and_b32 vcc_lo, exec_lo, s2
	s_lshl_b64 s[2:3], s[0:1], 5
	s_cbranch_vccnz .LBB552_9
; %bb.1:
	v_lshl_add_u32 v3, v1, 4, v0
	v_and_b32_e32 v27, 7, v0
	v_mov_b32_e32 v4, s11
	s_mul_hi_u32 s6, s40, s8
	s_mul_hi_u32 s9, s26, s8
	v_lshrrev_b32_e32 v8, 3, v3
	v_and_b32_e32 v7, 31, v3
	v_lshlrev_b32_e32 v9, 4, v27
	v_lshrrev_b32_e32 v28, 5, v3
	v_mov_b32_e32 v13, 0
	v_add_co_u32 v5, s0, v8, s2
	v_or_b32_e32 v3, s10, v7
	v_lshlrev_b32_e32 v10, 4, v7
	v_add_co_ci_u32_e64 v6, null, 0, s3, s0
	v_add_co_u32 v7, s1, s10, v7
	v_lshl_or_b32 v8, v8, 7, v9
	v_add_co_ci_u32_e64 v12, null, s11, 0, s1
	v_cmp_gt_i64_e64 s0, s[12:13], v[3:4]
	v_lshl_or_b32 v29, v28, 9, v10
	v_mul_lo_u32 v10, s39, v5
	v_mul_lo_u32 v11, s38, v6
	v_mad_u64_u32 v[3:4], null, s38, v5, 0
	v_cmp_gt_i64_e32 vcc_lo, s[14:15], v[5:6]
	v_add_nc_u32_e32 v30, 0x1000, v8
	v_mul_lo_u32 v8, s25, v7
	v_mul_lo_u32 v12, s24, v12
	v_mad_u64_u32 v[5:6], null, s24, v7, 0
	v_add3_u32 v4, v4, v11, v10
	s_mul_i32 s1, s41, s8
	s_mul_i32 s24, s26, s8
	s_add_i32 s7, s6, s1
	s_mul_i32 s6, s40, s8
	v_lshlrev_b64 v[3:4], 4, v[3:4]
	v_add3_u32 v6, v6, v12, v8
	s_lshl_b64 s[6:7], s[6:7], 4
	s_mul_i32 s1, s27, s8
	v_lshlrev_b32_e32 v7, 4, v28
	s_add_i32 s25, s9, s1
	v_lshlrev_b64 v[5:6], 4, v[5:6]
	v_add_co_u32 v3, s1, v3, s6
	v_add_co_ci_u32_e64 v4, null, s7, v4, s1
	s_lshl_b64 s[6:7], s[24:25], 4
	v_mov_b32_e32 v11, 0
	v_add_co_u32 v5, s1, v5, s6
	v_add_co_ci_u32_e64 v6, null, s7, v6, s1
	v_add_co_u32 v3, s1, v3, v9
	v_add_co_ci_u32_e64 v4, null, 0, v4, s1
	;; [unrolled: 2-line block ×5, first 2 shown]
	v_mov_b32_e32 v9, 0
	v_add_co_u32 v25, s1, v3, 8
	v_mov_b32_e32 v7, 0
	v_mov_b32_e32 v17, 0
	;; [unrolled: 1-line block ×5, first 2 shown]
	v_lshlrev_b32_e32 v31, 4, v0
	v_lshl_add_u32 v32, v1, 7, 0x1000
	v_mov_b32_e32 v10, 0
	v_mov_b32_e32 v8, 0
	;; [unrolled: 1-line block ×8, first 2 shown]
	v_add_co_ci_u32_e64 v26, null, 0, v4, s1
	s_mov_b64 s[6:7], 0
	s_xor_b32 s1, vcc_lo, -1
	s_branch .LBB552_3
.LBB552_2:                              ;   in Loop: Header=BB552_3 Depth=1
	s_or_b32 exec_lo, exec_lo, s9
	s_waitcnt lgkmcnt(0)
	s_barrier
	buffer_gl0_inv
	ds_read_b128 v[3:6], v32
	ds_read_b128 v[33:36], v31
	ds_read_b128 v[37:40], v31 offset:256
	ds_read_b128 v[41:44], v32 offset:2048
	;; [unrolled: 1-line block ×12, first 2 shown]
	s_add_u32 s6, s6, 8
	s_addc_u32 s7, s7, 0
	v_add_co_u32 v23, vcc_lo, 0x80, v23
	v_cmp_lt_i64_e64 s9, s[6:7], s[16:17]
	v_add_co_ci_u32_e64 v24, null, 0, v24, vcc_lo
	s_waitcnt lgkmcnt(12)
	v_mul_f64 v[85:86], v[5:6], v[35:36]
	v_mul_f64 v[87:88], v[3:4], v[35:36]
	s_waitcnt lgkmcnt(11)
	v_mul_f64 v[89:90], v[5:6], v[39:40]
	v_mul_f64 v[91:92], v[3:4], v[39:40]
	;; [unrolled: 3-line block ×3, first 2 shown]
	v_mul_f64 v[95:96], v[43:44], v[39:40]
	v_mul_f64 v[39:40], v[41:42], v[39:40]
	s_waitcnt lgkmcnt(8)
	v_mul_f64 v[97:98], v[47:48], v[51:52]
	v_mul_f64 v[99:100], v[45:46], v[51:52]
	s_waitcnt lgkmcnt(7)
	;; [unrolled: 3-line block ×3, first 2 shown]
	v_mul_f64 v[105:106], v[59:60], v[51:52]
	v_mul_f64 v[51:52], v[57:58], v[51:52]
	v_mul_f64 v[107:108], v[59:60], v[55:56]
	v_mul_f64 v[55:56], v[57:58], v[55:56]
	s_waitcnt lgkmcnt(4)
	v_mul_f64 v[109:110], v[63:64], v[67:68]
	v_mul_f64 v[111:112], v[61:62], v[67:68]
	s_waitcnt lgkmcnt(3)
	v_mul_f64 v[113:114], v[63:64], v[71:72]
	v_mul_f64 v[115:116], v[61:62], v[71:72]
	;; [unrolled: 3-line block ×3, first 2 shown]
	v_fma_f64 v[85:86], v[3:4], v[33:34], -v[85:86]
	v_fma_f64 v[87:88], v[5:6], v[33:34], v[87:88]
	v_fma_f64 v[89:90], v[3:4], v[37:38], -v[89:90]
	v_fma_f64 v[91:92], v[5:6], v[37:38], v[91:92]
	v_fma_f64 v[93:94], v[41:42], v[33:34], -v[93:94]
	v_fma_f64 v[119:120], v[43:44], v[33:34], v[35:36]
	v_fma_f64 v[95:96], v[41:42], v[37:38], -v[95:96]
	v_fma_f64 v[121:122], v[43:44], v[37:38], v[39:40]
	v_mul_f64 v[123:124], v[75:76], v[71:72]
	v_mul_f64 v[71:72], v[73:74], v[71:72]
	ds_read_b128 v[3:6], v31 offset:1536
	ds_read_b128 v[33:36], v31 offset:1792
	v_fma_f64 v[97:98], v[45:46], v[49:50], -v[97:98]
	v_fma_f64 v[99:100], v[47:48], v[49:50], v[99:100]
	v_fma_f64 v[101:102], v[45:46], v[53:54], -v[101:102]
	v_fma_f64 v[103:104], v[47:48], v[53:54], v[103:104]
	;; [unrolled: 2-line block ×7, first 2 shown]
	v_add_f64 v[19:20], v[19:20], v[85:86]
	v_add_f64 v[21:22], v[87:88], v[21:22]
	;; [unrolled: 1-line block ×4, first 2 shown]
	s_waitcnt lgkmcnt(1)
	v_mul_f64 v[109:110], v[79:80], v[5:6]
	s_waitcnt lgkmcnt(0)
	v_mul_f64 v[67:68], v[79:80], v[35:36]
	v_fma_f64 v[73:74], v[73:74], v[69:70], -v[123:124]
	v_fma_f64 v[69:70], v[75:76], v[69:70], v[71:72]
	v_add_f64 v[71:72], v[11:12], v[93:94]
	v_add_f64 v[13:14], v[119:120], v[13:14]
	v_add_f64 v[75:76], v[7:8], v[95:96]
	v_add_f64 v[85:86], v[121:122], v[9:10]
	ds_read_b128 v[37:40], v32 offset:64
	ds_read_b128 v[41:44], v31 offset:2048
	;; [unrolled: 1-line block ×3, first 2 shown]
	v_mul_f64 v[111:112], v[77:78], v[5:6]
	v_mul_f64 v[113:114], v[77:78], v[35:36]
	;; [unrolled: 1-line block ×6, first 2 shown]
	ds_read_b128 v[49:52], v32 offset:2112
	ds_read_b128 v[9:12], v32 offset:2128
	v_add_f64 v[97:98], v[19:20], v[97:98]
	v_add_f64 v[21:22], v[99:100], v[21:22]
	;; [unrolled: 1-line block ×4, first 2 shown]
	v_fma_f64 v[89:90], v[77:78], v[3:4], -v[109:110]
	v_fma_f64 v[67:68], v[77:78], v[33:34], -v[67:68]
	ds_read_b128 v[5:8], v32 offset:80
	ds_read_b128 v[17:20], v31 offset:2816
	v_add_f64 v[71:72], v[71:72], v[105:106]
	v_add_f64 v[103:104], v[125:126], v[13:14]
	s_waitcnt lgkmcnt(5)
	v_mul_f64 v[77:78], v[39:40], v[43:44]
	v_mul_f64 v[93:94], v[37:38], v[43:44]
	v_add_f64 v[57:58], v[75:76], v[57:58]
	v_add_f64 v[53:54], v[53:54], v[85:86]
	ds_read_b128 v[13:16], v31 offset:2560
	s_waitcnt lgkmcnt(5)
	v_mul_f64 v[95:96], v[39:40], v[47:48]
	v_mul_f64 v[109:110], v[37:38], v[47:48]
	v_fma_f64 v[91:92], v[79:80], v[3:4], v[111:112]
	v_fma_f64 v[79:80], v[79:80], v[33:34], v[113:114]
	s_waitcnt lgkmcnt(4)
	v_mul_f64 v[111:112], v[51:52], v[43:44]
	v_mul_f64 v[43:44], v[49:50], v[43:44]
	v_fma_f64 v[75:76], v[81:82], v[3:4], -v[115:116]
	v_fma_f64 v[3:4], v[83:84], v[3:4], v[117:118]
	v_fma_f64 v[81:82], v[81:82], v[33:34], -v[87:88]
	v_fma_f64 v[83:84], v[83:84], v[33:34], v[35:36]
	v_add_f64 v[55:56], v[97:98], v[55:56]
	v_add_f64 v[59:60], v[59:60], v[21:22]
	;; [unrolled: 1-line block ×4, first 2 shown]
	s_waitcnt lgkmcnt(1)
	v_mul_f64 v[97:98], v[7:8], v[19:20]
	v_add_f64 v[71:72], v[71:72], v[107:108]
	v_add_f64 v[65:66], v[65:66], v[103:104]
	v_fma_f64 v[77:78], v[37:38], v[41:42], -v[77:78]
	v_fma_f64 v[85:86], v[39:40], v[41:42], v[93:94]
	v_add_f64 v[57:58], v[57:58], v[73:74]
	v_add_f64 v[53:54], v[69:70], v[53:54]
	s_waitcnt lgkmcnt(0)
	v_mul_f64 v[69:70], v[7:8], v[15:16]
	v_fma_f64 v[87:88], v[37:38], v[45:46], -v[95:96]
	v_fma_f64 v[93:94], v[39:40], v[45:46], v[109:110]
	v_mul_f64 v[37:38], v[51:52], v[47:48]
	v_mul_f64 v[39:40], v[49:50], v[47:48]
	v_fma_f64 v[47:48], v[49:50], v[41:42], -v[111:112]
	v_fma_f64 v[95:96], v[51:52], v[41:42], v[43:44]
	v_mul_f64 v[73:74], v[5:6], v[15:16]
	v_mul_f64 v[99:100], v[5:6], v[19:20]
	;; [unrolled: 1-line block ×6, first 2 shown]
	ds_read_b128 v[19:22], v32 offset:96
	ds_read_b128 v[33:36], v31 offset:3072
	v_add_co_u32 v25, vcc_lo, 0x80, v25
	v_add_co_ci_u32_e64 v26, null, 0, v26, vcc_lo
	v_add_f64 v[65:66], v[3:4], v[65:66]
	s_and_b32 vcc_lo, exec_lo, s9
	v_add_f64 v[57:58], v[57:58], v[81:82]
	v_add_f64 v[53:54], v[83:84], v[53:54]
	v_fma_f64 v[49:50], v[49:50], v[45:46], -v[37:38]
	v_fma_f64 v[45:46], v[51:52], v[45:46], v[39:40]
	v_add_f64 v[51:52], v[55:56], v[89:90]
	v_add_f64 v[55:56], v[91:92], v[59:60]
	v_add_f64 v[59:60], v[61:62], v[67:68]
	v_add_f64 v[61:62], v[79:80], v[63:64]
	v_add_f64 v[63:64], v[71:72], v[75:76]
	ds_read_b128 v[37:40], v31 offset:3328
	ds_read_b128 v[41:44], v32 offset:2144
	v_fma_f64 v[67:68], v[5:6], v[13:14], -v[69:70]
	v_fma_f64 v[69:70], v[7:8], v[13:14], v[73:74]
	v_fma_f64 v[71:72], v[5:6], v[17:18], -v[97:98]
	v_fma_f64 v[73:74], v[7:8], v[17:18], v[99:100]
	;; [unrolled: 2-line block ×3, first 2 shown]
	v_fma_f64 v[81:82], v[9:10], v[17:18], -v[103:104]
	s_waitcnt lgkmcnt(2)
	v_mul_f64 v[83:84], v[21:22], v[35:36]
	v_fma_f64 v[89:90], v[11:12], v[17:18], v[105:106]
	v_mul_f64 v[91:92], v[19:20], v[35:36]
	ds_read_b128 v[3:6], v32 offset:112
	ds_read_b128 v[7:10], v32 offset:2160
	;; [unrolled: 1-line block ×4, first 2 shown]
	s_waitcnt lgkmcnt(0)
	v_add_f64 v[49:50], v[57:58], v[49:50]
	v_add_f64 v[45:46], v[45:46], v[53:54]
	;; [unrolled: 1-line block ×4, first 2 shown]
	v_mul_f64 v[97:98], v[21:22], v[39:40]
	v_mul_f64 v[99:100], v[19:20], v[39:40]
	;; [unrolled: 1-line block ×4, first 2 shown]
	v_add_f64 v[59:60], v[59:60], v[87:88]
	v_add_f64 v[61:62], v[93:94], v[61:62]
	v_add_f64 v[47:48], v[63:64], v[47:48]
	v_add_f64 v[63:64], v[95:96], v[65:66]
	v_mul_f64 v[53:54], v[43:44], v[39:40]
	v_mul_f64 v[39:40], v[41:42], v[39:40]
	s_barrier
	v_fma_f64 v[57:58], v[19:20], v[33:34], -v[83:84]
	buffer_gl0_inv
	v_fma_f64 v[65:66], v[21:22], v[33:34], v[91:92]
	v_add_f64 v[49:50], v[49:50], v[81:82]
	v_add_f64 v[45:46], v[89:90], v[45:46]
	v_fma_f64 v[19:20], v[19:20], v[37:38], -v[97:98]
	v_fma_f64 v[21:22], v[21:22], v[37:38], v[99:100]
	v_fma_f64 v[77:78], v[41:42], v[33:34], -v[101:102]
	v_fma_f64 v[33:34], v[43:44], v[33:34], v[35:36]
	v_add_f64 v[35:36], v[51:52], v[67:68]
	v_add_f64 v[51:52], v[69:70], v[55:56]
	;; [unrolled: 1-line block ×6, first 2 shown]
	v_fma_f64 v[41:42], v[41:42], v[37:38], -v[53:54]
	v_fma_f64 v[37:38], v[43:44], v[37:38], v[39:40]
	v_mul_f64 v[39:40], v[5:6], v[13:14]
	v_mul_f64 v[43:44], v[3:4], v[13:14]
	v_mul_f64 v[53:54], v[5:6], v[17:18]
	v_mul_f64 v[63:64], v[3:4], v[17:18]
	v_mul_f64 v[67:68], v[9:10], v[13:14]
	v_mul_f64 v[13:14], v[7:8], v[13:14]
	v_mul_f64 v[69:70], v[9:10], v[17:18]
	v_mul_f64 v[17:18], v[7:8], v[17:18]
	v_add_f64 v[35:36], v[35:36], v[57:58]
	v_add_f64 v[51:52], v[65:66], v[51:52]
	;; [unrolled: 1-line block ×8, first 2 shown]
	v_fma_f64 v[19:20], v[3:4], v[11:12], -v[39:40]
	v_fma_f64 v[21:22], v[5:6], v[11:12], v[43:44]
	v_fma_f64 v[3:4], v[3:4], v[15:16], -v[53:54]
	v_fma_f64 v[5:6], v[5:6], v[15:16], v[63:64]
	v_fma_f64 v[39:40], v[7:8], v[11:12], -v[67:68]
	v_fma_f64 v[13:14], v[9:10], v[11:12], v[13:14]
	v_fma_f64 v[7:8], v[7:8], v[15:16], -v[69:70]
	v_fma_f64 v[9:10], v[9:10], v[15:16], v[17:18]
	v_add_f64 v[19:20], v[35:36], v[19:20]
	v_add_f64 v[21:22], v[21:22], v[51:52]
	;; [unrolled: 1-line block ×8, first 2 shown]
	s_cbranch_vccz .LBB552_10
.LBB552_3:                              ; =>This Inner Loop Header: Depth=1
	v_add_co_u32 v3, s9, v28, s6
	v_add_co_ci_u32_e64 v4, null, 0, s7, s9
	v_mov_b32_e32 v5, 0
	v_mov_b32_e32 v6, 0
	v_cmp_gt_i64_e32 vcc_lo, s[16:17], v[3:4]
	v_mov_b32_e32 v3, 0
	v_mov_b32_e32 v4, 0
	s_and_b32 s22, s0, vcc_lo
	s_and_saveexec_b32 s9, s22
	s_cbranch_execz .LBB552_5
; %bb.4:                                ;   in Loop: Header=BB552_3 Depth=1
	global_load_dwordx4 v[3:6], v[25:26], off offset:-8
	s_waitcnt vmcnt(0)
	v_xor_b32_e32 v6, 0x80000000, v6
.LBB552_5:                              ;   in Loop: Header=BB552_3 Depth=1
	s_or_b32 exec_lo, exec_lo, s9
	v_add_co_u32 v33, s9, v27, s6
	v_add_co_ci_u32_e64 v34, null, 0, s7, s9
	ds_write_b128 v29, v[3:6]
	v_cmp_le_i64_e32 vcc_lo, s[16:17], v[33:34]
	s_or_b32 s9, vcc_lo, s1
	s_and_saveexec_b32 s22, s9
	s_xor_b32 s9, exec_lo, s22
	s_cbranch_execz .LBB552_7
; %bb.6:                                ;   in Loop: Header=BB552_3 Depth=1
	v_mov_b32_e32 v3, v2
	v_mov_b32_e32 v4, v2
	;; [unrolled: 1-line block ×3, first 2 shown]
	ds_write_b128 v30, v[2:5]
.LBB552_7:                              ;   in Loop: Header=BB552_3 Depth=1
	s_andn2_saveexec_b32 s9, s9
	s_cbranch_execz .LBB552_2
; %bb.8:                                ;   in Loop: Header=BB552_3 Depth=1
	global_load_dwordx4 v[3:6], v[23:24], off
	s_waitcnt vmcnt(0)
	ds_write2_b64 v30, v[3:4], v[5:6] offset1:1
	s_branch .LBB552_2
.LBB552_9:
	v_mov_b32_e32 v19, 0
	v_mov_b32_e32 v21, 0
	v_mov_b32_e32 v15, 0
	v_mov_b32_e32 v17, 0
	v_mov_b32_e32 v11, 0
	v_mov_b32_e32 v13, 0
	v_mov_b32_e32 v7, 0
	v_mov_b32_e32 v9, 0
	v_mov_b32_e32 v20, 0
	v_mov_b32_e32 v22, 0
	v_mov_b32_e32 v16, 0
	v_mov_b32_e32 v18, 0
	v_mov_b32_e32 v12, 0
	v_mov_b32_e32 v14, 0
	v_mov_b32_e32 v8, 0
	v_mov_b32_e32 v10, 0
.LBB552_10:
	s_clause 0x1
	s_load_dwordx2 s[0:1], s[4:5], 0x90
	s_load_dwordx4 s[4:7], s[4:5], 0x80
	v_cmp_neq_f64_e64 s9, s[42:43], 0
	v_cmp_neq_f64_e64 s16, s[44:45], 0
	v_add_co_u32 v1, s2, s2, v1
	v_add_co_ci_u32_e64 v2, null, s3, 0, s2
	s_waitcnt lgkmcnt(0)
	s_mul_i32 s1, s1, s8
	s_mul_hi_u32 s17, s0, s8
	s_mul_i32 s0, s0, s8
	s_add_i32 s1, s17, s1
	s_lshl_b64 s[0:1], s[0:1], 4
	s_add_u32 s3, s4, s0
	v_cmp_gt_i64_e64 s0, s[14:15], v[1:2]
	s_addc_u32 s4, s5, s1
	s_or_b32 s1, s9, s16
	s_and_b32 vcc_lo, exec_lo, s1
	s_mov_b32 s1, -1
	s_cbranch_vccnz .LBB552_22
; %bb.11:
	s_and_saveexec_b32 s5, s0
	s_cbranch_execz .LBB552_21
; %bb.12:
	v_mul_lo_u32 v5, v2, s6
	v_mul_lo_u32 v6, v1, s7
	v_mad_u64_u32 v[3:4], null, v1, s6, 0
	v_add3_u32 v4, v4, v6, v5
	v_add_co_u32 v5, s1, s10, v0
	v_add_co_ci_u32_e64 v6, null, s11, 0, s1
	v_lshlrev_b64 v[23:24], 4, v[3:4]
	v_cmp_gt_i64_e32 vcc_lo, s[12:13], v[5:6]
	v_lshlrev_b64 v[3:4], 4, v[5:6]
	v_add_co_u32 v23, s1, s3, v23
	v_add_co_ci_u32_e64 v24, null, s4, v24, s1
	s_and_saveexec_b32 s2, vcc_lo
	s_cbranch_execz .LBB552_14
; %bb.13:
	v_mul_f64 v[25:26], s[20:21], v[21:22]
	v_mul_f64 v[27:28], s[18:19], v[21:22]
	v_add_co_u32 v29, s1, v23, v3
	v_add_co_ci_u32_e64 v30, null, v24, v4, s1
	v_fma_f64 v[25:26], s[18:19], v[19:20], -v[25:26]
	v_fma_f64 v[27:28], s[20:21], v[19:20], v[27:28]
	global_store_dwordx4 v[29:30], v[25:28], off
.LBB552_14:
	s_or_b32 exec_lo, exec_lo, s2
	v_add_co_u32 v5, s1, v5, 16
	v_add_co_ci_u32_e64 v6, null, 0, v6, s1
	v_cmp_gt_i64_e64 s1, s[12:13], v[5:6]
	s_and_saveexec_b32 s9, s1
	s_cbranch_execz .LBB552_16
; %bb.15:
	v_mul_f64 v[5:6], s[20:21], v[17:18]
	v_mul_f64 v[27:28], s[18:19], v[17:18]
	v_fma_f64 v[25:26], s[18:19], v[15:16], -v[5:6]
	v_fma_f64 v[27:28], s[20:21], v[15:16], v[27:28]
	v_add_co_u32 v5, s2, v23, v3
	v_add_co_ci_u32_e64 v6, null, v24, v4, s2
	global_store_dwordx4 v[5:6], v[25:28], off offset:256
.LBB552_16:
	s_or_b32 exec_lo, exec_lo, s9
	v_add_co_u32 v5, s2, v1, 16
	v_add_co_ci_u32_e64 v6, null, 0, v2, s2
	v_cmp_gt_i64_e64 s2, s[14:15], v[5:6]
	s_and_b32 exec_lo, exec_lo, s2
	s_cbranch_execz .LBB552_21
; %bb.17:
	s_lshl_b64 s[16:17], s[6:7], 8
	v_add_co_u32 v5, s2, v23, s16
	v_add_co_ci_u32_e64 v6, null, s17, v24, s2
	v_add_co_u32 v3, s2, v5, v3
	v_add_co_ci_u32_e64 v4, null, v6, v4, s2
	s_and_saveexec_b32 s2, vcc_lo
	s_cbranch_execz .LBB552_19
; %bb.18:
	v_mul_f64 v[5:6], s[20:21], v[13:14]
	v_mul_f64 v[25:26], s[18:19], v[13:14]
	v_fma_f64 v[23:24], s[18:19], v[11:12], -v[5:6]
	v_fma_f64 v[25:26], s[20:21], v[11:12], v[25:26]
	global_store_dwordx4 v[3:4], v[23:26], off
.LBB552_19:
	s_or_b32 exec_lo, exec_lo, s2
	s_and_b32 exec_lo, exec_lo, s1
	s_cbranch_execz .LBB552_21
; %bb.20:
	v_mul_f64 v[5:6], s[20:21], v[9:10]
	v_mul_f64 v[25:26], s[18:19], v[9:10]
	v_fma_f64 v[23:24], s[18:19], v[7:8], -v[5:6]
	v_fma_f64 v[25:26], s[20:21], v[7:8], v[25:26]
	global_store_dwordx4 v[3:4], v[23:26], off offset:256
.LBB552_21:
	s_or_b32 exec_lo, exec_lo, s5
	s_mov_b32 s1, 0
.LBB552_22:
	s_andn2_b32 vcc_lo, exec_lo, s1
	s_cbranch_vccnz .LBB552_33
; %bb.23:
	s_and_saveexec_b32 s1, s0
	s_cbranch_execz .LBB552_33
; %bb.24:
	v_mul_lo_u32 v5, v2, s48
	v_mul_lo_u32 v6, v1, s49
	v_mad_u64_u32 v[3:4], null, v1, s48, 0
	v_mul_lo_u32 v25, v2, s6
	v_mul_lo_u32 v26, v1, s7
	v_mad_u64_u32 v[23:24], null, v1, s6, 0
	s_mul_i32 s0, s51, s8
	s_mul_hi_u32 s1, s50, s8
	v_add3_u32 v4, v4, v6, v5
	s_add_i32 s1, s1, s0
	s_mul_i32 s0, s50, s8
	v_add_co_u32 v5, s2, s10, v0
	v_add3_u32 v24, v24, v26, v25
	v_lshlrev_b64 v[3:4], 4, v[3:4]
	s_lshl_b64 s[0:1], s[0:1], 4
	v_add_co_ci_u32_e64 v6, null, s11, 0, s2
	v_lshlrev_b64 v[24:25], 4, v[23:24]
	s_add_u32 s0, s46, s0
	s_addc_u32 s1, s47, s1
	v_add_co_u32 v0, s0, s0, v3
	v_add_co_ci_u32_e64 v23, null, s1, v4, s0
	v_add_co_u32 v24, s0, s3, v24
	v_cmp_gt_i64_e32 vcc_lo, s[12:13], v[5:6]
	v_lshlrev_b64 v[3:4], 4, v[5:6]
	v_add_co_ci_u32_e64 v25, null, s4, v25, s0
	s_and_saveexec_b32 s1, vcc_lo
	s_cbranch_execz .LBB552_26
; %bb.25:
	v_add_co_u32 v26, s0, v0, v3
	v_add_co_ci_u32_e64 v27, null, v23, v4, s0
	v_mul_f64 v[30:31], s[20:21], v[21:22]
	v_mul_f64 v[21:22], s[18:19], v[21:22]
	global_load_dwordx4 v[26:29], v[26:27], off
	v_fma_f64 v[30:31], s[18:19], v[19:20], -v[30:31]
	v_fma_f64 v[21:22], s[20:21], v[19:20], v[21:22]
	s_waitcnt vmcnt(0)
	v_mul_f64 v[32:33], s[44:45], v[28:29]
	v_mul_f64 v[28:29], s[42:43], v[28:29]
	v_fma_f64 v[19:20], s[42:43], v[26:27], -v[32:33]
	v_fma_f64 v[26:27], s[44:45], v[26:27], v[28:29]
	v_add_f64 v[19:20], v[30:31], v[19:20]
	v_add_f64 v[21:22], v[21:22], v[26:27]
	v_add_co_u32 v26, s0, v24, v3
	v_add_co_ci_u32_e64 v27, null, v25, v4, s0
	global_store_dwordx4 v[26:27], v[19:22], off
.LBB552_26:
	s_or_b32 exec_lo, exec_lo, s1
	v_add_co_u32 v5, s0, v5, 16
	v_add_co_ci_u32_e64 v6, null, 0, v6, s0
	v_cmp_gt_i64_e64 s0, s[12:13], v[5:6]
	s_and_saveexec_b32 s2, s0
	s_cbranch_execz .LBB552_28
; %bb.27:
	v_add_co_u32 v5, s1, v0, v3
	v_add_co_ci_u32_e64 v6, null, v23, v4, s1
	global_load_dwordx4 v[19:22], v[5:6], off offset:256
	v_mul_f64 v[5:6], s[20:21], v[17:18]
	v_mul_f64 v[17:18], s[18:19], v[17:18]
	v_fma_f64 v[5:6], s[18:19], v[15:16], -v[5:6]
	v_fma_f64 v[17:18], s[20:21], v[15:16], v[17:18]
	s_waitcnt vmcnt(0)
	v_mul_f64 v[26:27], s[44:45], v[21:22]
	v_mul_f64 v[21:22], s[42:43], v[21:22]
	v_fma_f64 v[15:16], s[42:43], v[19:20], -v[26:27]
	v_fma_f64 v[19:20], s[44:45], v[19:20], v[21:22]
	v_add_f64 v[15:16], v[5:6], v[15:16]
	v_add_f64 v[17:18], v[17:18], v[19:20]
	v_add_co_u32 v5, s1, v24, v3
	v_add_co_ci_u32_e64 v6, null, v25, v4, s1
	global_store_dwordx4 v[5:6], v[15:18], off offset:256
.LBB552_28:
	s_or_b32 exec_lo, exec_lo, s2
	v_add_co_u32 v1, s1, v1, 16
	v_add_co_ci_u32_e64 v2, null, 0, v2, s1
	v_cmp_gt_i64_e64 s1, s[14:15], v[1:2]
	s_and_b32 exec_lo, exec_lo, s1
	s_cbranch_execz .LBB552_33
; %bb.29:
	s_lshl_b64 s[2:3], s[48:49], 8
	v_add_co_u32 v0, s1, v0, s2
	v_add_co_ci_u32_e64 v1, null, s3, v23, s1
	s_lshl_b64 s[2:3], s[6:7], 8
	v_add_co_u32 v2, s1, v24, s2
	v_add_co_ci_u32_e64 v15, null, s3, v25, s1
	v_add_co_u32 v5, s1, v0, v3
	v_add_co_ci_u32_e64 v6, null, v1, v4, s1
	;; [unrolled: 2-line block ×3, first 2 shown]
	s_and_saveexec_b32 s1, vcc_lo
	s_cbranch_execz .LBB552_31
; %bb.30:
	global_load_dwordx4 v[15:18], v[5:6], off
	v_mul_f64 v[2:3], s[20:21], v[13:14]
	v_mul_f64 v[13:14], s[18:19], v[13:14]
	v_fma_f64 v[2:3], s[18:19], v[11:12], -v[2:3]
	v_fma_f64 v[13:14], s[20:21], v[11:12], v[13:14]
	s_waitcnt vmcnt(0)
	v_mul_f64 v[19:20], s[44:45], v[17:18]
	v_mul_f64 v[17:18], s[42:43], v[17:18]
	v_fma_f64 v[11:12], s[42:43], v[15:16], -v[19:20]
	v_fma_f64 v[15:16], s[44:45], v[15:16], v[17:18]
	v_add_f64 v[11:12], v[2:3], v[11:12]
	v_add_f64 v[13:14], v[13:14], v[15:16]
	global_store_dwordx4 v[0:1], v[11:14], off
.LBB552_31:
	s_or_b32 exec_lo, exec_lo, s1
	s_and_b32 exec_lo, exec_lo, s0
	s_cbranch_execz .LBB552_33
; %bb.32:
	global_load_dwordx4 v[2:5], v[5:6], off offset:256
	v_mul_f64 v[11:12], s[20:21], v[9:10]
	v_mul_f64 v[9:10], s[18:19], v[9:10]
	v_fma_f64 v[11:12], s[18:19], v[7:8], -v[11:12]
	v_fma_f64 v[6:7], s[20:21], v[7:8], v[9:10]
	s_waitcnt vmcnt(0)
	v_mul_f64 v[13:14], s[44:45], v[4:5]
	v_mul_f64 v[4:5], s[42:43], v[4:5]
	v_fma_f64 v[8:9], s[42:43], v[2:3], -v[13:14]
	v_fma_f64 v[4:5], s[44:45], v[2:3], v[4:5]
	v_add_f64 v[2:3], v[11:12], v[8:9]
	v_add_f64 v[4:5], v[6:7], v[4:5]
	global_store_dwordx4 v[0:1], v[2:5], off offset:256
.LBB552_33:
	s_endpgm
	.section	.rodata,"a",@progbits
	.p2align	6, 0x0
	.amdhsa_kernel _ZN12_GLOBAL__N_135rocblas_gemm_batched_general_kernelI19rocblas_complex_numIdELi16ELi16ELi32ELi32ELi8ELi32ELi8ELi8ELi32ELc67ELc78EKS2_S3_S2_EEvlllT_PT11_llS6_llS4_PT12_llPT13_lli
		.amdhsa_group_segment_fixed_size 8192
		.amdhsa_private_segment_fixed_size 0
		.amdhsa_kernarg_size 156
		.amdhsa_user_sgpr_count 6
		.amdhsa_user_sgpr_private_segment_buffer 1
		.amdhsa_user_sgpr_dispatch_ptr 0
		.amdhsa_user_sgpr_queue_ptr 0
		.amdhsa_user_sgpr_kernarg_segment_ptr 1
		.amdhsa_user_sgpr_dispatch_id 0
		.amdhsa_user_sgpr_flat_scratch_init 0
		.amdhsa_user_sgpr_private_segment_size 0
		.amdhsa_wavefront_size32 1
		.amdhsa_uses_dynamic_stack 0
		.amdhsa_system_sgpr_private_segment_wavefront_offset 0
		.amdhsa_system_sgpr_workgroup_id_x 1
		.amdhsa_system_sgpr_workgroup_id_y 1
		.amdhsa_system_sgpr_workgroup_id_z 1
		.amdhsa_system_sgpr_workgroup_info 0
		.amdhsa_system_vgpr_workitem_id 1
		.amdhsa_next_free_vgpr 127
		.amdhsa_next_free_sgpr 52
		.amdhsa_reserve_vcc 1
		.amdhsa_reserve_flat_scratch 0
		.amdhsa_float_round_mode_32 0
		.amdhsa_float_round_mode_16_64 0
		.amdhsa_float_denorm_mode_32 3
		.amdhsa_float_denorm_mode_16_64 3
		.amdhsa_dx10_clamp 1
		.amdhsa_ieee_mode 1
		.amdhsa_fp16_overflow 0
		.amdhsa_workgroup_processor_mode 1
		.amdhsa_memory_ordered 1
		.amdhsa_forward_progress 1
		.amdhsa_shared_vgpr_count 0
		.amdhsa_exception_fp_ieee_invalid_op 0
		.amdhsa_exception_fp_denorm_src 0
		.amdhsa_exception_fp_ieee_div_zero 0
		.amdhsa_exception_fp_ieee_overflow 0
		.amdhsa_exception_fp_ieee_underflow 0
		.amdhsa_exception_fp_ieee_inexact 0
		.amdhsa_exception_int_div_zero 0
	.end_amdhsa_kernel
	.section	.text._ZN12_GLOBAL__N_135rocblas_gemm_batched_general_kernelI19rocblas_complex_numIdELi16ELi16ELi32ELi32ELi8ELi32ELi8ELi8ELi32ELc67ELc78EKS2_S3_S2_EEvlllT_PT11_llS6_llS4_PT12_llPT13_lli,"axG",@progbits,_ZN12_GLOBAL__N_135rocblas_gemm_batched_general_kernelI19rocblas_complex_numIdELi16ELi16ELi32ELi32ELi8ELi32ELi8ELi8ELi32ELc67ELc78EKS2_S3_S2_EEvlllT_PT11_llS6_llS4_PT12_llPT13_lli,comdat
.Lfunc_end552:
	.size	_ZN12_GLOBAL__N_135rocblas_gemm_batched_general_kernelI19rocblas_complex_numIdELi16ELi16ELi32ELi32ELi8ELi32ELi8ELi8ELi32ELc67ELc78EKS2_S3_S2_EEvlllT_PT11_llS6_llS4_PT12_llPT13_lli, .Lfunc_end552-_ZN12_GLOBAL__N_135rocblas_gemm_batched_general_kernelI19rocblas_complex_numIdELi16ELi16ELi32ELi32ELi8ELi32ELi8ELi8ELi32ELc67ELc78EKS2_S3_S2_EEvlllT_PT11_llS6_llS4_PT12_llPT13_lli
                                        ; -- End function
	.set _ZN12_GLOBAL__N_135rocblas_gemm_batched_general_kernelI19rocblas_complex_numIdELi16ELi16ELi32ELi32ELi8ELi32ELi8ELi8ELi32ELc67ELc78EKS2_S3_S2_EEvlllT_PT11_llS6_llS4_PT12_llPT13_lli.num_vgpr, 127
	.set _ZN12_GLOBAL__N_135rocblas_gemm_batched_general_kernelI19rocblas_complex_numIdELi16ELi16ELi32ELi32ELi8ELi32ELi8ELi8ELi32ELc67ELc78EKS2_S3_S2_EEvlllT_PT11_llS6_llS4_PT12_llPT13_lli.num_agpr, 0
	.set _ZN12_GLOBAL__N_135rocblas_gemm_batched_general_kernelI19rocblas_complex_numIdELi16ELi16ELi32ELi32ELi8ELi32ELi8ELi8ELi32ELc67ELc78EKS2_S3_S2_EEvlllT_PT11_llS6_llS4_PT12_llPT13_lli.numbered_sgpr, 52
	.set _ZN12_GLOBAL__N_135rocblas_gemm_batched_general_kernelI19rocblas_complex_numIdELi16ELi16ELi32ELi32ELi8ELi32ELi8ELi8ELi32ELc67ELc78EKS2_S3_S2_EEvlllT_PT11_llS6_llS4_PT12_llPT13_lli.num_named_barrier, 0
	.set _ZN12_GLOBAL__N_135rocblas_gemm_batched_general_kernelI19rocblas_complex_numIdELi16ELi16ELi32ELi32ELi8ELi32ELi8ELi8ELi32ELc67ELc78EKS2_S3_S2_EEvlllT_PT11_llS6_llS4_PT12_llPT13_lli.private_seg_size, 0
	.set _ZN12_GLOBAL__N_135rocblas_gemm_batched_general_kernelI19rocblas_complex_numIdELi16ELi16ELi32ELi32ELi8ELi32ELi8ELi8ELi32ELc67ELc78EKS2_S3_S2_EEvlllT_PT11_llS6_llS4_PT12_llPT13_lli.uses_vcc, 1
	.set _ZN12_GLOBAL__N_135rocblas_gemm_batched_general_kernelI19rocblas_complex_numIdELi16ELi16ELi32ELi32ELi8ELi32ELi8ELi8ELi32ELc67ELc78EKS2_S3_S2_EEvlllT_PT11_llS6_llS4_PT12_llPT13_lli.uses_flat_scratch, 0
	.set _ZN12_GLOBAL__N_135rocblas_gemm_batched_general_kernelI19rocblas_complex_numIdELi16ELi16ELi32ELi32ELi8ELi32ELi8ELi8ELi32ELc67ELc78EKS2_S3_S2_EEvlllT_PT11_llS6_llS4_PT12_llPT13_lli.has_dyn_sized_stack, 0
	.set _ZN12_GLOBAL__N_135rocblas_gemm_batched_general_kernelI19rocblas_complex_numIdELi16ELi16ELi32ELi32ELi8ELi32ELi8ELi8ELi32ELc67ELc78EKS2_S3_S2_EEvlllT_PT11_llS6_llS4_PT12_llPT13_lli.has_recursion, 0
	.set _ZN12_GLOBAL__N_135rocblas_gemm_batched_general_kernelI19rocblas_complex_numIdELi16ELi16ELi32ELi32ELi8ELi32ELi8ELi8ELi32ELc67ELc78EKS2_S3_S2_EEvlllT_PT11_llS6_llS4_PT12_llPT13_lli.has_indirect_call, 0
	.section	.AMDGPU.csdata,"",@progbits
; Kernel info:
; codeLenInByte = 4052
; TotalNumSgprs: 54
; NumVgprs: 127
; ScratchSize: 0
; MemoryBound: 1
; FloatMode: 240
; IeeeMode: 1
; LDSByteSize: 8192 bytes/workgroup (compile time only)
; SGPRBlocks: 0
; VGPRBlocks: 15
; NumSGPRsForWavesPerEU: 54
; NumVGPRsForWavesPerEU: 127
; Occupancy: 8
; WaveLimiterHint : 0
; COMPUTE_PGM_RSRC2:SCRATCH_EN: 0
; COMPUTE_PGM_RSRC2:USER_SGPR: 6
; COMPUTE_PGM_RSRC2:TRAP_HANDLER: 0
; COMPUTE_PGM_RSRC2:TGID_X_EN: 1
; COMPUTE_PGM_RSRC2:TGID_Y_EN: 1
; COMPUTE_PGM_RSRC2:TGID_Z_EN: 1
; COMPUTE_PGM_RSRC2:TIDIG_COMP_CNT: 1
	.section	.text._ZN12_GLOBAL__N_135rocblas_gemm_batched_general_kernelI19rocblas_complex_numIdELi16ELi16ELi32ELi32ELi8ELi32ELi8ELi8ELi32ELc67ELc84EKS2_S3_S2_EEvlllT_PT11_llS6_llS4_PT12_llPT13_lli,"axG",@progbits,_ZN12_GLOBAL__N_135rocblas_gemm_batched_general_kernelI19rocblas_complex_numIdELi16ELi16ELi32ELi32ELi8ELi32ELi8ELi8ELi32ELc67ELc84EKS2_S3_S2_EEvlllT_PT11_llS6_llS4_PT12_llPT13_lli,comdat
	.globl	_ZN12_GLOBAL__N_135rocblas_gemm_batched_general_kernelI19rocblas_complex_numIdELi16ELi16ELi32ELi32ELi8ELi32ELi8ELi8ELi32ELc67ELc84EKS2_S3_S2_EEvlllT_PT11_llS6_llS4_PT12_llPT13_lli ; -- Begin function _ZN12_GLOBAL__N_135rocblas_gemm_batched_general_kernelI19rocblas_complex_numIdELi16ELi16ELi32ELi32ELi8ELi32ELi8ELi8ELi32ELc67ELc84EKS2_S3_S2_EEvlllT_PT11_llS6_llS4_PT12_llPT13_lli
	.p2align	8
	.type	_ZN12_GLOBAL__N_135rocblas_gemm_batched_general_kernelI19rocblas_complex_numIdELi16ELi16ELi32ELi32ELi8ELi32ELi8ELi8ELi32ELc67ELc84EKS2_S3_S2_EEvlllT_PT11_llS6_llS4_PT12_llPT13_lli,@function
_ZN12_GLOBAL__N_135rocblas_gemm_batched_general_kernelI19rocblas_complex_numIdELi16ELi16ELi32ELi32ELi8ELi32ELi8ELi8ELi32ELc67ELc84EKS2_S3_S2_EEvlllT_PT11_llS6_llS4_PT12_llPT13_lli: ; @_ZN12_GLOBAL__N_135rocblas_gemm_batched_general_kernelI19rocblas_complex_numIdELi16ELi16ELi32ELi32ELi8ELi32ELi8ELi8ELi32ELc67ELc84EKS2_S3_S2_EEvlllT_PT11_llS6_llS4_PT12_llPT13_lli
; %bb.0:
	s_clause 0x1
	s_load_dwordx16 s[12:27], s[4:5], 0x0
	s_load_dwordx16 s[36:51], s[4:5], 0x40
	s_mov_b32 s28, s7
	v_mov_b32_e32 v2, 0
	s_ashr_i32 s7, s6, 31
	s_ashr_i32 s29, s28, 31
	s_lshl_b64 s[10:11], s[6:7], 5
	s_lshl_b64 s[2:3], s[28:29], 5
	s_waitcnt lgkmcnt(0)
	v_cmp_lt_i64_e64 s0, s[16:17], 1
	s_and_b32 vcc_lo, exec_lo, s0
	s_cbranch_vccnz .LBB553_9
; %bb.1:
	v_lshl_add_u32 v3, v1, 4, v0
	v_and_b32_e32 v27, 7, v0
	v_mov_b32_e32 v4, s11
	s_mul_i32 s1, s41, s8
	s_mul_hi_u32 s6, s40, s8
	v_and_b32_e32 v9, 31, v3
	v_mad_u64_u32 v[5:6], null, s38, v27, 0
	v_lshrrev_b32_e32 v10, 3, v3
	v_lshrrev_b32_e32 v28, 5, v3
	v_or_b32_e32 v3, s10, v9
	v_lshlrev_b32_e32 v11, 4, v27
	v_lshlrev_b32_e32 v12, 4, v9
	v_add_co_u32 v7, s0, v10, s2
	v_add_co_ci_u32_e64 v8, null, 0, s3, s0
	v_cmp_gt_i64_e64 s0, s[12:13], v[3:4]
	v_mov_b32_e32 v3, v6
	v_lshl_or_b32 v11, v10, 7, v11
	v_cmp_gt_i64_e32 vcc_lo, s[14:15], v[7:8]
	v_lshl_or_b32 v29, v28, 9, v12
	v_mov_b32_e32 v13, 0
	v_mad_u64_u32 v[3:4], null, s39, v27, v[3:4]
	v_add_co_u32 v4, s7, s10, v9
	v_add_co_ci_u32_e64 v7, null, s11, 0, s7
	s_add_i32 s7, s6, s1
	v_mul_lo_u32 v8, s25, v4
	v_mov_b32_e32 v6, v3
	v_mul_lo_u32 v7, s24, v7
	v_mad_u64_u32 v[3:4], null, s24, v4, 0
	s_mul_i32 s6, s40, s8
	v_lshlrev_b64 v[5:6], 4, v[5:6]
	s_lshl_b64 s[6:7], s[6:7], 4
	s_lshl_b64 s[24:25], s[28:29], 9
	v_add_nc_u32_e32 v30, 0x1000, v11
	s_add_u32 s1, s24, s6
	v_add3_u32 v4, v4, v7, v8
	s_addc_u32 s6, s25, s7
	v_add_co_u32 v5, s1, s1, v5
	v_add_co_ci_u32_e64 v6, null, s6, v6, s1
	s_mul_i32 s1, s27, s8
	s_mul_hi_u32 s6, s26, s8
	v_lshlrev_b64 v[3:4], 4, v[3:4]
	s_add_i32 s7, s6, s1
	s_mul_i32 s6, s26, s8
	v_lshlrev_b32_e32 v7, 4, v10
	s_lshl_b64 s[6:7], s[6:7], 4
	v_lshlrev_b32_e32 v8, 4, v28
	v_add_co_u32 v3, s1, v3, s6
	v_add_co_ci_u32_e64 v4, null, s7, v4, s1
	v_add_co_u32 v5, s1, v5, v7
	v_add_co_ci_u32_e64 v6, null, 0, v6, s1
	v_add_co_u32 v3, s1, v3, v8
	v_add_co_ci_u32_e64 v4, null, 0, v4, s1
	v_add_co_u32 v23, s1, s36, v5
	v_add_co_ci_u32_e64 v24, null, s37, v6, s1
	v_add_co_u32 v3, s1, s22, v3
	v_add_co_ci_u32_e64 v4, null, s23, v4, s1
	v_mov_b32_e32 v9, 0
	v_add_co_u32 v25, s1, v3, 8
	v_mov_b32_e32 v7, 0
	v_mov_b32_e32 v11, 0
	;; [unrolled: 1-line block ×6, first 2 shown]
	v_lshlrev_b32_e32 v31, 4, v0
	v_lshl_add_u32 v32, v1, 7, 0x1000
	v_mov_b32_e32 v10, 0
	v_mov_b32_e32 v8, 0
	;; [unrolled: 1-line block ×8, first 2 shown]
	v_add_co_ci_u32_e64 v26, null, 0, v4, s1
	s_lshl_b64 s[6:7], s[38:39], 7
	s_mov_b64 s[22:23], 0
	s_xor_b32 s1, vcc_lo, -1
	s_branch .LBB553_3
.LBB553_2:                              ;   in Loop: Header=BB553_3 Depth=1
	s_or_b32 exec_lo, exec_lo, s9
	s_waitcnt lgkmcnt(0)
	s_barrier
	buffer_gl0_inv
	ds_read_b128 v[3:6], v32
	ds_read_b128 v[33:36], v31
	ds_read_b128 v[37:40], v31 offset:256
	ds_read_b128 v[41:44], v32 offset:2048
	;; [unrolled: 1-line block ×12, first 2 shown]
	s_add_u32 s22, s22, 8
	s_addc_u32 s23, s23, 0
	v_add_co_u32 v23, vcc_lo, v23, s6
	v_cmp_lt_i64_e64 s9, s[22:23], s[16:17]
	v_add_co_ci_u32_e64 v24, null, s7, v24, vcc_lo
	s_waitcnt lgkmcnt(12)
	v_mul_f64 v[85:86], v[5:6], v[35:36]
	v_mul_f64 v[87:88], v[3:4], v[35:36]
	s_waitcnt lgkmcnt(11)
	v_mul_f64 v[89:90], v[5:6], v[39:40]
	v_mul_f64 v[91:92], v[3:4], v[39:40]
	;; [unrolled: 3-line block ×3, first 2 shown]
	v_mul_f64 v[95:96], v[43:44], v[39:40]
	v_mul_f64 v[39:40], v[41:42], v[39:40]
	s_waitcnt lgkmcnt(8)
	v_mul_f64 v[97:98], v[47:48], v[51:52]
	v_mul_f64 v[99:100], v[45:46], v[51:52]
	s_waitcnt lgkmcnt(7)
	;; [unrolled: 3-line block ×3, first 2 shown]
	v_mul_f64 v[105:106], v[59:60], v[51:52]
	v_mul_f64 v[51:52], v[57:58], v[51:52]
	;; [unrolled: 1-line block ×4, first 2 shown]
	s_waitcnt lgkmcnt(4)
	v_mul_f64 v[109:110], v[63:64], v[67:68]
	v_mul_f64 v[111:112], v[61:62], v[67:68]
	s_waitcnt lgkmcnt(3)
	v_mul_f64 v[113:114], v[63:64], v[71:72]
	v_mul_f64 v[115:116], v[61:62], v[71:72]
	;; [unrolled: 3-line block ×3, first 2 shown]
	v_fma_f64 v[85:86], v[3:4], v[33:34], -v[85:86]
	v_fma_f64 v[87:88], v[5:6], v[33:34], v[87:88]
	v_fma_f64 v[89:90], v[3:4], v[37:38], -v[89:90]
	v_fma_f64 v[91:92], v[5:6], v[37:38], v[91:92]
	;; [unrolled: 2-line block ×4, first 2 shown]
	v_mul_f64 v[123:124], v[75:76], v[71:72]
	v_mul_f64 v[71:72], v[73:74], v[71:72]
	ds_read_b128 v[3:6], v31 offset:1536
	ds_read_b128 v[33:36], v31 offset:1792
	v_fma_f64 v[97:98], v[45:46], v[49:50], -v[97:98]
	v_fma_f64 v[99:100], v[47:48], v[49:50], v[99:100]
	v_fma_f64 v[101:102], v[45:46], v[53:54], -v[101:102]
	v_fma_f64 v[103:104], v[47:48], v[53:54], v[103:104]
	v_fma_f64 v[105:106], v[57:58], v[49:50], -v[105:106]
	v_fma_f64 v[125:126], v[59:60], v[49:50], v[51:52]
	v_fma_f64 v[57:58], v[57:58], v[53:54], -v[107:108]
	v_fma_f64 v[53:54], v[59:60], v[53:54], v[55:56]
	v_fma_f64 v[55:56], v[61:62], v[65:66], -v[109:110]
	v_fma_f64 v[59:60], v[63:64], v[65:66], v[111:112]
	v_fma_f64 v[61:62], v[61:62], v[69:70], -v[113:114]
	v_fma_f64 v[63:64], v[63:64], v[69:70], v[115:116]
	v_fma_f64 v[107:108], v[73:74], v[65:66], -v[117:118]
	v_fma_f64 v[65:66], v[75:76], v[65:66], v[67:68]
	v_add_f64 v[19:20], v[19:20], v[85:86]
	v_add_f64 v[21:22], v[87:88], v[21:22]
	;; [unrolled: 1-line block ×4, first 2 shown]
	s_waitcnt lgkmcnt(1)
	v_mul_f64 v[109:110], v[79:80], v[5:6]
	s_waitcnt lgkmcnt(0)
	v_mul_f64 v[67:68], v[79:80], v[35:36]
	v_fma_f64 v[73:74], v[73:74], v[69:70], -v[123:124]
	v_fma_f64 v[69:70], v[75:76], v[69:70], v[71:72]
	v_add_f64 v[71:72], v[11:12], v[93:94]
	v_add_f64 v[13:14], v[119:120], v[13:14]
	;; [unrolled: 1-line block ×4, first 2 shown]
	ds_read_b128 v[37:40], v32 offset:64
	ds_read_b128 v[41:44], v31 offset:2048
	;; [unrolled: 1-line block ×3, first 2 shown]
	v_mul_f64 v[111:112], v[77:78], v[5:6]
	v_mul_f64 v[113:114], v[77:78], v[35:36]
	;; [unrolled: 1-line block ×6, first 2 shown]
	ds_read_b128 v[49:52], v32 offset:2112
	ds_read_b128 v[9:12], v32 offset:2128
	v_add_f64 v[97:98], v[19:20], v[97:98]
	v_add_f64 v[21:22], v[99:100], v[21:22]
	;; [unrolled: 1-line block ×4, first 2 shown]
	v_fma_f64 v[89:90], v[77:78], v[3:4], -v[109:110]
	v_fma_f64 v[67:68], v[77:78], v[33:34], -v[67:68]
	ds_read_b128 v[5:8], v32 offset:80
	ds_read_b128 v[17:20], v31 offset:2816
	v_add_f64 v[71:72], v[71:72], v[105:106]
	v_add_f64 v[103:104], v[125:126], v[13:14]
	s_waitcnt lgkmcnt(5)
	v_mul_f64 v[77:78], v[39:40], v[43:44]
	v_mul_f64 v[93:94], v[37:38], v[43:44]
	v_add_f64 v[57:58], v[75:76], v[57:58]
	v_add_f64 v[53:54], v[53:54], v[85:86]
	ds_read_b128 v[13:16], v31 offset:2560
	s_waitcnt lgkmcnt(5)
	v_mul_f64 v[95:96], v[39:40], v[47:48]
	v_mul_f64 v[109:110], v[37:38], v[47:48]
	v_fma_f64 v[91:92], v[79:80], v[3:4], v[111:112]
	v_fma_f64 v[79:80], v[79:80], v[33:34], v[113:114]
	s_waitcnt lgkmcnt(4)
	v_mul_f64 v[111:112], v[51:52], v[43:44]
	v_mul_f64 v[43:44], v[49:50], v[43:44]
	v_fma_f64 v[75:76], v[81:82], v[3:4], -v[115:116]
	v_fma_f64 v[3:4], v[83:84], v[3:4], v[117:118]
	v_fma_f64 v[81:82], v[81:82], v[33:34], -v[87:88]
	v_fma_f64 v[83:84], v[83:84], v[33:34], v[35:36]
	v_add_f64 v[55:56], v[97:98], v[55:56]
	v_add_f64 v[59:60], v[59:60], v[21:22]
	;; [unrolled: 1-line block ×4, first 2 shown]
	s_waitcnt lgkmcnt(1)
	v_mul_f64 v[97:98], v[7:8], v[19:20]
	v_add_f64 v[71:72], v[71:72], v[107:108]
	v_add_f64 v[65:66], v[65:66], v[103:104]
	v_fma_f64 v[77:78], v[37:38], v[41:42], -v[77:78]
	v_fma_f64 v[85:86], v[39:40], v[41:42], v[93:94]
	v_add_f64 v[57:58], v[57:58], v[73:74]
	v_add_f64 v[53:54], v[69:70], v[53:54]
	s_waitcnt lgkmcnt(0)
	v_mul_f64 v[69:70], v[7:8], v[15:16]
	v_fma_f64 v[87:88], v[37:38], v[45:46], -v[95:96]
	v_fma_f64 v[93:94], v[39:40], v[45:46], v[109:110]
	v_mul_f64 v[37:38], v[51:52], v[47:48]
	v_mul_f64 v[39:40], v[49:50], v[47:48]
	v_fma_f64 v[47:48], v[49:50], v[41:42], -v[111:112]
	v_fma_f64 v[95:96], v[51:52], v[41:42], v[43:44]
	v_mul_f64 v[73:74], v[5:6], v[15:16]
	v_mul_f64 v[99:100], v[5:6], v[19:20]
	;; [unrolled: 1-line block ×6, first 2 shown]
	ds_read_b128 v[19:22], v32 offset:96
	ds_read_b128 v[33:36], v31 offset:3072
	v_add_co_u32 v25, vcc_lo, 0x80, v25
	v_add_co_ci_u32_e64 v26, null, 0, v26, vcc_lo
	v_add_f64 v[65:66], v[3:4], v[65:66]
	s_and_b32 vcc_lo, exec_lo, s9
	v_add_f64 v[57:58], v[57:58], v[81:82]
	v_add_f64 v[53:54], v[83:84], v[53:54]
	v_fma_f64 v[49:50], v[49:50], v[45:46], -v[37:38]
	v_fma_f64 v[45:46], v[51:52], v[45:46], v[39:40]
	v_add_f64 v[51:52], v[55:56], v[89:90]
	v_add_f64 v[55:56], v[91:92], v[59:60]
	;; [unrolled: 1-line block ×5, first 2 shown]
	ds_read_b128 v[37:40], v31 offset:3328
	ds_read_b128 v[41:44], v32 offset:2144
	v_fma_f64 v[67:68], v[5:6], v[13:14], -v[69:70]
	v_fma_f64 v[69:70], v[7:8], v[13:14], v[73:74]
	v_fma_f64 v[71:72], v[5:6], v[17:18], -v[97:98]
	v_fma_f64 v[73:74], v[7:8], v[17:18], v[99:100]
	;; [unrolled: 2-line block ×3, first 2 shown]
	v_fma_f64 v[81:82], v[9:10], v[17:18], -v[103:104]
	s_waitcnt lgkmcnt(2)
	v_mul_f64 v[83:84], v[21:22], v[35:36]
	v_fma_f64 v[89:90], v[11:12], v[17:18], v[105:106]
	v_mul_f64 v[91:92], v[19:20], v[35:36]
	ds_read_b128 v[3:6], v32 offset:112
	ds_read_b128 v[7:10], v32 offset:2160
	;; [unrolled: 1-line block ×4, first 2 shown]
	s_waitcnt lgkmcnt(0)
	v_add_f64 v[49:50], v[57:58], v[49:50]
	v_add_f64 v[45:46], v[45:46], v[53:54]
	;; [unrolled: 1-line block ×4, first 2 shown]
	v_mul_f64 v[97:98], v[21:22], v[39:40]
	v_mul_f64 v[99:100], v[19:20], v[39:40]
	;; [unrolled: 1-line block ×4, first 2 shown]
	v_add_f64 v[59:60], v[59:60], v[87:88]
	v_add_f64 v[61:62], v[93:94], v[61:62]
	;; [unrolled: 1-line block ×4, first 2 shown]
	v_mul_f64 v[53:54], v[43:44], v[39:40]
	v_mul_f64 v[39:40], v[41:42], v[39:40]
	s_barrier
	v_fma_f64 v[57:58], v[19:20], v[33:34], -v[83:84]
	buffer_gl0_inv
	v_fma_f64 v[65:66], v[21:22], v[33:34], v[91:92]
	v_add_f64 v[49:50], v[49:50], v[81:82]
	v_add_f64 v[45:46], v[89:90], v[45:46]
	v_fma_f64 v[19:20], v[19:20], v[37:38], -v[97:98]
	v_fma_f64 v[21:22], v[21:22], v[37:38], v[99:100]
	v_fma_f64 v[77:78], v[41:42], v[33:34], -v[101:102]
	v_fma_f64 v[33:34], v[43:44], v[33:34], v[35:36]
	v_add_f64 v[35:36], v[51:52], v[67:68]
	v_add_f64 v[51:52], v[69:70], v[55:56]
	v_add_f64 v[55:56], v[59:60], v[71:72]
	v_add_f64 v[59:60], v[73:74], v[61:62]
	v_add_f64 v[47:48], v[47:48], v[75:76]
	v_add_f64 v[61:62], v[79:80], v[63:64]
	v_fma_f64 v[41:42], v[41:42], v[37:38], -v[53:54]
	v_fma_f64 v[37:38], v[43:44], v[37:38], v[39:40]
	v_mul_f64 v[39:40], v[5:6], v[13:14]
	v_mul_f64 v[43:44], v[3:4], v[13:14]
	;; [unrolled: 1-line block ×8, first 2 shown]
	v_add_f64 v[35:36], v[35:36], v[57:58]
	v_add_f64 v[51:52], v[65:66], v[51:52]
	;; [unrolled: 1-line block ×8, first 2 shown]
	v_fma_f64 v[19:20], v[3:4], v[11:12], -v[39:40]
	v_fma_f64 v[21:22], v[5:6], v[11:12], v[43:44]
	v_fma_f64 v[3:4], v[3:4], v[15:16], -v[53:54]
	v_fma_f64 v[5:6], v[5:6], v[15:16], v[63:64]
	;; [unrolled: 2-line block ×4, first 2 shown]
	v_add_f64 v[19:20], v[35:36], v[19:20]
	v_add_f64 v[21:22], v[21:22], v[51:52]
	;; [unrolled: 1-line block ×8, first 2 shown]
	s_cbranch_vccz .LBB553_10
.LBB553_3:                              ; =>This Inner Loop Header: Depth=1
	v_add_co_u32 v3, s9, v28, s22
	v_add_co_ci_u32_e64 v4, null, 0, s23, s9
	v_mov_b32_e32 v5, 0
	v_mov_b32_e32 v6, 0
	v_cmp_gt_i64_e32 vcc_lo, s[16:17], v[3:4]
	v_mov_b32_e32 v3, 0
	v_mov_b32_e32 v4, 0
	s_and_b32 s24, s0, vcc_lo
	s_and_saveexec_b32 s9, s24
	s_cbranch_execz .LBB553_5
; %bb.4:                                ;   in Loop: Header=BB553_3 Depth=1
	global_load_dwordx4 v[3:6], v[25:26], off offset:-8
	s_waitcnt vmcnt(0)
	v_xor_b32_e32 v6, 0x80000000, v6
.LBB553_5:                              ;   in Loop: Header=BB553_3 Depth=1
	s_or_b32 exec_lo, exec_lo, s9
	v_add_co_u32 v33, s9, v27, s22
	v_add_co_ci_u32_e64 v34, null, 0, s23, s9
	ds_write_b128 v29, v[3:6]
	v_cmp_le_i64_e32 vcc_lo, s[16:17], v[33:34]
	s_or_b32 s9, vcc_lo, s1
	s_and_saveexec_b32 s24, s9
	s_xor_b32 s9, exec_lo, s24
	s_cbranch_execz .LBB553_7
; %bb.6:                                ;   in Loop: Header=BB553_3 Depth=1
	v_mov_b32_e32 v3, v2
	v_mov_b32_e32 v4, v2
	;; [unrolled: 1-line block ×3, first 2 shown]
	ds_write_b128 v30, v[2:5]
.LBB553_7:                              ;   in Loop: Header=BB553_3 Depth=1
	s_andn2_saveexec_b32 s9, s9
	s_cbranch_execz .LBB553_2
; %bb.8:                                ;   in Loop: Header=BB553_3 Depth=1
	global_load_dwordx4 v[3:6], v[23:24], off
	s_waitcnt vmcnt(0)
	ds_write2_b64 v30, v[3:4], v[5:6] offset1:1
	s_branch .LBB553_2
.LBB553_9:
	v_mov_b32_e32 v19, 0
	v_mov_b32_e32 v21, 0
	v_mov_b32_e32 v15, 0
	v_mov_b32_e32 v17, 0
	v_mov_b32_e32 v11, 0
	v_mov_b32_e32 v13, 0
	v_mov_b32_e32 v7, 0
	v_mov_b32_e32 v9, 0
	v_mov_b32_e32 v20, 0
	v_mov_b32_e32 v22, 0
	v_mov_b32_e32 v16, 0
	v_mov_b32_e32 v18, 0
	v_mov_b32_e32 v12, 0
	v_mov_b32_e32 v14, 0
	v_mov_b32_e32 v8, 0
	v_mov_b32_e32 v10, 0
.LBB553_10:
	s_clause 0x1
	s_load_dwordx2 s[0:1], s[4:5], 0x90
	s_load_dwordx4 s[4:7], s[4:5], 0x80
	v_cmp_neq_f64_e64 s9, s[42:43], 0
	v_cmp_neq_f64_e64 s16, s[44:45], 0
	v_add_co_u32 v1, s2, s2, v1
	v_add_co_ci_u32_e64 v2, null, s3, 0, s2
	s_waitcnt lgkmcnt(0)
	s_mul_i32 s1, s1, s8
	s_mul_hi_u32 s17, s0, s8
	s_mul_i32 s0, s0, s8
	s_add_i32 s1, s17, s1
	s_lshl_b64 s[0:1], s[0:1], 4
	s_add_u32 s3, s4, s0
	v_cmp_gt_i64_e64 s0, s[14:15], v[1:2]
	s_addc_u32 s4, s5, s1
	s_or_b32 s1, s9, s16
	s_and_b32 vcc_lo, exec_lo, s1
	s_mov_b32 s1, -1
	s_cbranch_vccnz .LBB553_22
; %bb.11:
	s_and_saveexec_b32 s5, s0
	s_cbranch_execz .LBB553_21
; %bb.12:
	v_mul_lo_u32 v5, v2, s6
	v_mul_lo_u32 v6, v1, s7
	v_mad_u64_u32 v[3:4], null, v1, s6, 0
	v_add3_u32 v4, v4, v6, v5
	v_add_co_u32 v5, s1, s10, v0
	v_add_co_ci_u32_e64 v6, null, s11, 0, s1
	v_lshlrev_b64 v[23:24], 4, v[3:4]
	v_cmp_gt_i64_e32 vcc_lo, s[12:13], v[5:6]
	v_lshlrev_b64 v[3:4], 4, v[5:6]
	v_add_co_u32 v23, s1, s3, v23
	v_add_co_ci_u32_e64 v24, null, s4, v24, s1
	s_and_saveexec_b32 s2, vcc_lo
	s_cbranch_execz .LBB553_14
; %bb.13:
	v_mul_f64 v[25:26], s[20:21], v[21:22]
	v_mul_f64 v[27:28], s[18:19], v[21:22]
	v_add_co_u32 v29, s1, v23, v3
	v_add_co_ci_u32_e64 v30, null, v24, v4, s1
	v_fma_f64 v[25:26], s[18:19], v[19:20], -v[25:26]
	v_fma_f64 v[27:28], s[20:21], v[19:20], v[27:28]
	global_store_dwordx4 v[29:30], v[25:28], off
.LBB553_14:
	s_or_b32 exec_lo, exec_lo, s2
	v_add_co_u32 v5, s1, v5, 16
	v_add_co_ci_u32_e64 v6, null, 0, v6, s1
	v_cmp_gt_i64_e64 s1, s[12:13], v[5:6]
	s_and_saveexec_b32 s9, s1
	s_cbranch_execz .LBB553_16
; %bb.15:
	v_mul_f64 v[5:6], s[20:21], v[17:18]
	v_mul_f64 v[27:28], s[18:19], v[17:18]
	v_fma_f64 v[25:26], s[18:19], v[15:16], -v[5:6]
	v_fma_f64 v[27:28], s[20:21], v[15:16], v[27:28]
	v_add_co_u32 v5, s2, v23, v3
	v_add_co_ci_u32_e64 v6, null, v24, v4, s2
	global_store_dwordx4 v[5:6], v[25:28], off offset:256
.LBB553_16:
	s_or_b32 exec_lo, exec_lo, s9
	v_add_co_u32 v5, s2, v1, 16
	v_add_co_ci_u32_e64 v6, null, 0, v2, s2
	v_cmp_gt_i64_e64 s2, s[14:15], v[5:6]
	s_and_b32 exec_lo, exec_lo, s2
	s_cbranch_execz .LBB553_21
; %bb.17:
	s_lshl_b64 s[16:17], s[6:7], 8
	v_add_co_u32 v5, s2, v23, s16
	v_add_co_ci_u32_e64 v6, null, s17, v24, s2
	v_add_co_u32 v3, s2, v5, v3
	v_add_co_ci_u32_e64 v4, null, v6, v4, s2
	s_and_saveexec_b32 s2, vcc_lo
	s_cbranch_execz .LBB553_19
; %bb.18:
	v_mul_f64 v[5:6], s[20:21], v[13:14]
	v_mul_f64 v[25:26], s[18:19], v[13:14]
	v_fma_f64 v[23:24], s[18:19], v[11:12], -v[5:6]
	v_fma_f64 v[25:26], s[20:21], v[11:12], v[25:26]
	global_store_dwordx4 v[3:4], v[23:26], off
.LBB553_19:
	s_or_b32 exec_lo, exec_lo, s2
	s_and_b32 exec_lo, exec_lo, s1
	s_cbranch_execz .LBB553_21
; %bb.20:
	v_mul_f64 v[5:6], s[20:21], v[9:10]
	v_mul_f64 v[25:26], s[18:19], v[9:10]
	v_fma_f64 v[23:24], s[18:19], v[7:8], -v[5:6]
	v_fma_f64 v[25:26], s[20:21], v[7:8], v[25:26]
	global_store_dwordx4 v[3:4], v[23:26], off offset:256
.LBB553_21:
	s_or_b32 exec_lo, exec_lo, s5
	s_mov_b32 s1, 0
.LBB553_22:
	s_andn2_b32 vcc_lo, exec_lo, s1
	s_cbranch_vccnz .LBB553_33
; %bb.23:
	s_and_saveexec_b32 s1, s0
	s_cbranch_execz .LBB553_33
; %bb.24:
	v_mul_lo_u32 v5, v2, s48
	v_mul_lo_u32 v6, v1, s49
	v_mad_u64_u32 v[3:4], null, v1, s48, 0
	v_mul_lo_u32 v25, v2, s6
	v_mul_lo_u32 v26, v1, s7
	v_mad_u64_u32 v[23:24], null, v1, s6, 0
	s_mul_i32 s0, s51, s8
	s_mul_hi_u32 s1, s50, s8
	v_add3_u32 v4, v4, v6, v5
	s_add_i32 s1, s1, s0
	s_mul_i32 s0, s50, s8
	v_add_co_u32 v5, s2, s10, v0
	v_add3_u32 v24, v24, v26, v25
	v_lshlrev_b64 v[3:4], 4, v[3:4]
	s_lshl_b64 s[0:1], s[0:1], 4
	v_add_co_ci_u32_e64 v6, null, s11, 0, s2
	v_lshlrev_b64 v[24:25], 4, v[23:24]
	s_add_u32 s0, s46, s0
	s_addc_u32 s1, s47, s1
	v_add_co_u32 v0, s0, s0, v3
	v_add_co_ci_u32_e64 v23, null, s1, v4, s0
	v_add_co_u32 v24, s0, s3, v24
	v_cmp_gt_i64_e32 vcc_lo, s[12:13], v[5:6]
	v_lshlrev_b64 v[3:4], 4, v[5:6]
	v_add_co_ci_u32_e64 v25, null, s4, v25, s0
	s_and_saveexec_b32 s1, vcc_lo
	s_cbranch_execz .LBB553_26
; %bb.25:
	v_add_co_u32 v26, s0, v0, v3
	v_add_co_ci_u32_e64 v27, null, v23, v4, s0
	v_mul_f64 v[30:31], s[20:21], v[21:22]
	v_mul_f64 v[21:22], s[18:19], v[21:22]
	global_load_dwordx4 v[26:29], v[26:27], off
	v_fma_f64 v[30:31], s[18:19], v[19:20], -v[30:31]
	v_fma_f64 v[21:22], s[20:21], v[19:20], v[21:22]
	s_waitcnt vmcnt(0)
	v_mul_f64 v[32:33], s[44:45], v[28:29]
	v_mul_f64 v[28:29], s[42:43], v[28:29]
	v_fma_f64 v[19:20], s[42:43], v[26:27], -v[32:33]
	v_fma_f64 v[26:27], s[44:45], v[26:27], v[28:29]
	v_add_f64 v[19:20], v[30:31], v[19:20]
	v_add_f64 v[21:22], v[21:22], v[26:27]
	v_add_co_u32 v26, s0, v24, v3
	v_add_co_ci_u32_e64 v27, null, v25, v4, s0
	global_store_dwordx4 v[26:27], v[19:22], off
.LBB553_26:
	s_or_b32 exec_lo, exec_lo, s1
	v_add_co_u32 v5, s0, v5, 16
	v_add_co_ci_u32_e64 v6, null, 0, v6, s0
	v_cmp_gt_i64_e64 s0, s[12:13], v[5:6]
	s_and_saveexec_b32 s2, s0
	s_cbranch_execz .LBB553_28
; %bb.27:
	v_add_co_u32 v5, s1, v0, v3
	v_add_co_ci_u32_e64 v6, null, v23, v4, s1
	global_load_dwordx4 v[19:22], v[5:6], off offset:256
	v_mul_f64 v[5:6], s[20:21], v[17:18]
	v_mul_f64 v[17:18], s[18:19], v[17:18]
	v_fma_f64 v[5:6], s[18:19], v[15:16], -v[5:6]
	v_fma_f64 v[17:18], s[20:21], v[15:16], v[17:18]
	s_waitcnt vmcnt(0)
	v_mul_f64 v[26:27], s[44:45], v[21:22]
	v_mul_f64 v[21:22], s[42:43], v[21:22]
	v_fma_f64 v[15:16], s[42:43], v[19:20], -v[26:27]
	v_fma_f64 v[19:20], s[44:45], v[19:20], v[21:22]
	v_add_f64 v[15:16], v[5:6], v[15:16]
	v_add_f64 v[17:18], v[17:18], v[19:20]
	v_add_co_u32 v5, s1, v24, v3
	v_add_co_ci_u32_e64 v6, null, v25, v4, s1
	global_store_dwordx4 v[5:6], v[15:18], off offset:256
.LBB553_28:
	s_or_b32 exec_lo, exec_lo, s2
	v_add_co_u32 v1, s1, v1, 16
	v_add_co_ci_u32_e64 v2, null, 0, v2, s1
	v_cmp_gt_i64_e64 s1, s[14:15], v[1:2]
	s_and_b32 exec_lo, exec_lo, s1
	s_cbranch_execz .LBB553_33
; %bb.29:
	s_lshl_b64 s[2:3], s[48:49], 8
	v_add_co_u32 v0, s1, v0, s2
	v_add_co_ci_u32_e64 v1, null, s3, v23, s1
	s_lshl_b64 s[2:3], s[6:7], 8
	v_add_co_u32 v2, s1, v24, s2
	v_add_co_ci_u32_e64 v15, null, s3, v25, s1
	v_add_co_u32 v5, s1, v0, v3
	v_add_co_ci_u32_e64 v6, null, v1, v4, s1
	;; [unrolled: 2-line block ×3, first 2 shown]
	s_and_saveexec_b32 s1, vcc_lo
	s_cbranch_execz .LBB553_31
; %bb.30:
	global_load_dwordx4 v[15:18], v[5:6], off
	v_mul_f64 v[2:3], s[20:21], v[13:14]
	v_mul_f64 v[13:14], s[18:19], v[13:14]
	v_fma_f64 v[2:3], s[18:19], v[11:12], -v[2:3]
	v_fma_f64 v[13:14], s[20:21], v[11:12], v[13:14]
	s_waitcnt vmcnt(0)
	v_mul_f64 v[19:20], s[44:45], v[17:18]
	v_mul_f64 v[17:18], s[42:43], v[17:18]
	v_fma_f64 v[11:12], s[42:43], v[15:16], -v[19:20]
	v_fma_f64 v[15:16], s[44:45], v[15:16], v[17:18]
	v_add_f64 v[11:12], v[2:3], v[11:12]
	v_add_f64 v[13:14], v[13:14], v[15:16]
	global_store_dwordx4 v[0:1], v[11:14], off
.LBB553_31:
	s_or_b32 exec_lo, exec_lo, s1
	s_and_b32 exec_lo, exec_lo, s0
	s_cbranch_execz .LBB553_33
; %bb.32:
	global_load_dwordx4 v[2:5], v[5:6], off offset:256
	v_mul_f64 v[11:12], s[20:21], v[9:10]
	v_mul_f64 v[9:10], s[18:19], v[9:10]
	v_fma_f64 v[11:12], s[18:19], v[7:8], -v[11:12]
	v_fma_f64 v[6:7], s[20:21], v[7:8], v[9:10]
	s_waitcnt vmcnt(0)
	v_mul_f64 v[13:14], s[44:45], v[4:5]
	v_mul_f64 v[4:5], s[42:43], v[4:5]
	v_fma_f64 v[8:9], s[42:43], v[2:3], -v[13:14]
	v_fma_f64 v[4:5], s[44:45], v[2:3], v[4:5]
	v_add_f64 v[2:3], v[11:12], v[8:9]
	v_add_f64 v[4:5], v[6:7], v[4:5]
	global_store_dwordx4 v[0:1], v[2:5], off offset:256
.LBB553_33:
	s_endpgm
	.section	.rodata,"a",@progbits
	.p2align	6, 0x0
	.amdhsa_kernel _ZN12_GLOBAL__N_135rocblas_gemm_batched_general_kernelI19rocblas_complex_numIdELi16ELi16ELi32ELi32ELi8ELi32ELi8ELi8ELi32ELc67ELc84EKS2_S3_S2_EEvlllT_PT11_llS6_llS4_PT12_llPT13_lli
		.amdhsa_group_segment_fixed_size 8192
		.amdhsa_private_segment_fixed_size 0
		.amdhsa_kernarg_size 156
		.amdhsa_user_sgpr_count 6
		.amdhsa_user_sgpr_private_segment_buffer 1
		.amdhsa_user_sgpr_dispatch_ptr 0
		.amdhsa_user_sgpr_queue_ptr 0
		.amdhsa_user_sgpr_kernarg_segment_ptr 1
		.amdhsa_user_sgpr_dispatch_id 0
		.amdhsa_user_sgpr_flat_scratch_init 0
		.amdhsa_user_sgpr_private_segment_size 0
		.amdhsa_wavefront_size32 1
		.amdhsa_uses_dynamic_stack 0
		.amdhsa_system_sgpr_private_segment_wavefront_offset 0
		.amdhsa_system_sgpr_workgroup_id_x 1
		.amdhsa_system_sgpr_workgroup_id_y 1
		.amdhsa_system_sgpr_workgroup_id_z 1
		.amdhsa_system_sgpr_workgroup_info 0
		.amdhsa_system_vgpr_workitem_id 1
		.amdhsa_next_free_vgpr 127
		.amdhsa_next_free_sgpr 52
		.amdhsa_reserve_vcc 1
		.amdhsa_reserve_flat_scratch 0
		.amdhsa_float_round_mode_32 0
		.amdhsa_float_round_mode_16_64 0
		.amdhsa_float_denorm_mode_32 3
		.amdhsa_float_denorm_mode_16_64 3
		.amdhsa_dx10_clamp 1
		.amdhsa_ieee_mode 1
		.amdhsa_fp16_overflow 0
		.amdhsa_workgroup_processor_mode 1
		.amdhsa_memory_ordered 1
		.amdhsa_forward_progress 1
		.amdhsa_shared_vgpr_count 0
		.amdhsa_exception_fp_ieee_invalid_op 0
		.amdhsa_exception_fp_denorm_src 0
		.amdhsa_exception_fp_ieee_div_zero 0
		.amdhsa_exception_fp_ieee_overflow 0
		.amdhsa_exception_fp_ieee_underflow 0
		.amdhsa_exception_fp_ieee_inexact 0
		.amdhsa_exception_int_div_zero 0
	.end_amdhsa_kernel
	.section	.text._ZN12_GLOBAL__N_135rocblas_gemm_batched_general_kernelI19rocblas_complex_numIdELi16ELi16ELi32ELi32ELi8ELi32ELi8ELi8ELi32ELc67ELc84EKS2_S3_S2_EEvlllT_PT11_llS6_llS4_PT12_llPT13_lli,"axG",@progbits,_ZN12_GLOBAL__N_135rocblas_gemm_batched_general_kernelI19rocblas_complex_numIdELi16ELi16ELi32ELi32ELi8ELi32ELi8ELi8ELi32ELc67ELc84EKS2_S3_S2_EEvlllT_PT11_llS6_llS4_PT12_llPT13_lli,comdat
.Lfunc_end553:
	.size	_ZN12_GLOBAL__N_135rocblas_gemm_batched_general_kernelI19rocblas_complex_numIdELi16ELi16ELi32ELi32ELi8ELi32ELi8ELi8ELi32ELc67ELc84EKS2_S3_S2_EEvlllT_PT11_llS6_llS4_PT12_llPT13_lli, .Lfunc_end553-_ZN12_GLOBAL__N_135rocblas_gemm_batched_general_kernelI19rocblas_complex_numIdELi16ELi16ELi32ELi32ELi8ELi32ELi8ELi8ELi32ELc67ELc84EKS2_S3_S2_EEvlllT_PT11_llS6_llS4_PT12_llPT13_lli
                                        ; -- End function
	.set _ZN12_GLOBAL__N_135rocblas_gemm_batched_general_kernelI19rocblas_complex_numIdELi16ELi16ELi32ELi32ELi8ELi32ELi8ELi8ELi32ELc67ELc84EKS2_S3_S2_EEvlllT_PT11_llS6_llS4_PT12_llPT13_lli.num_vgpr, 127
	.set _ZN12_GLOBAL__N_135rocblas_gemm_batched_general_kernelI19rocblas_complex_numIdELi16ELi16ELi32ELi32ELi8ELi32ELi8ELi8ELi32ELc67ELc84EKS2_S3_S2_EEvlllT_PT11_llS6_llS4_PT12_llPT13_lli.num_agpr, 0
	.set _ZN12_GLOBAL__N_135rocblas_gemm_batched_general_kernelI19rocblas_complex_numIdELi16ELi16ELi32ELi32ELi8ELi32ELi8ELi8ELi32ELc67ELc84EKS2_S3_S2_EEvlllT_PT11_llS6_llS4_PT12_llPT13_lli.numbered_sgpr, 52
	.set _ZN12_GLOBAL__N_135rocblas_gemm_batched_general_kernelI19rocblas_complex_numIdELi16ELi16ELi32ELi32ELi8ELi32ELi8ELi8ELi32ELc67ELc84EKS2_S3_S2_EEvlllT_PT11_llS6_llS4_PT12_llPT13_lli.num_named_barrier, 0
	.set _ZN12_GLOBAL__N_135rocblas_gemm_batched_general_kernelI19rocblas_complex_numIdELi16ELi16ELi32ELi32ELi8ELi32ELi8ELi8ELi32ELc67ELc84EKS2_S3_S2_EEvlllT_PT11_llS6_llS4_PT12_llPT13_lli.private_seg_size, 0
	.set _ZN12_GLOBAL__N_135rocblas_gemm_batched_general_kernelI19rocblas_complex_numIdELi16ELi16ELi32ELi32ELi8ELi32ELi8ELi8ELi32ELc67ELc84EKS2_S3_S2_EEvlllT_PT11_llS6_llS4_PT12_llPT13_lli.uses_vcc, 1
	.set _ZN12_GLOBAL__N_135rocblas_gemm_batched_general_kernelI19rocblas_complex_numIdELi16ELi16ELi32ELi32ELi8ELi32ELi8ELi8ELi32ELc67ELc84EKS2_S3_S2_EEvlllT_PT11_llS6_llS4_PT12_llPT13_lli.uses_flat_scratch, 0
	.set _ZN12_GLOBAL__N_135rocblas_gemm_batched_general_kernelI19rocblas_complex_numIdELi16ELi16ELi32ELi32ELi8ELi32ELi8ELi8ELi32ELc67ELc84EKS2_S3_S2_EEvlllT_PT11_llS6_llS4_PT12_llPT13_lli.has_dyn_sized_stack, 0
	.set _ZN12_GLOBAL__N_135rocblas_gemm_batched_general_kernelI19rocblas_complex_numIdELi16ELi16ELi32ELi32ELi8ELi32ELi8ELi8ELi32ELc67ELc84EKS2_S3_S2_EEvlllT_PT11_llS6_llS4_PT12_llPT13_lli.has_recursion, 0
	.set _ZN12_GLOBAL__N_135rocblas_gemm_batched_general_kernelI19rocblas_complex_numIdELi16ELi16ELi32ELi32ELi8ELi32ELi8ELi8ELi32ELc67ELc84EKS2_S3_S2_EEvlllT_PT11_llS6_llS4_PT12_llPT13_lli.has_indirect_call, 0
	.section	.AMDGPU.csdata,"",@progbits
; Kernel info:
; codeLenInByte = 4060
; TotalNumSgprs: 54
; NumVgprs: 127
; ScratchSize: 0
; MemoryBound: 1
; FloatMode: 240
; IeeeMode: 1
; LDSByteSize: 8192 bytes/workgroup (compile time only)
; SGPRBlocks: 0
; VGPRBlocks: 15
; NumSGPRsForWavesPerEU: 54
; NumVGPRsForWavesPerEU: 127
; Occupancy: 8
; WaveLimiterHint : 0
; COMPUTE_PGM_RSRC2:SCRATCH_EN: 0
; COMPUTE_PGM_RSRC2:USER_SGPR: 6
; COMPUTE_PGM_RSRC2:TRAP_HANDLER: 0
; COMPUTE_PGM_RSRC2:TGID_X_EN: 1
; COMPUTE_PGM_RSRC2:TGID_Y_EN: 1
; COMPUTE_PGM_RSRC2:TGID_Z_EN: 1
; COMPUTE_PGM_RSRC2:TIDIG_COMP_CNT: 1
	.section	.text._ZN12_GLOBAL__N_135rocblas_gemm_batched_general_kernelI19rocblas_complex_numIdELi16ELi16ELi32ELi32ELi8ELi32ELi8ELi8ELi32ELc78ELc67EKS2_S3_S2_EEvlllT_PT11_llS6_llS4_PT12_llPT13_lli,"axG",@progbits,_ZN12_GLOBAL__N_135rocblas_gemm_batched_general_kernelI19rocblas_complex_numIdELi16ELi16ELi32ELi32ELi8ELi32ELi8ELi8ELi32ELc78ELc67EKS2_S3_S2_EEvlllT_PT11_llS6_llS4_PT12_llPT13_lli,comdat
	.globl	_ZN12_GLOBAL__N_135rocblas_gemm_batched_general_kernelI19rocblas_complex_numIdELi16ELi16ELi32ELi32ELi8ELi32ELi8ELi8ELi32ELc78ELc67EKS2_S3_S2_EEvlllT_PT11_llS6_llS4_PT12_llPT13_lli ; -- Begin function _ZN12_GLOBAL__N_135rocblas_gemm_batched_general_kernelI19rocblas_complex_numIdELi16ELi16ELi32ELi32ELi8ELi32ELi8ELi8ELi32ELc78ELc67EKS2_S3_S2_EEvlllT_PT11_llS6_llS4_PT12_llPT13_lli
	.p2align	8
	.type	_ZN12_GLOBAL__N_135rocblas_gemm_batched_general_kernelI19rocblas_complex_numIdELi16ELi16ELi32ELi32ELi8ELi32ELi8ELi8ELi32ELc78ELc67EKS2_S3_S2_EEvlllT_PT11_llS6_llS4_PT12_llPT13_lli,@function
_ZN12_GLOBAL__N_135rocblas_gemm_batched_general_kernelI19rocblas_complex_numIdELi16ELi16ELi32ELi32ELi8ELi32ELi8ELi8ELi32ELc78ELc67EKS2_S3_S2_EEvlllT_PT11_llS6_llS4_PT12_llPT13_lli: ; @_ZN12_GLOBAL__N_135rocblas_gemm_batched_general_kernelI19rocblas_complex_numIdELi16ELi16ELi32ELi32ELi8ELi32ELi8ELi8ELi32ELc78ELc67EKS2_S3_S2_EEvlllT_PT11_llS6_llS4_PT12_llPT13_lli
; %bb.0:
	s_clause 0x1
	s_load_dwordx16 s[12:27], s[4:5], 0x0
	s_load_dwordx16 s[36:51], s[4:5], 0x40
	s_mov_b32 s28, s7
	v_mov_b32_e32 v2, 0
	s_ashr_i32 s7, s6, 31
	s_ashr_i32 s29, s28, 31
	s_lshl_b64 s[10:11], s[6:7], 5
	s_lshl_b64 s[2:3], s[28:29], 5
	s_waitcnt lgkmcnt(0)
	v_cmp_lt_i64_e64 s0, s[16:17], 1
	s_and_b32 vcc_lo, exec_lo, s0
	s_cbranch_vccnz .LBB554_9
; %bb.1:
	v_lshl_add_u32 v3, v1, 4, v0
	v_and_b32_e32 v27, 7, v0
	v_mov_b32_e32 v4, s11
	s_mul_i32 s1, s41, s8
	s_mul_hi_u32 s9, s40, s8
	v_lshrrev_b32_e32 v9, 3, v3
	v_and_b32_e32 v10, 31, v3
	v_mad_u64_u32 v[5:6], null, s38, v27, 0
	v_lshrrev_b32_e32 v28, 5, v3
	v_add_co_u32 v7, s0, v9, s2
	v_or_b32_e32 v3, s10, v10
	v_add_co_ci_u32_e64 v8, null, 0, s3, s0
	s_add_i32 s31, s9, s1
	s_mul_i32 s30, s40, s8
	v_cmp_gt_i64_e32 vcc_lo, s[12:13], v[3:4]
	v_mad_u64_u32 v[3:4], null, s39, v27, v[6:7]
	v_cmp_gt_i64_e64 s0, s[14:15], v[7:8]
	v_mad_u64_u32 v[7:8], null, s24, v28, 0
	s_lshl_b64 s[30:31], s[30:31], 4
	s_lshl_b64 s[28:29], s[28:29], 9
	v_lshlrev_b32_e32 v10, 4, v10
	v_mov_b32_e32 v6, v3
	s_add_u32 s1, s28, s30
	s_addc_u32 s9, s29, s31
	s_lshl_b64 s[28:29], s[6:7], 9
	s_lshl_b64 s[6:7], s[38:39], 7
	v_lshlrev_b64 v[3:4], 4, v[5:6]
	v_mov_b32_e32 v5, v8
	v_lshlrev_b32_e32 v8, 4, v9
	v_lshlrev_b32_e32 v11, 4, v27
	v_lshl_or_b32 v29, v28, 9, v10
	v_mov_b32_e32 v13, 0
	v_mad_u64_u32 v[5:6], null, s25, v28, v[5:6]
	v_add_co_u32 v3, s1, s1, v3
	v_add_co_ci_u32_e64 v4, null, s9, v4, s1
	s_mul_i32 s9, s27, s8
	v_add_co_u32 v3, s1, v3, v8
	v_add_co_ci_u32_e64 v4, null, 0, v4, s1
	v_mov_b32_e32 v8, v5
	s_mul_hi_u32 s27, s26, s8
	v_add_co_u32 v5, s1, s36, v3
	v_add_co_ci_u32_e64 v6, null, s37, v4, s1
	s_add_i32 s27, s27, s9
	s_mul_i32 s26, s26, s8
	v_lshlrev_b64 v[3:4], 4, v[7:8]
	s_lshl_b64 s[26:27], s[26:27], 4
	v_lshl_or_b32 v11, v9, 7, v11
	s_add_u32 s1, s28, s26
	s_addc_u32 s9, s29, s27
	v_mov_b32_e32 v7, 0
	v_add_co_u32 v3, s1, s1, v3
	v_add_co_ci_u32_e64 v4, null, s9, v4, s1
	v_add_co_u32 v23, s1, v5, 8
	v_add_co_ci_u32_e64 v24, null, 0, v6, s1
	;; [unrolled: 2-line block ×3, first 2 shown]
	v_add_nc_u32_e32 v30, 0x1000, v11
	v_add_co_u32 v25, s1, s22, v3
	v_mov_b32_e32 v9, 0
	v_mov_b32_e32 v11, 0
	;; [unrolled: 1-line block ×6, first 2 shown]
	v_lshlrev_b32_e32 v31, 4, v0
	v_lshl_add_u32 v32, v1, 7, 0x1000
	v_mov_b32_e32 v10, 0
	v_mov_b32_e32 v8, 0
	;; [unrolled: 1-line block ×8, first 2 shown]
	v_add_co_ci_u32_e64 v26, null, s23, v4, s1
	s_lshl_b64 s[22:23], s[24:25], 7
	s_mov_b64 s[24:25], 0
	s_xor_b32 s1, vcc_lo, -1
	s_branch .LBB554_3
.LBB554_2:                              ;   in Loop: Header=BB554_3 Depth=1
	s_or_b32 exec_lo, exec_lo, s9
	ds_write_b128 v30, v[3:6]
	s_waitcnt lgkmcnt(0)
	s_barrier
	buffer_gl0_inv
	ds_read_b128 v[3:6], v32
	ds_read_b128 v[33:36], v31
	ds_read_b128 v[37:40], v31 offset:256
	ds_read_b128 v[41:44], v32 offset:2048
	;; [unrolled: 1-line block ×12, first 2 shown]
	s_add_u32 s24, s24, 8
	s_addc_u32 s25, s25, 0
	v_add_co_u32 v23, vcc_lo, v23, s6
	v_cmp_lt_i64_e64 s9, s[24:25], s[16:17]
	v_add_co_ci_u32_e64 v24, null, s7, v24, vcc_lo
	s_waitcnt lgkmcnt(12)
	v_mul_f64 v[85:86], v[5:6], v[35:36]
	v_mul_f64 v[87:88], v[3:4], v[35:36]
	s_waitcnt lgkmcnt(11)
	v_mul_f64 v[89:90], v[5:6], v[39:40]
	v_mul_f64 v[91:92], v[3:4], v[39:40]
	;; [unrolled: 3-line block ×3, first 2 shown]
	v_mul_f64 v[95:96], v[43:44], v[39:40]
	v_mul_f64 v[39:40], v[41:42], v[39:40]
	s_waitcnt lgkmcnt(8)
	v_mul_f64 v[97:98], v[47:48], v[51:52]
	v_mul_f64 v[99:100], v[45:46], v[51:52]
	s_waitcnt lgkmcnt(7)
	;; [unrolled: 3-line block ×3, first 2 shown]
	v_mul_f64 v[105:106], v[59:60], v[51:52]
	v_mul_f64 v[51:52], v[57:58], v[51:52]
	;; [unrolled: 1-line block ×4, first 2 shown]
	s_waitcnt lgkmcnt(4)
	v_mul_f64 v[109:110], v[63:64], v[67:68]
	v_mul_f64 v[111:112], v[61:62], v[67:68]
	s_waitcnt lgkmcnt(3)
	v_mul_f64 v[113:114], v[63:64], v[71:72]
	v_mul_f64 v[115:116], v[61:62], v[71:72]
	s_waitcnt lgkmcnt(2)
	v_mul_f64 v[117:118], v[75:76], v[67:68]
	v_mul_f64 v[67:68], v[73:74], v[67:68]
	v_fma_f64 v[85:86], v[3:4], v[33:34], -v[85:86]
	v_fma_f64 v[87:88], v[5:6], v[33:34], v[87:88]
	v_fma_f64 v[89:90], v[3:4], v[37:38], -v[89:90]
	v_fma_f64 v[91:92], v[5:6], v[37:38], v[91:92]
	;; [unrolled: 2-line block ×4, first 2 shown]
	v_mul_f64 v[123:124], v[75:76], v[71:72]
	v_mul_f64 v[71:72], v[73:74], v[71:72]
	ds_read_b128 v[3:6], v31 offset:1536
	ds_read_b128 v[33:36], v31 offset:1792
	v_fma_f64 v[97:98], v[45:46], v[49:50], -v[97:98]
	v_fma_f64 v[99:100], v[47:48], v[49:50], v[99:100]
	v_fma_f64 v[101:102], v[45:46], v[53:54], -v[101:102]
	v_fma_f64 v[103:104], v[47:48], v[53:54], v[103:104]
	;; [unrolled: 2-line block ×7, first 2 shown]
	v_add_f64 v[19:20], v[19:20], v[85:86]
	v_add_f64 v[21:22], v[87:88], v[21:22]
	;; [unrolled: 1-line block ×4, first 2 shown]
	s_waitcnt lgkmcnt(1)
	v_mul_f64 v[109:110], v[79:80], v[5:6]
	s_waitcnt lgkmcnt(0)
	v_mul_f64 v[67:68], v[79:80], v[35:36]
	v_fma_f64 v[73:74], v[73:74], v[69:70], -v[123:124]
	v_fma_f64 v[69:70], v[75:76], v[69:70], v[71:72]
	v_add_f64 v[71:72], v[11:12], v[93:94]
	v_add_f64 v[13:14], v[119:120], v[13:14]
	;; [unrolled: 1-line block ×4, first 2 shown]
	ds_read_b128 v[37:40], v32 offset:64
	ds_read_b128 v[41:44], v31 offset:2048
	;; [unrolled: 1-line block ×3, first 2 shown]
	v_mul_f64 v[111:112], v[77:78], v[5:6]
	v_mul_f64 v[113:114], v[77:78], v[35:36]
	;; [unrolled: 1-line block ×6, first 2 shown]
	ds_read_b128 v[49:52], v32 offset:2112
	ds_read_b128 v[9:12], v32 offset:2128
	v_add_f64 v[97:98], v[19:20], v[97:98]
	v_add_f64 v[21:22], v[99:100], v[21:22]
	;; [unrolled: 1-line block ×4, first 2 shown]
	v_fma_f64 v[89:90], v[77:78], v[3:4], -v[109:110]
	v_fma_f64 v[67:68], v[77:78], v[33:34], -v[67:68]
	ds_read_b128 v[5:8], v32 offset:80
	ds_read_b128 v[17:20], v31 offset:2816
	v_add_f64 v[71:72], v[71:72], v[105:106]
	v_add_f64 v[103:104], v[125:126], v[13:14]
	s_waitcnt lgkmcnt(5)
	v_mul_f64 v[77:78], v[39:40], v[43:44]
	v_mul_f64 v[93:94], v[37:38], v[43:44]
	v_add_f64 v[57:58], v[75:76], v[57:58]
	v_add_f64 v[53:54], v[53:54], v[85:86]
	ds_read_b128 v[13:16], v31 offset:2560
	s_waitcnt lgkmcnt(5)
	v_mul_f64 v[95:96], v[39:40], v[47:48]
	v_mul_f64 v[109:110], v[37:38], v[47:48]
	v_fma_f64 v[91:92], v[79:80], v[3:4], v[111:112]
	v_fma_f64 v[79:80], v[79:80], v[33:34], v[113:114]
	s_waitcnt lgkmcnt(4)
	v_mul_f64 v[111:112], v[51:52], v[43:44]
	v_mul_f64 v[43:44], v[49:50], v[43:44]
	v_fma_f64 v[75:76], v[81:82], v[3:4], -v[115:116]
	v_fma_f64 v[3:4], v[83:84], v[3:4], v[117:118]
	v_fma_f64 v[81:82], v[81:82], v[33:34], -v[87:88]
	v_fma_f64 v[83:84], v[83:84], v[33:34], v[35:36]
	v_add_f64 v[55:56], v[97:98], v[55:56]
	v_add_f64 v[59:60], v[59:60], v[21:22]
	;; [unrolled: 1-line block ×4, first 2 shown]
	s_waitcnt lgkmcnt(1)
	v_mul_f64 v[97:98], v[7:8], v[19:20]
	v_add_f64 v[71:72], v[71:72], v[107:108]
	v_add_f64 v[65:66], v[65:66], v[103:104]
	v_fma_f64 v[77:78], v[37:38], v[41:42], -v[77:78]
	v_fma_f64 v[85:86], v[39:40], v[41:42], v[93:94]
	v_add_f64 v[57:58], v[57:58], v[73:74]
	v_add_f64 v[53:54], v[69:70], v[53:54]
	s_waitcnt lgkmcnt(0)
	v_mul_f64 v[69:70], v[7:8], v[15:16]
	v_fma_f64 v[87:88], v[37:38], v[45:46], -v[95:96]
	v_fma_f64 v[93:94], v[39:40], v[45:46], v[109:110]
	v_mul_f64 v[37:38], v[51:52], v[47:48]
	v_mul_f64 v[39:40], v[49:50], v[47:48]
	v_fma_f64 v[47:48], v[49:50], v[41:42], -v[111:112]
	v_fma_f64 v[95:96], v[51:52], v[41:42], v[43:44]
	v_mul_f64 v[73:74], v[5:6], v[15:16]
	v_mul_f64 v[99:100], v[5:6], v[19:20]
	;; [unrolled: 1-line block ×6, first 2 shown]
	ds_read_b128 v[19:22], v32 offset:96
	ds_read_b128 v[33:36], v31 offset:3072
	v_add_co_u32 v25, vcc_lo, v25, s22
	v_add_co_ci_u32_e64 v26, null, s23, v26, vcc_lo
	v_add_f64 v[65:66], v[3:4], v[65:66]
	s_and_b32 vcc_lo, exec_lo, s9
	v_add_f64 v[57:58], v[57:58], v[81:82]
	v_add_f64 v[53:54], v[83:84], v[53:54]
	v_fma_f64 v[49:50], v[49:50], v[45:46], -v[37:38]
	v_fma_f64 v[45:46], v[51:52], v[45:46], v[39:40]
	v_add_f64 v[51:52], v[55:56], v[89:90]
	v_add_f64 v[55:56], v[91:92], v[59:60]
	;; [unrolled: 1-line block ×5, first 2 shown]
	ds_read_b128 v[37:40], v31 offset:3328
	ds_read_b128 v[41:44], v32 offset:2144
	v_fma_f64 v[67:68], v[5:6], v[13:14], -v[69:70]
	v_fma_f64 v[69:70], v[7:8], v[13:14], v[73:74]
	v_fma_f64 v[71:72], v[5:6], v[17:18], -v[97:98]
	v_fma_f64 v[73:74], v[7:8], v[17:18], v[99:100]
	;; [unrolled: 2-line block ×3, first 2 shown]
	v_fma_f64 v[81:82], v[9:10], v[17:18], -v[103:104]
	s_waitcnt lgkmcnt(2)
	v_mul_f64 v[83:84], v[21:22], v[35:36]
	v_fma_f64 v[89:90], v[11:12], v[17:18], v[105:106]
	v_mul_f64 v[91:92], v[19:20], v[35:36]
	ds_read_b128 v[3:6], v32 offset:112
	ds_read_b128 v[7:10], v32 offset:2160
	;; [unrolled: 1-line block ×4, first 2 shown]
	s_waitcnt lgkmcnt(0)
	v_add_f64 v[49:50], v[57:58], v[49:50]
	v_add_f64 v[45:46], v[45:46], v[53:54]
	;; [unrolled: 1-line block ×4, first 2 shown]
	v_mul_f64 v[97:98], v[21:22], v[39:40]
	v_mul_f64 v[99:100], v[19:20], v[39:40]
	;; [unrolled: 1-line block ×4, first 2 shown]
	v_add_f64 v[59:60], v[59:60], v[87:88]
	v_add_f64 v[61:62], v[93:94], v[61:62]
	;; [unrolled: 1-line block ×4, first 2 shown]
	v_mul_f64 v[53:54], v[43:44], v[39:40]
	v_mul_f64 v[39:40], v[41:42], v[39:40]
	s_barrier
	v_fma_f64 v[57:58], v[19:20], v[33:34], -v[83:84]
	buffer_gl0_inv
	v_fma_f64 v[65:66], v[21:22], v[33:34], v[91:92]
	v_add_f64 v[49:50], v[49:50], v[81:82]
	v_add_f64 v[45:46], v[89:90], v[45:46]
	v_fma_f64 v[19:20], v[19:20], v[37:38], -v[97:98]
	v_fma_f64 v[21:22], v[21:22], v[37:38], v[99:100]
	v_fma_f64 v[77:78], v[41:42], v[33:34], -v[101:102]
	v_fma_f64 v[33:34], v[43:44], v[33:34], v[35:36]
	v_add_f64 v[35:36], v[51:52], v[67:68]
	v_add_f64 v[51:52], v[69:70], v[55:56]
	;; [unrolled: 1-line block ×6, first 2 shown]
	v_fma_f64 v[41:42], v[41:42], v[37:38], -v[53:54]
	v_fma_f64 v[37:38], v[43:44], v[37:38], v[39:40]
	v_mul_f64 v[39:40], v[5:6], v[13:14]
	v_mul_f64 v[43:44], v[3:4], v[13:14]
	;; [unrolled: 1-line block ×8, first 2 shown]
	v_add_f64 v[35:36], v[35:36], v[57:58]
	v_add_f64 v[51:52], v[65:66], v[51:52]
	;; [unrolled: 1-line block ×8, first 2 shown]
	v_fma_f64 v[19:20], v[3:4], v[11:12], -v[39:40]
	v_fma_f64 v[21:22], v[5:6], v[11:12], v[43:44]
	v_fma_f64 v[3:4], v[3:4], v[15:16], -v[53:54]
	v_fma_f64 v[5:6], v[5:6], v[15:16], v[63:64]
	;; [unrolled: 2-line block ×4, first 2 shown]
	v_add_f64 v[19:20], v[35:36], v[19:20]
	v_add_f64 v[21:22], v[21:22], v[51:52]
	;; [unrolled: 1-line block ×8, first 2 shown]
	s_cbranch_vccz .LBB554_10
.LBB554_3:                              ; =>This Inner Loop Header: Depth=1
	v_add_co_u32 v3, s9, v28, s24
	v_add_co_ci_u32_e64 v4, null, 0, s25, s9
	v_cmp_le_i64_e32 vcc_lo, s[16:17], v[3:4]
	s_or_b32 s9, s1, vcc_lo
	s_and_saveexec_b32 s26, s9
	s_xor_b32 s9, exec_lo, s26
	s_cbranch_execz .LBB554_5
; %bb.4:                                ;   in Loop: Header=BB554_3 Depth=1
	v_mov_b32_e32 v3, v2
	v_mov_b32_e32 v4, v2
	;; [unrolled: 1-line block ×3, first 2 shown]
	ds_write_b128 v29, v[2:5]
.LBB554_5:                              ;   in Loop: Header=BB554_3 Depth=1
	s_andn2_saveexec_b32 s9, s9
	s_cbranch_execz .LBB554_7
; %bb.6:                                ;   in Loop: Header=BB554_3 Depth=1
	global_load_dwordx4 v[3:6], v[25:26], off
	s_waitcnt vmcnt(0)
	ds_write2_b64 v29, v[3:4], v[5:6] offset1:1
.LBB554_7:                              ;   in Loop: Header=BB554_3 Depth=1
	s_or_b32 exec_lo, exec_lo, s9
	v_add_co_u32 v3, s9, v27, s24
	v_add_co_ci_u32_e64 v4, null, 0, s25, s9
	v_mov_b32_e32 v5, 0
	v_mov_b32_e32 v6, 0
	v_cmp_gt_i64_e32 vcc_lo, s[16:17], v[3:4]
	v_mov_b32_e32 v3, 0
	v_mov_b32_e32 v4, 0
	s_and_b32 s26, vcc_lo, s0
	s_and_saveexec_b32 s9, s26
	s_cbranch_execz .LBB554_2
; %bb.8:                                ;   in Loop: Header=BB554_3 Depth=1
	global_load_dwordx4 v[3:6], v[23:24], off offset:-8
	s_waitcnt vmcnt(0)
	v_xor_b32_e32 v6, 0x80000000, v6
	s_branch .LBB554_2
.LBB554_9:
	v_mov_b32_e32 v19, 0
	v_mov_b32_e32 v21, 0
	;; [unrolled: 1-line block ×16, first 2 shown]
.LBB554_10:
	s_clause 0x1
	s_load_dwordx2 s[0:1], s[4:5], 0x90
	s_load_dwordx4 s[4:7], s[4:5], 0x80
	v_cmp_neq_f64_e64 s9, s[42:43], 0
	v_cmp_neq_f64_e64 s16, s[44:45], 0
	v_add_co_u32 v1, s2, s2, v1
	v_add_co_ci_u32_e64 v2, null, s3, 0, s2
	s_waitcnt lgkmcnt(0)
	s_mul_i32 s1, s1, s8
	s_mul_hi_u32 s17, s0, s8
	s_mul_i32 s0, s0, s8
	s_add_i32 s1, s17, s1
	s_lshl_b64 s[0:1], s[0:1], 4
	s_add_u32 s3, s4, s0
	v_cmp_gt_i64_e64 s0, s[14:15], v[1:2]
	s_addc_u32 s4, s5, s1
	s_or_b32 s1, s9, s16
	s_and_b32 vcc_lo, exec_lo, s1
	s_mov_b32 s1, -1
	s_cbranch_vccnz .LBB554_22
; %bb.11:
	s_and_saveexec_b32 s5, s0
	s_cbranch_execz .LBB554_21
; %bb.12:
	v_mul_lo_u32 v5, v2, s6
	v_mul_lo_u32 v6, v1, s7
	v_mad_u64_u32 v[3:4], null, v1, s6, 0
	v_add3_u32 v4, v4, v6, v5
	v_add_co_u32 v5, s1, s10, v0
	v_add_co_ci_u32_e64 v6, null, s11, 0, s1
	v_lshlrev_b64 v[23:24], 4, v[3:4]
	v_cmp_gt_i64_e32 vcc_lo, s[12:13], v[5:6]
	v_lshlrev_b64 v[3:4], 4, v[5:6]
	v_add_co_u32 v23, s1, s3, v23
	v_add_co_ci_u32_e64 v24, null, s4, v24, s1
	s_and_saveexec_b32 s2, vcc_lo
	s_cbranch_execz .LBB554_14
; %bb.13:
	v_mul_f64 v[25:26], s[20:21], v[21:22]
	v_mul_f64 v[27:28], s[18:19], v[21:22]
	v_add_co_u32 v29, s1, v23, v3
	v_add_co_ci_u32_e64 v30, null, v24, v4, s1
	v_fma_f64 v[25:26], s[18:19], v[19:20], -v[25:26]
	v_fma_f64 v[27:28], s[20:21], v[19:20], v[27:28]
	global_store_dwordx4 v[29:30], v[25:28], off
.LBB554_14:
	s_or_b32 exec_lo, exec_lo, s2
	v_add_co_u32 v5, s1, v5, 16
	v_add_co_ci_u32_e64 v6, null, 0, v6, s1
	v_cmp_gt_i64_e64 s1, s[12:13], v[5:6]
	s_and_saveexec_b32 s9, s1
	s_cbranch_execz .LBB554_16
; %bb.15:
	v_mul_f64 v[5:6], s[20:21], v[17:18]
	v_mul_f64 v[27:28], s[18:19], v[17:18]
	v_fma_f64 v[25:26], s[18:19], v[15:16], -v[5:6]
	v_fma_f64 v[27:28], s[20:21], v[15:16], v[27:28]
	v_add_co_u32 v5, s2, v23, v3
	v_add_co_ci_u32_e64 v6, null, v24, v4, s2
	global_store_dwordx4 v[5:6], v[25:28], off offset:256
.LBB554_16:
	s_or_b32 exec_lo, exec_lo, s9
	v_add_co_u32 v5, s2, v1, 16
	v_add_co_ci_u32_e64 v6, null, 0, v2, s2
	v_cmp_gt_i64_e64 s2, s[14:15], v[5:6]
	s_and_b32 exec_lo, exec_lo, s2
	s_cbranch_execz .LBB554_21
; %bb.17:
	s_lshl_b64 s[16:17], s[6:7], 8
	v_add_co_u32 v5, s2, v23, s16
	v_add_co_ci_u32_e64 v6, null, s17, v24, s2
	v_add_co_u32 v3, s2, v5, v3
	v_add_co_ci_u32_e64 v4, null, v6, v4, s2
	s_and_saveexec_b32 s2, vcc_lo
	s_cbranch_execz .LBB554_19
; %bb.18:
	v_mul_f64 v[5:6], s[20:21], v[13:14]
	v_mul_f64 v[25:26], s[18:19], v[13:14]
	v_fma_f64 v[23:24], s[18:19], v[11:12], -v[5:6]
	v_fma_f64 v[25:26], s[20:21], v[11:12], v[25:26]
	global_store_dwordx4 v[3:4], v[23:26], off
.LBB554_19:
	s_or_b32 exec_lo, exec_lo, s2
	s_and_b32 exec_lo, exec_lo, s1
	s_cbranch_execz .LBB554_21
; %bb.20:
	v_mul_f64 v[5:6], s[20:21], v[9:10]
	v_mul_f64 v[25:26], s[18:19], v[9:10]
	v_fma_f64 v[23:24], s[18:19], v[7:8], -v[5:6]
	v_fma_f64 v[25:26], s[20:21], v[7:8], v[25:26]
	global_store_dwordx4 v[3:4], v[23:26], off offset:256
.LBB554_21:
	s_or_b32 exec_lo, exec_lo, s5
	s_mov_b32 s1, 0
.LBB554_22:
	s_andn2_b32 vcc_lo, exec_lo, s1
	s_cbranch_vccnz .LBB554_33
; %bb.23:
	s_and_saveexec_b32 s1, s0
	s_cbranch_execz .LBB554_33
; %bb.24:
	v_mul_lo_u32 v5, v2, s48
	v_mul_lo_u32 v6, v1, s49
	v_mad_u64_u32 v[3:4], null, v1, s48, 0
	v_mul_lo_u32 v25, v2, s6
	v_mul_lo_u32 v26, v1, s7
	v_mad_u64_u32 v[23:24], null, v1, s6, 0
	s_mul_i32 s0, s51, s8
	s_mul_hi_u32 s1, s50, s8
	v_add3_u32 v4, v4, v6, v5
	s_add_i32 s1, s1, s0
	s_mul_i32 s0, s50, s8
	v_add_co_u32 v5, s2, s10, v0
	v_add3_u32 v24, v24, v26, v25
	v_lshlrev_b64 v[3:4], 4, v[3:4]
	s_lshl_b64 s[0:1], s[0:1], 4
	v_add_co_ci_u32_e64 v6, null, s11, 0, s2
	v_lshlrev_b64 v[24:25], 4, v[23:24]
	s_add_u32 s0, s46, s0
	s_addc_u32 s1, s47, s1
	v_add_co_u32 v0, s0, s0, v3
	v_add_co_ci_u32_e64 v23, null, s1, v4, s0
	v_add_co_u32 v24, s0, s3, v24
	v_cmp_gt_i64_e32 vcc_lo, s[12:13], v[5:6]
	v_lshlrev_b64 v[3:4], 4, v[5:6]
	v_add_co_ci_u32_e64 v25, null, s4, v25, s0
	s_and_saveexec_b32 s1, vcc_lo
	s_cbranch_execz .LBB554_26
; %bb.25:
	v_add_co_u32 v26, s0, v0, v3
	v_add_co_ci_u32_e64 v27, null, v23, v4, s0
	v_mul_f64 v[30:31], s[20:21], v[21:22]
	v_mul_f64 v[21:22], s[18:19], v[21:22]
	global_load_dwordx4 v[26:29], v[26:27], off
	v_fma_f64 v[30:31], s[18:19], v[19:20], -v[30:31]
	v_fma_f64 v[21:22], s[20:21], v[19:20], v[21:22]
	s_waitcnt vmcnt(0)
	v_mul_f64 v[32:33], s[44:45], v[28:29]
	v_mul_f64 v[28:29], s[42:43], v[28:29]
	v_fma_f64 v[19:20], s[42:43], v[26:27], -v[32:33]
	v_fma_f64 v[26:27], s[44:45], v[26:27], v[28:29]
	v_add_f64 v[19:20], v[30:31], v[19:20]
	v_add_f64 v[21:22], v[21:22], v[26:27]
	v_add_co_u32 v26, s0, v24, v3
	v_add_co_ci_u32_e64 v27, null, v25, v4, s0
	global_store_dwordx4 v[26:27], v[19:22], off
.LBB554_26:
	s_or_b32 exec_lo, exec_lo, s1
	v_add_co_u32 v5, s0, v5, 16
	v_add_co_ci_u32_e64 v6, null, 0, v6, s0
	v_cmp_gt_i64_e64 s0, s[12:13], v[5:6]
	s_and_saveexec_b32 s2, s0
	s_cbranch_execz .LBB554_28
; %bb.27:
	v_add_co_u32 v5, s1, v0, v3
	v_add_co_ci_u32_e64 v6, null, v23, v4, s1
	global_load_dwordx4 v[19:22], v[5:6], off offset:256
	v_mul_f64 v[5:6], s[20:21], v[17:18]
	v_mul_f64 v[17:18], s[18:19], v[17:18]
	v_fma_f64 v[5:6], s[18:19], v[15:16], -v[5:6]
	v_fma_f64 v[17:18], s[20:21], v[15:16], v[17:18]
	s_waitcnt vmcnt(0)
	v_mul_f64 v[26:27], s[44:45], v[21:22]
	v_mul_f64 v[21:22], s[42:43], v[21:22]
	v_fma_f64 v[15:16], s[42:43], v[19:20], -v[26:27]
	v_fma_f64 v[19:20], s[44:45], v[19:20], v[21:22]
	v_add_f64 v[15:16], v[5:6], v[15:16]
	v_add_f64 v[17:18], v[17:18], v[19:20]
	v_add_co_u32 v5, s1, v24, v3
	v_add_co_ci_u32_e64 v6, null, v25, v4, s1
	global_store_dwordx4 v[5:6], v[15:18], off offset:256
.LBB554_28:
	s_or_b32 exec_lo, exec_lo, s2
	v_add_co_u32 v1, s1, v1, 16
	v_add_co_ci_u32_e64 v2, null, 0, v2, s1
	v_cmp_gt_i64_e64 s1, s[14:15], v[1:2]
	s_and_b32 exec_lo, exec_lo, s1
	s_cbranch_execz .LBB554_33
; %bb.29:
	s_lshl_b64 s[2:3], s[48:49], 8
	v_add_co_u32 v0, s1, v0, s2
	v_add_co_ci_u32_e64 v1, null, s3, v23, s1
	s_lshl_b64 s[2:3], s[6:7], 8
	v_add_co_u32 v2, s1, v24, s2
	v_add_co_ci_u32_e64 v15, null, s3, v25, s1
	v_add_co_u32 v5, s1, v0, v3
	v_add_co_ci_u32_e64 v6, null, v1, v4, s1
	;; [unrolled: 2-line block ×3, first 2 shown]
	s_and_saveexec_b32 s1, vcc_lo
	s_cbranch_execz .LBB554_31
; %bb.30:
	global_load_dwordx4 v[15:18], v[5:6], off
	v_mul_f64 v[2:3], s[20:21], v[13:14]
	v_mul_f64 v[13:14], s[18:19], v[13:14]
	v_fma_f64 v[2:3], s[18:19], v[11:12], -v[2:3]
	v_fma_f64 v[13:14], s[20:21], v[11:12], v[13:14]
	s_waitcnt vmcnt(0)
	v_mul_f64 v[19:20], s[44:45], v[17:18]
	v_mul_f64 v[17:18], s[42:43], v[17:18]
	v_fma_f64 v[11:12], s[42:43], v[15:16], -v[19:20]
	v_fma_f64 v[15:16], s[44:45], v[15:16], v[17:18]
	v_add_f64 v[11:12], v[2:3], v[11:12]
	v_add_f64 v[13:14], v[13:14], v[15:16]
	global_store_dwordx4 v[0:1], v[11:14], off
.LBB554_31:
	s_or_b32 exec_lo, exec_lo, s1
	s_and_b32 exec_lo, exec_lo, s0
	s_cbranch_execz .LBB554_33
; %bb.32:
	global_load_dwordx4 v[2:5], v[5:6], off offset:256
	v_mul_f64 v[11:12], s[20:21], v[9:10]
	v_mul_f64 v[9:10], s[18:19], v[9:10]
	v_fma_f64 v[11:12], s[18:19], v[7:8], -v[11:12]
	v_fma_f64 v[6:7], s[20:21], v[7:8], v[9:10]
	s_waitcnt vmcnt(0)
	v_mul_f64 v[13:14], s[44:45], v[4:5]
	v_mul_f64 v[4:5], s[42:43], v[4:5]
	v_fma_f64 v[8:9], s[42:43], v[2:3], -v[13:14]
	v_fma_f64 v[4:5], s[44:45], v[2:3], v[4:5]
	v_add_f64 v[2:3], v[11:12], v[8:9]
	v_add_f64 v[4:5], v[6:7], v[4:5]
	global_store_dwordx4 v[0:1], v[2:5], off offset:256
.LBB554_33:
	s_endpgm
	.section	.rodata,"a",@progbits
	.p2align	6, 0x0
	.amdhsa_kernel _ZN12_GLOBAL__N_135rocblas_gemm_batched_general_kernelI19rocblas_complex_numIdELi16ELi16ELi32ELi32ELi8ELi32ELi8ELi8ELi32ELc78ELc67EKS2_S3_S2_EEvlllT_PT11_llS6_llS4_PT12_llPT13_lli
		.amdhsa_group_segment_fixed_size 8192
		.amdhsa_private_segment_fixed_size 0
		.amdhsa_kernarg_size 156
		.amdhsa_user_sgpr_count 6
		.amdhsa_user_sgpr_private_segment_buffer 1
		.amdhsa_user_sgpr_dispatch_ptr 0
		.amdhsa_user_sgpr_queue_ptr 0
		.amdhsa_user_sgpr_kernarg_segment_ptr 1
		.amdhsa_user_sgpr_dispatch_id 0
		.amdhsa_user_sgpr_flat_scratch_init 0
		.amdhsa_user_sgpr_private_segment_size 0
		.amdhsa_wavefront_size32 1
		.amdhsa_uses_dynamic_stack 0
		.amdhsa_system_sgpr_private_segment_wavefront_offset 0
		.amdhsa_system_sgpr_workgroup_id_x 1
		.amdhsa_system_sgpr_workgroup_id_y 1
		.amdhsa_system_sgpr_workgroup_id_z 1
		.amdhsa_system_sgpr_workgroup_info 0
		.amdhsa_system_vgpr_workitem_id 1
		.amdhsa_next_free_vgpr 127
		.amdhsa_next_free_sgpr 52
		.amdhsa_reserve_vcc 1
		.amdhsa_reserve_flat_scratch 0
		.amdhsa_float_round_mode_32 0
		.amdhsa_float_round_mode_16_64 0
		.amdhsa_float_denorm_mode_32 3
		.amdhsa_float_denorm_mode_16_64 3
		.amdhsa_dx10_clamp 1
		.amdhsa_ieee_mode 1
		.amdhsa_fp16_overflow 0
		.amdhsa_workgroup_processor_mode 1
		.amdhsa_memory_ordered 1
		.amdhsa_forward_progress 1
		.amdhsa_shared_vgpr_count 0
		.amdhsa_exception_fp_ieee_invalid_op 0
		.amdhsa_exception_fp_denorm_src 0
		.amdhsa_exception_fp_ieee_div_zero 0
		.amdhsa_exception_fp_ieee_overflow 0
		.amdhsa_exception_fp_ieee_underflow 0
		.amdhsa_exception_fp_ieee_inexact 0
		.amdhsa_exception_int_div_zero 0
	.end_amdhsa_kernel
	.section	.text._ZN12_GLOBAL__N_135rocblas_gemm_batched_general_kernelI19rocblas_complex_numIdELi16ELi16ELi32ELi32ELi8ELi32ELi8ELi8ELi32ELc78ELc67EKS2_S3_S2_EEvlllT_PT11_llS6_llS4_PT12_llPT13_lli,"axG",@progbits,_ZN12_GLOBAL__N_135rocblas_gemm_batched_general_kernelI19rocblas_complex_numIdELi16ELi16ELi32ELi32ELi8ELi32ELi8ELi8ELi32ELc78ELc67EKS2_S3_S2_EEvlllT_PT11_llS6_llS4_PT12_llPT13_lli,comdat
.Lfunc_end554:
	.size	_ZN12_GLOBAL__N_135rocblas_gemm_batched_general_kernelI19rocblas_complex_numIdELi16ELi16ELi32ELi32ELi8ELi32ELi8ELi8ELi32ELc78ELc67EKS2_S3_S2_EEvlllT_PT11_llS6_llS4_PT12_llPT13_lli, .Lfunc_end554-_ZN12_GLOBAL__N_135rocblas_gemm_batched_general_kernelI19rocblas_complex_numIdELi16ELi16ELi32ELi32ELi8ELi32ELi8ELi8ELi32ELc78ELc67EKS2_S3_S2_EEvlllT_PT11_llS6_llS4_PT12_llPT13_lli
                                        ; -- End function
	.set _ZN12_GLOBAL__N_135rocblas_gemm_batched_general_kernelI19rocblas_complex_numIdELi16ELi16ELi32ELi32ELi8ELi32ELi8ELi8ELi32ELc78ELc67EKS2_S3_S2_EEvlllT_PT11_llS6_llS4_PT12_llPT13_lli.num_vgpr, 127
	.set _ZN12_GLOBAL__N_135rocblas_gemm_batched_general_kernelI19rocblas_complex_numIdELi16ELi16ELi32ELi32ELi8ELi32ELi8ELi8ELi32ELc78ELc67EKS2_S3_S2_EEvlllT_PT11_llS6_llS4_PT12_llPT13_lli.num_agpr, 0
	.set _ZN12_GLOBAL__N_135rocblas_gemm_batched_general_kernelI19rocblas_complex_numIdELi16ELi16ELi32ELi32ELi8ELi32ELi8ELi8ELi32ELc78ELc67EKS2_S3_S2_EEvlllT_PT11_llS6_llS4_PT12_llPT13_lli.numbered_sgpr, 52
	.set _ZN12_GLOBAL__N_135rocblas_gemm_batched_general_kernelI19rocblas_complex_numIdELi16ELi16ELi32ELi32ELi8ELi32ELi8ELi8ELi32ELc78ELc67EKS2_S3_S2_EEvlllT_PT11_llS6_llS4_PT12_llPT13_lli.num_named_barrier, 0
	.set _ZN12_GLOBAL__N_135rocblas_gemm_batched_general_kernelI19rocblas_complex_numIdELi16ELi16ELi32ELi32ELi8ELi32ELi8ELi8ELi32ELc78ELc67EKS2_S3_S2_EEvlllT_PT11_llS6_llS4_PT12_llPT13_lli.private_seg_size, 0
	.set _ZN12_GLOBAL__N_135rocblas_gemm_batched_general_kernelI19rocblas_complex_numIdELi16ELi16ELi32ELi32ELi8ELi32ELi8ELi8ELi32ELc78ELc67EKS2_S3_S2_EEvlllT_PT11_llS6_llS4_PT12_llPT13_lli.uses_vcc, 1
	.set _ZN12_GLOBAL__N_135rocblas_gemm_batched_general_kernelI19rocblas_complex_numIdELi16ELi16ELi32ELi32ELi8ELi32ELi8ELi8ELi32ELc78ELc67EKS2_S3_S2_EEvlllT_PT11_llS6_llS4_PT12_llPT13_lli.uses_flat_scratch, 0
	.set _ZN12_GLOBAL__N_135rocblas_gemm_batched_general_kernelI19rocblas_complex_numIdELi16ELi16ELi32ELi32ELi8ELi32ELi8ELi8ELi32ELc78ELc67EKS2_S3_S2_EEvlllT_PT11_llS6_llS4_PT12_llPT13_lli.has_dyn_sized_stack, 0
	.set _ZN12_GLOBAL__N_135rocblas_gemm_batched_general_kernelI19rocblas_complex_numIdELi16ELi16ELi32ELi32ELi8ELi32ELi8ELi8ELi32ELc78ELc67EKS2_S3_S2_EEvlllT_PT11_llS6_llS4_PT12_llPT13_lli.has_recursion, 0
	.set _ZN12_GLOBAL__N_135rocblas_gemm_batched_general_kernelI19rocblas_complex_numIdELi16ELi16ELi32ELi32ELi8ELi32ELi8ELi8ELi32ELc78ELc67EKS2_S3_S2_EEvlllT_PT11_llS6_llS4_PT12_llPT13_lli.has_indirect_call, 0
	.section	.AMDGPU.csdata,"",@progbits
; Kernel info:
; codeLenInByte = 4040
; TotalNumSgprs: 54
; NumVgprs: 127
; ScratchSize: 0
; MemoryBound: 1
; FloatMode: 240
; IeeeMode: 1
; LDSByteSize: 8192 bytes/workgroup (compile time only)
; SGPRBlocks: 0
; VGPRBlocks: 15
; NumSGPRsForWavesPerEU: 54
; NumVGPRsForWavesPerEU: 127
; Occupancy: 8
; WaveLimiterHint : 0
; COMPUTE_PGM_RSRC2:SCRATCH_EN: 0
; COMPUTE_PGM_RSRC2:USER_SGPR: 6
; COMPUTE_PGM_RSRC2:TRAP_HANDLER: 0
; COMPUTE_PGM_RSRC2:TGID_X_EN: 1
; COMPUTE_PGM_RSRC2:TGID_Y_EN: 1
; COMPUTE_PGM_RSRC2:TGID_Z_EN: 1
; COMPUTE_PGM_RSRC2:TIDIG_COMP_CNT: 1
	.section	.text._ZN12_GLOBAL__N_135rocblas_gemm_batched_general_kernelI19rocblas_complex_numIdELi16ELi16ELi32ELi32ELi8ELi32ELi8ELi8ELi32ELc84ELc67EKS2_S3_S2_EEvlllT_PT11_llS6_llS4_PT12_llPT13_lli,"axG",@progbits,_ZN12_GLOBAL__N_135rocblas_gemm_batched_general_kernelI19rocblas_complex_numIdELi16ELi16ELi32ELi32ELi8ELi32ELi8ELi8ELi32ELc84ELc67EKS2_S3_S2_EEvlllT_PT11_llS6_llS4_PT12_llPT13_lli,comdat
	.globl	_ZN12_GLOBAL__N_135rocblas_gemm_batched_general_kernelI19rocblas_complex_numIdELi16ELi16ELi32ELi32ELi8ELi32ELi8ELi8ELi32ELc84ELc67EKS2_S3_S2_EEvlllT_PT11_llS6_llS4_PT12_llPT13_lli ; -- Begin function _ZN12_GLOBAL__N_135rocblas_gemm_batched_general_kernelI19rocblas_complex_numIdELi16ELi16ELi32ELi32ELi8ELi32ELi8ELi8ELi32ELc84ELc67EKS2_S3_S2_EEvlllT_PT11_llS6_llS4_PT12_llPT13_lli
	.p2align	8
	.type	_ZN12_GLOBAL__N_135rocblas_gemm_batched_general_kernelI19rocblas_complex_numIdELi16ELi16ELi32ELi32ELi8ELi32ELi8ELi8ELi32ELc84ELc67EKS2_S3_S2_EEvlllT_PT11_llS6_llS4_PT12_llPT13_lli,@function
_ZN12_GLOBAL__N_135rocblas_gemm_batched_general_kernelI19rocblas_complex_numIdELi16ELi16ELi32ELi32ELi8ELi32ELi8ELi8ELi32ELc84ELc67EKS2_S3_S2_EEvlllT_PT11_llS6_llS4_PT12_llPT13_lli: ; @_ZN12_GLOBAL__N_135rocblas_gemm_batched_general_kernelI19rocblas_complex_numIdELi16ELi16ELi32ELi32ELi8ELi32ELi8ELi8ELi32ELc84ELc67EKS2_S3_S2_EEvlllT_PT11_llS6_llS4_PT12_llPT13_lli
; %bb.0:
	s_clause 0x1
	s_load_dwordx16 s[12:27], s[4:5], 0x0
	s_load_dwordx16 s[36:51], s[4:5], 0x40
	s_mov_b32 s28, s7
	v_mov_b32_e32 v2, 0
	s_ashr_i32 s7, s6, 31
	s_ashr_i32 s29, s28, 31
	s_lshl_b64 s[10:11], s[6:7], 5
	s_lshl_b64 s[2:3], s[28:29], 5
	s_waitcnt lgkmcnt(0)
	v_cmp_lt_i64_e64 s0, s[16:17], 1
	s_and_b32 vcc_lo, exec_lo, s0
	s_cbranch_vccnz .LBB555_9
; %bb.1:
	v_lshl_add_u32 v3, v1, 4, v0
	v_and_b32_e32 v27, 7, v0
	v_mov_b32_e32 v4, s11
	s_mul_i32 s1, s41, s8
	s_mul_hi_u32 s6, s40, s8
	v_and_b32_e32 v9, 31, v3
	v_mad_u64_u32 v[5:6], null, s38, v27, 0
	v_lshrrev_b32_e32 v28, 5, v3
	v_lshrrev_b32_e32 v10, 3, v3
	v_or_b32_e32 v3, s10, v9
	v_lshlrev_b32_e32 v11, 4, v27
	s_add_i32 s7, s6, s1
	v_lshlrev_b32_e32 v12, 4, v9
	v_add_co_u32 v7, s0, v10, s2
	v_cmp_gt_i64_e32 vcc_lo, s[12:13], v[3:4]
	v_mov_b32_e32 v3, v6
	v_add_co_ci_u32_e64 v8, null, 0, s3, s0
	v_lshl_or_b32 v6, v10, 7, v11
	s_mul_i32 s6, s40, s8
	v_mad_u64_u32 v[3:4], null, s39, v27, v[3:4]
	v_cmp_gt_i64_e64 s0, s[14:15], v[7:8]
	v_add_co_u32 v7, s1, s10, v9
	v_add_nc_u32_e32 v30, 0x1000, v6
	v_add_co_ci_u32_e64 v8, null, s11, 0, s1
	v_mov_b32_e32 v6, v3
	v_mul_lo_u32 v9, s25, v7
	s_lshl_b64 s[6:7], s[6:7], 4
	v_mul_lo_u32 v8, s24, v8
	s_lshl_b64 s[28:29], s[28:29], 9
	v_lshlrev_b64 v[3:4], 4, v[5:6]
	v_mad_u64_u32 v[5:6], null, s24, v7, 0
	s_add_u32 s1, s28, s6
	s_addc_u32 s6, s29, s7
	v_lshlrev_b32_e32 v7, 4, v10
	v_add_co_u32 v3, s1, s1, v3
	v_add_co_ci_u32_e64 v4, null, s6, v4, s1
	v_add3_u32 v6, v6, v8, v9
	v_add_co_u32 v7, s1, v3, v7
	v_add_co_ci_u32_e64 v8, null, 0, v4, s1
	s_mul_i32 s1, s27, s8
	s_mul_hi_u32 s6, s26, s8
	v_lshlrev_b64 v[3:4], 4, v[5:6]
	s_add_i32 s7, s6, s1
	s_mul_i32 s6, s26, s8
	v_add_co_u32 v5, s1, s36, v7
	s_lshl_b64 s[6:7], s[6:7], 4
	v_add_co_ci_u32_e64 v6, null, s37, v8, s1
	v_add_co_u32 v3, s1, v3, s6
	v_lshlrev_b32_e32 v7, 4, v28
	v_add_co_ci_u32_e64 v4, null, s7, v4, s1
	v_add_co_u32 v23, s1, v5, 8
	v_add_co_ci_u32_e64 v24, null, 0, v6, s1
	v_add_co_u32 v3, s1, v3, v7
	v_add_co_ci_u32_e64 v4, null, 0, v4, s1
	v_lshl_or_b32 v29, v28, 9, v12
	v_add_co_u32 v25, s1, s22, v3
	v_mov_b32_e32 v9, 0
	v_mov_b32_e32 v7, 0
	v_mov_b32_e32 v13, 0
	v_mov_b32_e32 v11, 0
	v_mov_b32_e32 v17, 0
	v_mov_b32_e32 v15, 0
	v_mov_b32_e32 v21, 0
	v_mov_b32_e32 v19, 0
	v_lshlrev_b32_e32 v31, 4, v0
	v_lshl_add_u32 v32, v1, 7, 0x1000
	v_mov_b32_e32 v10, 0
	v_mov_b32_e32 v8, 0
	;; [unrolled: 1-line block ×8, first 2 shown]
	v_add_co_ci_u32_e64 v26, null, s23, v4, s1
	s_lshl_b64 s[6:7], s[38:39], 7
	s_mov_b64 s[22:23], 0
	s_xor_b32 s1, vcc_lo, -1
	s_branch .LBB555_3
.LBB555_2:                              ;   in Loop: Header=BB555_3 Depth=1
	s_or_b32 exec_lo, exec_lo, s9
	ds_write_b128 v30, v[3:6]
	s_waitcnt lgkmcnt(0)
	s_barrier
	buffer_gl0_inv
	ds_read_b128 v[3:6], v32
	ds_read_b128 v[33:36], v31
	ds_read_b128 v[37:40], v31 offset:256
	ds_read_b128 v[41:44], v32 offset:2048
	;; [unrolled: 1-line block ×12, first 2 shown]
	s_add_u32 s22, s22, 8
	s_addc_u32 s23, s23, 0
	v_add_co_u32 v23, vcc_lo, v23, s6
	v_cmp_lt_i64_e64 s9, s[22:23], s[16:17]
	v_add_co_ci_u32_e64 v24, null, s7, v24, vcc_lo
	s_waitcnt lgkmcnt(12)
	v_mul_f64 v[85:86], v[5:6], v[35:36]
	v_mul_f64 v[87:88], v[3:4], v[35:36]
	s_waitcnt lgkmcnt(11)
	v_mul_f64 v[89:90], v[5:6], v[39:40]
	v_mul_f64 v[91:92], v[3:4], v[39:40]
	;; [unrolled: 3-line block ×3, first 2 shown]
	v_mul_f64 v[95:96], v[43:44], v[39:40]
	v_mul_f64 v[39:40], v[41:42], v[39:40]
	s_waitcnt lgkmcnt(8)
	v_mul_f64 v[97:98], v[47:48], v[51:52]
	v_mul_f64 v[99:100], v[45:46], v[51:52]
	s_waitcnt lgkmcnt(7)
	;; [unrolled: 3-line block ×3, first 2 shown]
	v_mul_f64 v[105:106], v[59:60], v[51:52]
	v_mul_f64 v[51:52], v[57:58], v[51:52]
	;; [unrolled: 1-line block ×4, first 2 shown]
	s_waitcnt lgkmcnt(4)
	v_mul_f64 v[109:110], v[63:64], v[67:68]
	v_mul_f64 v[111:112], v[61:62], v[67:68]
	s_waitcnt lgkmcnt(3)
	v_mul_f64 v[113:114], v[63:64], v[71:72]
	v_mul_f64 v[115:116], v[61:62], v[71:72]
	s_waitcnt lgkmcnt(2)
	v_mul_f64 v[117:118], v[75:76], v[67:68]
	v_mul_f64 v[67:68], v[73:74], v[67:68]
	v_fma_f64 v[85:86], v[3:4], v[33:34], -v[85:86]
	v_fma_f64 v[87:88], v[5:6], v[33:34], v[87:88]
	v_fma_f64 v[89:90], v[3:4], v[37:38], -v[89:90]
	v_fma_f64 v[91:92], v[5:6], v[37:38], v[91:92]
	;; [unrolled: 2-line block ×4, first 2 shown]
	v_mul_f64 v[123:124], v[75:76], v[71:72]
	v_mul_f64 v[71:72], v[73:74], v[71:72]
	ds_read_b128 v[3:6], v31 offset:1536
	ds_read_b128 v[33:36], v31 offset:1792
	v_fma_f64 v[97:98], v[45:46], v[49:50], -v[97:98]
	v_fma_f64 v[99:100], v[47:48], v[49:50], v[99:100]
	v_fma_f64 v[101:102], v[45:46], v[53:54], -v[101:102]
	v_fma_f64 v[103:104], v[47:48], v[53:54], v[103:104]
	;; [unrolled: 2-line block ×7, first 2 shown]
	v_add_f64 v[19:20], v[19:20], v[85:86]
	v_add_f64 v[21:22], v[87:88], v[21:22]
	;; [unrolled: 1-line block ×4, first 2 shown]
	s_waitcnt lgkmcnt(1)
	v_mul_f64 v[109:110], v[79:80], v[5:6]
	s_waitcnt lgkmcnt(0)
	v_mul_f64 v[67:68], v[79:80], v[35:36]
	v_fma_f64 v[73:74], v[73:74], v[69:70], -v[123:124]
	v_fma_f64 v[69:70], v[75:76], v[69:70], v[71:72]
	v_add_f64 v[71:72], v[11:12], v[93:94]
	v_add_f64 v[13:14], v[119:120], v[13:14]
	;; [unrolled: 1-line block ×4, first 2 shown]
	ds_read_b128 v[37:40], v32 offset:64
	ds_read_b128 v[41:44], v31 offset:2048
	;; [unrolled: 1-line block ×3, first 2 shown]
	v_mul_f64 v[111:112], v[77:78], v[5:6]
	v_mul_f64 v[113:114], v[77:78], v[35:36]
	;; [unrolled: 1-line block ×6, first 2 shown]
	ds_read_b128 v[49:52], v32 offset:2112
	ds_read_b128 v[9:12], v32 offset:2128
	v_add_f64 v[97:98], v[19:20], v[97:98]
	v_add_f64 v[21:22], v[99:100], v[21:22]
	;; [unrolled: 1-line block ×4, first 2 shown]
	v_fma_f64 v[89:90], v[77:78], v[3:4], -v[109:110]
	v_fma_f64 v[67:68], v[77:78], v[33:34], -v[67:68]
	ds_read_b128 v[5:8], v32 offset:80
	ds_read_b128 v[17:20], v31 offset:2816
	v_add_f64 v[71:72], v[71:72], v[105:106]
	v_add_f64 v[103:104], v[125:126], v[13:14]
	s_waitcnt lgkmcnt(5)
	v_mul_f64 v[77:78], v[39:40], v[43:44]
	v_mul_f64 v[93:94], v[37:38], v[43:44]
	v_add_f64 v[57:58], v[75:76], v[57:58]
	v_add_f64 v[53:54], v[53:54], v[85:86]
	ds_read_b128 v[13:16], v31 offset:2560
	s_waitcnt lgkmcnt(5)
	v_mul_f64 v[95:96], v[39:40], v[47:48]
	v_mul_f64 v[109:110], v[37:38], v[47:48]
	v_fma_f64 v[91:92], v[79:80], v[3:4], v[111:112]
	v_fma_f64 v[79:80], v[79:80], v[33:34], v[113:114]
	s_waitcnt lgkmcnt(4)
	v_mul_f64 v[111:112], v[51:52], v[43:44]
	v_mul_f64 v[43:44], v[49:50], v[43:44]
	v_fma_f64 v[75:76], v[81:82], v[3:4], -v[115:116]
	v_fma_f64 v[3:4], v[83:84], v[3:4], v[117:118]
	v_fma_f64 v[81:82], v[81:82], v[33:34], -v[87:88]
	v_fma_f64 v[83:84], v[83:84], v[33:34], v[35:36]
	v_add_f64 v[55:56], v[97:98], v[55:56]
	v_add_f64 v[59:60], v[59:60], v[21:22]
	;; [unrolled: 1-line block ×4, first 2 shown]
	s_waitcnt lgkmcnt(1)
	v_mul_f64 v[97:98], v[7:8], v[19:20]
	v_add_f64 v[71:72], v[71:72], v[107:108]
	v_add_f64 v[65:66], v[65:66], v[103:104]
	v_fma_f64 v[77:78], v[37:38], v[41:42], -v[77:78]
	v_fma_f64 v[85:86], v[39:40], v[41:42], v[93:94]
	v_add_f64 v[57:58], v[57:58], v[73:74]
	v_add_f64 v[53:54], v[69:70], v[53:54]
	s_waitcnt lgkmcnt(0)
	v_mul_f64 v[69:70], v[7:8], v[15:16]
	v_fma_f64 v[87:88], v[37:38], v[45:46], -v[95:96]
	v_fma_f64 v[93:94], v[39:40], v[45:46], v[109:110]
	v_mul_f64 v[37:38], v[51:52], v[47:48]
	v_mul_f64 v[39:40], v[49:50], v[47:48]
	v_fma_f64 v[47:48], v[49:50], v[41:42], -v[111:112]
	v_fma_f64 v[95:96], v[51:52], v[41:42], v[43:44]
	v_mul_f64 v[73:74], v[5:6], v[15:16]
	v_mul_f64 v[99:100], v[5:6], v[19:20]
	;; [unrolled: 1-line block ×6, first 2 shown]
	ds_read_b128 v[19:22], v32 offset:96
	ds_read_b128 v[33:36], v31 offset:3072
	v_add_co_u32 v25, vcc_lo, 0x80, v25
	v_add_co_ci_u32_e64 v26, null, 0, v26, vcc_lo
	v_add_f64 v[65:66], v[3:4], v[65:66]
	s_and_b32 vcc_lo, exec_lo, s9
	v_add_f64 v[57:58], v[57:58], v[81:82]
	v_add_f64 v[53:54], v[83:84], v[53:54]
	v_fma_f64 v[49:50], v[49:50], v[45:46], -v[37:38]
	v_fma_f64 v[45:46], v[51:52], v[45:46], v[39:40]
	v_add_f64 v[51:52], v[55:56], v[89:90]
	v_add_f64 v[55:56], v[91:92], v[59:60]
	;; [unrolled: 1-line block ×5, first 2 shown]
	ds_read_b128 v[37:40], v31 offset:3328
	ds_read_b128 v[41:44], v32 offset:2144
	v_fma_f64 v[67:68], v[5:6], v[13:14], -v[69:70]
	v_fma_f64 v[69:70], v[7:8], v[13:14], v[73:74]
	v_fma_f64 v[71:72], v[5:6], v[17:18], -v[97:98]
	v_fma_f64 v[73:74], v[7:8], v[17:18], v[99:100]
	;; [unrolled: 2-line block ×3, first 2 shown]
	v_fma_f64 v[81:82], v[9:10], v[17:18], -v[103:104]
	s_waitcnt lgkmcnt(2)
	v_mul_f64 v[83:84], v[21:22], v[35:36]
	v_fma_f64 v[89:90], v[11:12], v[17:18], v[105:106]
	v_mul_f64 v[91:92], v[19:20], v[35:36]
	ds_read_b128 v[3:6], v32 offset:112
	ds_read_b128 v[7:10], v32 offset:2160
	;; [unrolled: 1-line block ×4, first 2 shown]
	s_waitcnt lgkmcnt(0)
	v_add_f64 v[49:50], v[57:58], v[49:50]
	v_add_f64 v[45:46], v[45:46], v[53:54]
	;; [unrolled: 1-line block ×4, first 2 shown]
	v_mul_f64 v[97:98], v[21:22], v[39:40]
	v_mul_f64 v[99:100], v[19:20], v[39:40]
	v_mul_f64 v[101:102], v[43:44], v[35:36]
	v_mul_f64 v[35:36], v[41:42], v[35:36]
	v_add_f64 v[59:60], v[59:60], v[87:88]
	v_add_f64 v[61:62], v[93:94], v[61:62]
	v_add_f64 v[47:48], v[63:64], v[47:48]
	v_add_f64 v[63:64], v[95:96], v[65:66]
	v_mul_f64 v[53:54], v[43:44], v[39:40]
	v_mul_f64 v[39:40], v[41:42], v[39:40]
	s_barrier
	v_fma_f64 v[57:58], v[19:20], v[33:34], -v[83:84]
	buffer_gl0_inv
	v_fma_f64 v[65:66], v[21:22], v[33:34], v[91:92]
	v_add_f64 v[49:50], v[49:50], v[81:82]
	v_add_f64 v[45:46], v[89:90], v[45:46]
	v_fma_f64 v[19:20], v[19:20], v[37:38], -v[97:98]
	v_fma_f64 v[21:22], v[21:22], v[37:38], v[99:100]
	v_fma_f64 v[77:78], v[41:42], v[33:34], -v[101:102]
	v_fma_f64 v[33:34], v[43:44], v[33:34], v[35:36]
	v_add_f64 v[35:36], v[51:52], v[67:68]
	v_add_f64 v[51:52], v[69:70], v[55:56]
	;; [unrolled: 1-line block ×6, first 2 shown]
	v_fma_f64 v[41:42], v[41:42], v[37:38], -v[53:54]
	v_fma_f64 v[37:38], v[43:44], v[37:38], v[39:40]
	v_mul_f64 v[39:40], v[5:6], v[13:14]
	v_mul_f64 v[43:44], v[3:4], v[13:14]
	;; [unrolled: 1-line block ×8, first 2 shown]
	v_add_f64 v[35:36], v[35:36], v[57:58]
	v_add_f64 v[51:52], v[65:66], v[51:52]
	;; [unrolled: 1-line block ×8, first 2 shown]
	v_fma_f64 v[19:20], v[3:4], v[11:12], -v[39:40]
	v_fma_f64 v[21:22], v[5:6], v[11:12], v[43:44]
	v_fma_f64 v[3:4], v[3:4], v[15:16], -v[53:54]
	v_fma_f64 v[5:6], v[5:6], v[15:16], v[63:64]
	;; [unrolled: 2-line block ×4, first 2 shown]
	v_add_f64 v[19:20], v[35:36], v[19:20]
	v_add_f64 v[21:22], v[21:22], v[51:52]
	;; [unrolled: 1-line block ×8, first 2 shown]
	s_cbranch_vccz .LBB555_10
.LBB555_3:                              ; =>This Inner Loop Header: Depth=1
	v_add_co_u32 v3, s9, v28, s22
	v_add_co_ci_u32_e64 v4, null, 0, s23, s9
	v_cmp_le_i64_e32 vcc_lo, s[16:17], v[3:4]
	s_or_b32 s9, s1, vcc_lo
	s_and_saveexec_b32 s24, s9
	s_xor_b32 s9, exec_lo, s24
	s_cbranch_execz .LBB555_5
; %bb.4:                                ;   in Loop: Header=BB555_3 Depth=1
	v_mov_b32_e32 v3, v2
	v_mov_b32_e32 v4, v2
	;; [unrolled: 1-line block ×3, first 2 shown]
	ds_write_b128 v29, v[2:5]
.LBB555_5:                              ;   in Loop: Header=BB555_3 Depth=1
	s_andn2_saveexec_b32 s9, s9
	s_cbranch_execz .LBB555_7
; %bb.6:                                ;   in Loop: Header=BB555_3 Depth=1
	global_load_dwordx4 v[3:6], v[25:26], off
	s_waitcnt vmcnt(0)
	ds_write2_b64 v29, v[3:4], v[5:6] offset1:1
.LBB555_7:                              ;   in Loop: Header=BB555_3 Depth=1
	s_or_b32 exec_lo, exec_lo, s9
	v_add_co_u32 v3, s9, v27, s22
	v_add_co_ci_u32_e64 v4, null, 0, s23, s9
	v_mov_b32_e32 v5, 0
	v_mov_b32_e32 v6, 0
	v_cmp_gt_i64_e32 vcc_lo, s[16:17], v[3:4]
	v_mov_b32_e32 v3, 0
	v_mov_b32_e32 v4, 0
	s_and_b32 s24, vcc_lo, s0
	s_and_saveexec_b32 s9, s24
	s_cbranch_execz .LBB555_2
; %bb.8:                                ;   in Loop: Header=BB555_3 Depth=1
	global_load_dwordx4 v[3:6], v[23:24], off offset:-8
	s_waitcnt vmcnt(0)
	v_xor_b32_e32 v6, 0x80000000, v6
	s_branch .LBB555_2
.LBB555_9:
	v_mov_b32_e32 v19, 0
	v_mov_b32_e32 v21, 0
	;; [unrolled: 1-line block ×16, first 2 shown]
.LBB555_10:
	s_clause 0x1
	s_load_dwordx2 s[0:1], s[4:5], 0x90
	s_load_dwordx4 s[4:7], s[4:5], 0x80
	v_cmp_neq_f64_e64 s9, s[42:43], 0
	v_cmp_neq_f64_e64 s16, s[44:45], 0
	v_add_co_u32 v1, s2, s2, v1
	v_add_co_ci_u32_e64 v2, null, s3, 0, s2
	s_waitcnt lgkmcnt(0)
	s_mul_i32 s1, s1, s8
	s_mul_hi_u32 s17, s0, s8
	s_mul_i32 s0, s0, s8
	s_add_i32 s1, s17, s1
	s_lshl_b64 s[0:1], s[0:1], 4
	s_add_u32 s3, s4, s0
	v_cmp_gt_i64_e64 s0, s[14:15], v[1:2]
	s_addc_u32 s4, s5, s1
	s_or_b32 s1, s9, s16
	s_and_b32 vcc_lo, exec_lo, s1
	s_mov_b32 s1, -1
	s_cbranch_vccnz .LBB555_22
; %bb.11:
	s_and_saveexec_b32 s5, s0
	s_cbranch_execz .LBB555_21
; %bb.12:
	v_mul_lo_u32 v5, v2, s6
	v_mul_lo_u32 v6, v1, s7
	v_mad_u64_u32 v[3:4], null, v1, s6, 0
	v_add3_u32 v4, v4, v6, v5
	v_add_co_u32 v5, s1, s10, v0
	v_add_co_ci_u32_e64 v6, null, s11, 0, s1
	v_lshlrev_b64 v[23:24], 4, v[3:4]
	v_cmp_gt_i64_e32 vcc_lo, s[12:13], v[5:6]
	v_lshlrev_b64 v[3:4], 4, v[5:6]
	v_add_co_u32 v23, s1, s3, v23
	v_add_co_ci_u32_e64 v24, null, s4, v24, s1
	s_and_saveexec_b32 s2, vcc_lo
	s_cbranch_execz .LBB555_14
; %bb.13:
	v_mul_f64 v[25:26], s[20:21], v[21:22]
	v_mul_f64 v[27:28], s[18:19], v[21:22]
	v_add_co_u32 v29, s1, v23, v3
	v_add_co_ci_u32_e64 v30, null, v24, v4, s1
	v_fma_f64 v[25:26], s[18:19], v[19:20], -v[25:26]
	v_fma_f64 v[27:28], s[20:21], v[19:20], v[27:28]
	global_store_dwordx4 v[29:30], v[25:28], off
.LBB555_14:
	s_or_b32 exec_lo, exec_lo, s2
	v_add_co_u32 v5, s1, v5, 16
	v_add_co_ci_u32_e64 v6, null, 0, v6, s1
	v_cmp_gt_i64_e64 s1, s[12:13], v[5:6]
	s_and_saveexec_b32 s9, s1
	s_cbranch_execz .LBB555_16
; %bb.15:
	v_mul_f64 v[5:6], s[20:21], v[17:18]
	v_mul_f64 v[27:28], s[18:19], v[17:18]
	v_fma_f64 v[25:26], s[18:19], v[15:16], -v[5:6]
	v_fma_f64 v[27:28], s[20:21], v[15:16], v[27:28]
	v_add_co_u32 v5, s2, v23, v3
	v_add_co_ci_u32_e64 v6, null, v24, v4, s2
	global_store_dwordx4 v[5:6], v[25:28], off offset:256
.LBB555_16:
	s_or_b32 exec_lo, exec_lo, s9
	v_add_co_u32 v5, s2, v1, 16
	v_add_co_ci_u32_e64 v6, null, 0, v2, s2
	v_cmp_gt_i64_e64 s2, s[14:15], v[5:6]
	s_and_b32 exec_lo, exec_lo, s2
	s_cbranch_execz .LBB555_21
; %bb.17:
	s_lshl_b64 s[16:17], s[6:7], 8
	v_add_co_u32 v5, s2, v23, s16
	v_add_co_ci_u32_e64 v6, null, s17, v24, s2
	v_add_co_u32 v3, s2, v5, v3
	v_add_co_ci_u32_e64 v4, null, v6, v4, s2
	s_and_saveexec_b32 s2, vcc_lo
	s_cbranch_execz .LBB555_19
; %bb.18:
	v_mul_f64 v[5:6], s[20:21], v[13:14]
	v_mul_f64 v[25:26], s[18:19], v[13:14]
	v_fma_f64 v[23:24], s[18:19], v[11:12], -v[5:6]
	v_fma_f64 v[25:26], s[20:21], v[11:12], v[25:26]
	global_store_dwordx4 v[3:4], v[23:26], off
.LBB555_19:
	s_or_b32 exec_lo, exec_lo, s2
	s_and_b32 exec_lo, exec_lo, s1
	s_cbranch_execz .LBB555_21
; %bb.20:
	v_mul_f64 v[5:6], s[20:21], v[9:10]
	v_mul_f64 v[25:26], s[18:19], v[9:10]
	v_fma_f64 v[23:24], s[18:19], v[7:8], -v[5:6]
	v_fma_f64 v[25:26], s[20:21], v[7:8], v[25:26]
	global_store_dwordx4 v[3:4], v[23:26], off offset:256
.LBB555_21:
	s_or_b32 exec_lo, exec_lo, s5
	s_mov_b32 s1, 0
.LBB555_22:
	s_andn2_b32 vcc_lo, exec_lo, s1
	s_cbranch_vccnz .LBB555_33
; %bb.23:
	s_and_saveexec_b32 s1, s0
	s_cbranch_execz .LBB555_33
; %bb.24:
	v_mul_lo_u32 v5, v2, s48
	v_mul_lo_u32 v6, v1, s49
	v_mad_u64_u32 v[3:4], null, v1, s48, 0
	v_mul_lo_u32 v25, v2, s6
	v_mul_lo_u32 v26, v1, s7
	v_mad_u64_u32 v[23:24], null, v1, s6, 0
	s_mul_i32 s0, s51, s8
	s_mul_hi_u32 s1, s50, s8
	v_add3_u32 v4, v4, v6, v5
	s_add_i32 s1, s1, s0
	s_mul_i32 s0, s50, s8
	v_add_co_u32 v5, s2, s10, v0
	v_add3_u32 v24, v24, v26, v25
	v_lshlrev_b64 v[3:4], 4, v[3:4]
	s_lshl_b64 s[0:1], s[0:1], 4
	v_add_co_ci_u32_e64 v6, null, s11, 0, s2
	v_lshlrev_b64 v[24:25], 4, v[23:24]
	s_add_u32 s0, s46, s0
	s_addc_u32 s1, s47, s1
	v_add_co_u32 v0, s0, s0, v3
	v_add_co_ci_u32_e64 v23, null, s1, v4, s0
	v_add_co_u32 v24, s0, s3, v24
	v_cmp_gt_i64_e32 vcc_lo, s[12:13], v[5:6]
	v_lshlrev_b64 v[3:4], 4, v[5:6]
	v_add_co_ci_u32_e64 v25, null, s4, v25, s0
	s_and_saveexec_b32 s1, vcc_lo
	s_cbranch_execz .LBB555_26
; %bb.25:
	v_add_co_u32 v26, s0, v0, v3
	v_add_co_ci_u32_e64 v27, null, v23, v4, s0
	v_mul_f64 v[30:31], s[20:21], v[21:22]
	v_mul_f64 v[21:22], s[18:19], v[21:22]
	global_load_dwordx4 v[26:29], v[26:27], off
	v_fma_f64 v[30:31], s[18:19], v[19:20], -v[30:31]
	v_fma_f64 v[21:22], s[20:21], v[19:20], v[21:22]
	s_waitcnt vmcnt(0)
	v_mul_f64 v[32:33], s[44:45], v[28:29]
	v_mul_f64 v[28:29], s[42:43], v[28:29]
	v_fma_f64 v[19:20], s[42:43], v[26:27], -v[32:33]
	v_fma_f64 v[26:27], s[44:45], v[26:27], v[28:29]
	v_add_f64 v[19:20], v[30:31], v[19:20]
	v_add_f64 v[21:22], v[21:22], v[26:27]
	v_add_co_u32 v26, s0, v24, v3
	v_add_co_ci_u32_e64 v27, null, v25, v4, s0
	global_store_dwordx4 v[26:27], v[19:22], off
.LBB555_26:
	s_or_b32 exec_lo, exec_lo, s1
	v_add_co_u32 v5, s0, v5, 16
	v_add_co_ci_u32_e64 v6, null, 0, v6, s0
	v_cmp_gt_i64_e64 s0, s[12:13], v[5:6]
	s_and_saveexec_b32 s2, s0
	s_cbranch_execz .LBB555_28
; %bb.27:
	v_add_co_u32 v5, s1, v0, v3
	v_add_co_ci_u32_e64 v6, null, v23, v4, s1
	global_load_dwordx4 v[19:22], v[5:6], off offset:256
	v_mul_f64 v[5:6], s[20:21], v[17:18]
	v_mul_f64 v[17:18], s[18:19], v[17:18]
	v_fma_f64 v[5:6], s[18:19], v[15:16], -v[5:6]
	v_fma_f64 v[17:18], s[20:21], v[15:16], v[17:18]
	s_waitcnt vmcnt(0)
	v_mul_f64 v[26:27], s[44:45], v[21:22]
	v_mul_f64 v[21:22], s[42:43], v[21:22]
	v_fma_f64 v[15:16], s[42:43], v[19:20], -v[26:27]
	v_fma_f64 v[19:20], s[44:45], v[19:20], v[21:22]
	v_add_f64 v[15:16], v[5:6], v[15:16]
	v_add_f64 v[17:18], v[17:18], v[19:20]
	v_add_co_u32 v5, s1, v24, v3
	v_add_co_ci_u32_e64 v6, null, v25, v4, s1
	global_store_dwordx4 v[5:6], v[15:18], off offset:256
.LBB555_28:
	s_or_b32 exec_lo, exec_lo, s2
	v_add_co_u32 v1, s1, v1, 16
	v_add_co_ci_u32_e64 v2, null, 0, v2, s1
	v_cmp_gt_i64_e64 s1, s[14:15], v[1:2]
	s_and_b32 exec_lo, exec_lo, s1
	s_cbranch_execz .LBB555_33
; %bb.29:
	s_lshl_b64 s[2:3], s[48:49], 8
	v_add_co_u32 v0, s1, v0, s2
	v_add_co_ci_u32_e64 v1, null, s3, v23, s1
	s_lshl_b64 s[2:3], s[6:7], 8
	v_add_co_u32 v2, s1, v24, s2
	v_add_co_ci_u32_e64 v15, null, s3, v25, s1
	v_add_co_u32 v5, s1, v0, v3
	v_add_co_ci_u32_e64 v6, null, v1, v4, s1
	;; [unrolled: 2-line block ×3, first 2 shown]
	s_and_saveexec_b32 s1, vcc_lo
	s_cbranch_execz .LBB555_31
; %bb.30:
	global_load_dwordx4 v[15:18], v[5:6], off
	v_mul_f64 v[2:3], s[20:21], v[13:14]
	v_mul_f64 v[13:14], s[18:19], v[13:14]
	v_fma_f64 v[2:3], s[18:19], v[11:12], -v[2:3]
	v_fma_f64 v[13:14], s[20:21], v[11:12], v[13:14]
	s_waitcnt vmcnt(0)
	v_mul_f64 v[19:20], s[44:45], v[17:18]
	v_mul_f64 v[17:18], s[42:43], v[17:18]
	v_fma_f64 v[11:12], s[42:43], v[15:16], -v[19:20]
	v_fma_f64 v[15:16], s[44:45], v[15:16], v[17:18]
	v_add_f64 v[11:12], v[2:3], v[11:12]
	v_add_f64 v[13:14], v[13:14], v[15:16]
	global_store_dwordx4 v[0:1], v[11:14], off
.LBB555_31:
	s_or_b32 exec_lo, exec_lo, s1
	s_and_b32 exec_lo, exec_lo, s0
	s_cbranch_execz .LBB555_33
; %bb.32:
	global_load_dwordx4 v[2:5], v[5:6], off offset:256
	v_mul_f64 v[11:12], s[20:21], v[9:10]
	v_mul_f64 v[9:10], s[18:19], v[9:10]
	v_fma_f64 v[11:12], s[18:19], v[7:8], -v[11:12]
	v_fma_f64 v[6:7], s[20:21], v[7:8], v[9:10]
	s_waitcnt vmcnt(0)
	v_mul_f64 v[13:14], s[44:45], v[4:5]
	v_mul_f64 v[4:5], s[42:43], v[4:5]
	v_fma_f64 v[8:9], s[42:43], v[2:3], -v[13:14]
	v_fma_f64 v[4:5], s[44:45], v[2:3], v[4:5]
	v_add_f64 v[2:3], v[11:12], v[8:9]
	v_add_f64 v[4:5], v[6:7], v[4:5]
	global_store_dwordx4 v[0:1], v[2:5], off offset:256
.LBB555_33:
	s_endpgm
	.section	.rodata,"a",@progbits
	.p2align	6, 0x0
	.amdhsa_kernel _ZN12_GLOBAL__N_135rocblas_gemm_batched_general_kernelI19rocblas_complex_numIdELi16ELi16ELi32ELi32ELi8ELi32ELi8ELi8ELi32ELc84ELc67EKS2_S3_S2_EEvlllT_PT11_llS6_llS4_PT12_llPT13_lli
		.amdhsa_group_segment_fixed_size 8192
		.amdhsa_private_segment_fixed_size 0
		.amdhsa_kernarg_size 156
		.amdhsa_user_sgpr_count 6
		.amdhsa_user_sgpr_private_segment_buffer 1
		.amdhsa_user_sgpr_dispatch_ptr 0
		.amdhsa_user_sgpr_queue_ptr 0
		.amdhsa_user_sgpr_kernarg_segment_ptr 1
		.amdhsa_user_sgpr_dispatch_id 0
		.amdhsa_user_sgpr_flat_scratch_init 0
		.amdhsa_user_sgpr_private_segment_size 0
		.amdhsa_wavefront_size32 1
		.amdhsa_uses_dynamic_stack 0
		.amdhsa_system_sgpr_private_segment_wavefront_offset 0
		.amdhsa_system_sgpr_workgroup_id_x 1
		.amdhsa_system_sgpr_workgroup_id_y 1
		.amdhsa_system_sgpr_workgroup_id_z 1
		.amdhsa_system_sgpr_workgroup_info 0
		.amdhsa_system_vgpr_workitem_id 1
		.amdhsa_next_free_vgpr 127
		.amdhsa_next_free_sgpr 52
		.amdhsa_reserve_vcc 1
		.amdhsa_reserve_flat_scratch 0
		.amdhsa_float_round_mode_32 0
		.amdhsa_float_round_mode_16_64 0
		.amdhsa_float_denorm_mode_32 3
		.amdhsa_float_denorm_mode_16_64 3
		.amdhsa_dx10_clamp 1
		.amdhsa_ieee_mode 1
		.amdhsa_fp16_overflow 0
		.amdhsa_workgroup_processor_mode 1
		.amdhsa_memory_ordered 1
		.amdhsa_forward_progress 1
		.amdhsa_shared_vgpr_count 0
		.amdhsa_exception_fp_ieee_invalid_op 0
		.amdhsa_exception_fp_denorm_src 0
		.amdhsa_exception_fp_ieee_div_zero 0
		.amdhsa_exception_fp_ieee_overflow 0
		.amdhsa_exception_fp_ieee_underflow 0
		.amdhsa_exception_fp_ieee_inexact 0
		.amdhsa_exception_int_div_zero 0
	.end_amdhsa_kernel
	.section	.text._ZN12_GLOBAL__N_135rocblas_gemm_batched_general_kernelI19rocblas_complex_numIdELi16ELi16ELi32ELi32ELi8ELi32ELi8ELi8ELi32ELc84ELc67EKS2_S3_S2_EEvlllT_PT11_llS6_llS4_PT12_llPT13_lli,"axG",@progbits,_ZN12_GLOBAL__N_135rocblas_gemm_batched_general_kernelI19rocblas_complex_numIdELi16ELi16ELi32ELi32ELi8ELi32ELi8ELi8ELi32ELc84ELc67EKS2_S3_S2_EEvlllT_PT11_llS6_llS4_PT12_llPT13_lli,comdat
.Lfunc_end555:
	.size	_ZN12_GLOBAL__N_135rocblas_gemm_batched_general_kernelI19rocblas_complex_numIdELi16ELi16ELi32ELi32ELi8ELi32ELi8ELi8ELi32ELc84ELc67EKS2_S3_S2_EEvlllT_PT11_llS6_llS4_PT12_llPT13_lli, .Lfunc_end555-_ZN12_GLOBAL__N_135rocblas_gemm_batched_general_kernelI19rocblas_complex_numIdELi16ELi16ELi32ELi32ELi8ELi32ELi8ELi8ELi32ELc84ELc67EKS2_S3_S2_EEvlllT_PT11_llS6_llS4_PT12_llPT13_lli
                                        ; -- End function
	.set _ZN12_GLOBAL__N_135rocblas_gemm_batched_general_kernelI19rocblas_complex_numIdELi16ELi16ELi32ELi32ELi8ELi32ELi8ELi8ELi32ELc84ELc67EKS2_S3_S2_EEvlllT_PT11_llS6_llS4_PT12_llPT13_lli.num_vgpr, 127
	.set _ZN12_GLOBAL__N_135rocblas_gemm_batched_general_kernelI19rocblas_complex_numIdELi16ELi16ELi32ELi32ELi8ELi32ELi8ELi8ELi32ELc84ELc67EKS2_S3_S2_EEvlllT_PT11_llS6_llS4_PT12_llPT13_lli.num_agpr, 0
	.set _ZN12_GLOBAL__N_135rocblas_gemm_batched_general_kernelI19rocblas_complex_numIdELi16ELi16ELi32ELi32ELi8ELi32ELi8ELi8ELi32ELc84ELc67EKS2_S3_S2_EEvlllT_PT11_llS6_llS4_PT12_llPT13_lli.numbered_sgpr, 52
	.set _ZN12_GLOBAL__N_135rocblas_gemm_batched_general_kernelI19rocblas_complex_numIdELi16ELi16ELi32ELi32ELi8ELi32ELi8ELi8ELi32ELc84ELc67EKS2_S3_S2_EEvlllT_PT11_llS6_llS4_PT12_llPT13_lli.num_named_barrier, 0
	.set _ZN12_GLOBAL__N_135rocblas_gemm_batched_general_kernelI19rocblas_complex_numIdELi16ELi16ELi32ELi32ELi8ELi32ELi8ELi8ELi32ELc84ELc67EKS2_S3_S2_EEvlllT_PT11_llS6_llS4_PT12_llPT13_lli.private_seg_size, 0
	.set _ZN12_GLOBAL__N_135rocblas_gemm_batched_general_kernelI19rocblas_complex_numIdELi16ELi16ELi32ELi32ELi8ELi32ELi8ELi8ELi32ELc84ELc67EKS2_S3_S2_EEvlllT_PT11_llS6_llS4_PT12_llPT13_lli.uses_vcc, 1
	.set _ZN12_GLOBAL__N_135rocblas_gemm_batched_general_kernelI19rocblas_complex_numIdELi16ELi16ELi32ELi32ELi8ELi32ELi8ELi8ELi32ELc84ELc67EKS2_S3_S2_EEvlllT_PT11_llS6_llS4_PT12_llPT13_lli.uses_flat_scratch, 0
	.set _ZN12_GLOBAL__N_135rocblas_gemm_batched_general_kernelI19rocblas_complex_numIdELi16ELi16ELi32ELi32ELi8ELi32ELi8ELi8ELi32ELc84ELc67EKS2_S3_S2_EEvlllT_PT11_llS6_llS4_PT12_llPT13_lli.has_dyn_sized_stack, 0
	.set _ZN12_GLOBAL__N_135rocblas_gemm_batched_general_kernelI19rocblas_complex_numIdELi16ELi16ELi32ELi32ELi8ELi32ELi8ELi8ELi32ELc84ELc67EKS2_S3_S2_EEvlllT_PT11_llS6_llS4_PT12_llPT13_lli.has_recursion, 0
	.set _ZN12_GLOBAL__N_135rocblas_gemm_batched_general_kernelI19rocblas_complex_numIdELi16ELi16ELi32ELi32ELi8ELi32ELi8ELi8ELi32ELc84ELc67EKS2_S3_S2_EEvlllT_PT11_llS6_llS4_PT12_llPT13_lli.has_indirect_call, 0
	.section	.AMDGPU.csdata,"",@progbits
; Kernel info:
; codeLenInByte = 4060
; TotalNumSgprs: 54
; NumVgprs: 127
; ScratchSize: 0
; MemoryBound: 1
; FloatMode: 240
; IeeeMode: 1
; LDSByteSize: 8192 bytes/workgroup (compile time only)
; SGPRBlocks: 0
; VGPRBlocks: 15
; NumSGPRsForWavesPerEU: 54
; NumVGPRsForWavesPerEU: 127
; Occupancy: 8
; WaveLimiterHint : 0
; COMPUTE_PGM_RSRC2:SCRATCH_EN: 0
; COMPUTE_PGM_RSRC2:USER_SGPR: 6
; COMPUTE_PGM_RSRC2:TRAP_HANDLER: 0
; COMPUTE_PGM_RSRC2:TGID_X_EN: 1
; COMPUTE_PGM_RSRC2:TGID_Y_EN: 1
; COMPUTE_PGM_RSRC2:TGID_Z_EN: 1
; COMPUTE_PGM_RSRC2:TIDIG_COMP_CNT: 1
	.section	.AMDGPU.gpr_maximums,"",@progbits
	.set amdgpu.max_num_vgpr, 0
	.set amdgpu.max_num_agpr, 0
	.set amdgpu.max_num_sgpr, 0
	.section	.AMDGPU.csdata,"",@progbits
	.type	__hip_cuid_ecccb414184576a0,@object ; @__hip_cuid_ecccb414184576a0
	.section	.bss,"aw",@nobits
	.globl	__hip_cuid_ecccb414184576a0
__hip_cuid_ecccb414184576a0:
	.byte	0                               ; 0x0
	.size	__hip_cuid_ecccb414184576a0, 1

	.ident	"AMD clang version 22.0.0git (https://github.com/RadeonOpenCompute/llvm-project roc-7.2.4 26084 f58b06dce1f9c15707c5f808fd002e18c2accf7e)"
	.section	".note.GNU-stack","",@progbits
	.addrsig
	.addrsig_sym __hip_cuid_ecccb414184576a0
	.amdgpu_metadata
---
amdhsa.kernels:
  - .args:
      - .offset:         0
        .size:           4
        .value_kind:     by_value
      - .offset:         4
        .size:           4
        .value_kind:     by_value
      - .offset:         8
        .size:           8
        .value_kind:     by_value
      - .address_space:  global
        .offset:         16
        .size:           8
        .value_kind:     global_buffer
      - .offset:         24
        .size:           8
        .value_kind:     by_value
      - .offset:         32
        .size:           8
        .value_kind:     by_value
      - .offset:         40
        .size:           8
        .value_kind:     by_value
      - .address_space:  global
        .offset:         48
        .size:           8
        .value_kind:     global_buffer
      - .offset:         56
        .size:           8
        .value_kind:     by_value
      - .offset:         64
        .size:           8
        .value_kind:     by_value
      - .offset:         72
        .size:           8
        .value_kind:     by_value
      - .offset:         80
        .size:           4
        .value_kind:     by_value
    .group_segment_fixed_size: 0
    .kernarg_segment_align: 8
    .kernarg_segment_size: 84
    .language:       OpenCL C
    .language_version:
      - 2
      - 0
    .max_flat_workgroup_size: 1024
    .name:           _ZN12_GLOBAL__N_120gemm_ex_scale_kernelILi32ELi32EdPKPKdPKPdEEviiT1_T2_lllT3_llli
    .private_segment_fixed_size: 0
    .sgpr_count:     23
    .sgpr_spill_count: 0
    .symbol:         _ZN12_GLOBAL__N_120gemm_ex_scale_kernelILi32ELi32EdPKPKdPKPdEEviiT1_T2_lllT3_llli.kd
    .uniform_work_group_size: 1
    .uses_dynamic_stack: false
    .vgpr_count:     8
    .vgpr_spill_count: 0
    .wavefront_size: 32
    .workgroup_processor_mode: 1
  - .args:
      - .offset:         0
        .size:           8
        .value_kind:     by_value
      - .offset:         8
        .size:           8
        .value_kind:     by_value
      - .offset:         16
        .size:           8
        .value_kind:     by_value
      - .offset:         24
        .size:           8
        .value_kind:     by_value
      - .address_space:  global
        .offset:         32
        .size:           8
        .value_kind:     global_buffer
      - .offset:         40
        .size:           8
        .value_kind:     by_value
      - .offset:         48
        .size:           8
        .value_kind:     by_value
      - .address_space:  global
        .offset:         56
        .size:           8
        .value_kind:     global_buffer
      - .offset:         64
        .size:           8
        .value_kind:     by_value
      - .offset:         72
        .size:           8
        .value_kind:     by_value
      - .offset:         80
        .size:           8
        .value_kind:     by_value
      - .address_space:  global
        .offset:         88
        .size:           8
        .value_kind:     global_buffer
      - .offset:         96
        .size:           8
        .value_kind:     by_value
      - .offset:         104
        .size:           8
        .value_kind:     by_value
      - .address_space:  global
        .offset:         112
        .size:           8
        .value_kind:     global_buffer
      - .offset:         120
        .size:           8
        .value_kind:     by_value
      - .offset:         128
        .size:           8
        .value_kind:     by_value
      - .offset:         136
        .size:           4
        .value_kind:     by_value
    .group_segment_fixed_size: 4096
    .kernarg_segment_align: 8
    .kernarg_segment_size: 140
    .language:       OpenCL C
    .language_version:
      - 2
      - 0
    .max_flat_workgroup_size: 256
    .name:           _ZN12_GLOBAL__N_127rocblas_gemm_batched_kernelIdLi16ELi16ELi64ELi64ELi4ELi64ELi4ELi4ELi64ELc78ELc78EKPKdS3_KPdEEvlllT_PT11_llS8_llS6_PT12_llPT13_lli
    .private_segment_fixed_size: 0
    .sgpr_count:     54
    .sgpr_spill_count: 0
    .symbol:         _ZN12_GLOBAL__N_127rocblas_gemm_batched_kernelIdLi16ELi16ELi64ELi64ELi4ELi64ELi4ELi4ELi64ELc78ELc78EKPKdS3_KPdEEvlllT_PT11_llS8_llS6_PT12_llPT13_lli.kd
    .uniform_work_group_size: 1
    .uses_dynamic_stack: false
    .vgpr_count:     78
    .vgpr_spill_count: 0
    .wavefront_size: 32
    .workgroup_processor_mode: 1
  - .args:
      - .offset:         0
        .size:           8
        .value_kind:     by_value
      - .offset:         8
        .size:           8
        .value_kind:     by_value
      - .offset:         16
        .size:           8
        .value_kind:     by_value
      - .offset:         24
        .size:           8
        .value_kind:     by_value
      - .address_space:  global
        .offset:         32
        .size:           8
        .value_kind:     global_buffer
      - .offset:         40
        .size:           8
        .value_kind:     by_value
      - .offset:         48
        .size:           8
        .value_kind:     by_value
      - .address_space:  global
        .offset:         56
        .size:           8
        .value_kind:     global_buffer
      - .offset:         64
        .size:           8
        .value_kind:     by_value
      - .offset:         72
        .size:           8
        .value_kind:     by_value
      - .offset:         80
        .size:           8
        .value_kind:     by_value
      - .address_space:  global
        .offset:         88
        .size:           8
        .value_kind:     global_buffer
      - .offset:         96
        .size:           8
        .value_kind:     by_value
      - .offset:         104
        .size:           8
        .value_kind:     by_value
      - .address_space:  global
        .offset:         112
        .size:           8
        .value_kind:     global_buffer
      - .offset:         120
        .size:           8
        .value_kind:     by_value
      - .offset:         128
        .size:           8
        .value_kind:     by_value
      - .offset:         136
        .size:           4
        .value_kind:     by_value
    .group_segment_fixed_size: 4096
    .kernarg_segment_align: 8
    .kernarg_segment_size: 140
    .language:       OpenCL C
    .language_version:
      - 2
      - 0
    .max_flat_workgroup_size: 256
    .name:           _ZN12_GLOBAL__N_127rocblas_gemm_batched_kernelIdLi16ELi16ELi64ELi64ELi4ELi64ELi4ELi4ELi64ELc84ELc78EKPKdS3_KPdEEvlllT_PT11_llS8_llS6_PT12_llPT13_lli
    .private_segment_fixed_size: 0
    .sgpr_count:     54
    .sgpr_spill_count: 0
    .symbol:         _ZN12_GLOBAL__N_127rocblas_gemm_batched_kernelIdLi16ELi16ELi64ELi64ELi4ELi64ELi4ELi4ELi64ELc84ELc78EKPKdS3_KPdEEvlllT_PT11_llS8_llS6_PT12_llPT13_lli.kd
    .uniform_work_group_size: 1
    .uses_dynamic_stack: false
    .vgpr_count:     78
    .vgpr_spill_count: 0
    .wavefront_size: 32
    .workgroup_processor_mode: 1
  - .args:
      - .offset:         0
        .size:           8
        .value_kind:     by_value
      - .offset:         8
        .size:           8
        .value_kind:     by_value
      - .offset:         16
        .size:           8
        .value_kind:     by_value
      - .offset:         24
        .size:           8
        .value_kind:     by_value
      - .address_space:  global
        .offset:         32
        .size:           8
        .value_kind:     global_buffer
      - .offset:         40
        .size:           8
        .value_kind:     by_value
      - .offset:         48
        .size:           8
        .value_kind:     by_value
      - .address_space:  global
        .offset:         56
        .size:           8
        .value_kind:     global_buffer
      - .offset:         64
        .size:           8
        .value_kind:     by_value
      - .offset:         72
        .size:           8
        .value_kind:     by_value
      - .offset:         80
        .size:           8
        .value_kind:     by_value
      - .address_space:  global
        .offset:         88
        .size:           8
        .value_kind:     global_buffer
      - .offset:         96
        .size:           8
        .value_kind:     by_value
      - .offset:         104
        .size:           8
        .value_kind:     by_value
      - .address_space:  global
        .offset:         112
        .size:           8
        .value_kind:     global_buffer
      - .offset:         120
        .size:           8
        .value_kind:     by_value
      - .offset:         128
        .size:           8
        .value_kind:     by_value
      - .offset:         136
        .size:           4
        .value_kind:     by_value
    .group_segment_fixed_size: 4096
    .kernarg_segment_align: 8
    .kernarg_segment_size: 140
    .language:       OpenCL C
    .language_version:
      - 2
      - 0
    .max_flat_workgroup_size: 256
    .name:           _ZN12_GLOBAL__N_127rocblas_gemm_batched_kernelIdLi16ELi16ELi64ELi64ELi4ELi64ELi4ELi4ELi64ELc78ELc84EKPKdS3_KPdEEvlllT_PT11_llS8_llS6_PT12_llPT13_lli
    .private_segment_fixed_size: 0
    .sgpr_count:     54
    .sgpr_spill_count: 0
    .symbol:         _ZN12_GLOBAL__N_127rocblas_gemm_batched_kernelIdLi16ELi16ELi64ELi64ELi4ELi64ELi4ELi4ELi64ELc78ELc84EKPKdS3_KPdEEvlllT_PT11_llS8_llS6_PT12_llPT13_lli.kd
    .uniform_work_group_size: 1
    .uses_dynamic_stack: false
    .vgpr_count:     78
    .vgpr_spill_count: 0
    .wavefront_size: 32
    .workgroup_processor_mode: 1
  - .args:
      - .offset:         0
        .size:           8
        .value_kind:     by_value
      - .offset:         8
        .size:           8
        .value_kind:     by_value
      - .offset:         16
        .size:           8
        .value_kind:     by_value
      - .offset:         24
        .size:           8
        .value_kind:     by_value
      - .address_space:  global
        .offset:         32
        .size:           8
        .value_kind:     global_buffer
      - .offset:         40
        .size:           8
        .value_kind:     by_value
      - .offset:         48
        .size:           8
        .value_kind:     by_value
      - .address_space:  global
        .offset:         56
        .size:           8
        .value_kind:     global_buffer
      - .offset:         64
        .size:           8
        .value_kind:     by_value
      - .offset:         72
        .size:           8
        .value_kind:     by_value
      - .offset:         80
        .size:           8
        .value_kind:     by_value
      - .address_space:  global
        .offset:         88
        .size:           8
        .value_kind:     global_buffer
      - .offset:         96
        .size:           8
        .value_kind:     by_value
      - .offset:         104
        .size:           8
        .value_kind:     by_value
      - .address_space:  global
        .offset:         112
        .size:           8
        .value_kind:     global_buffer
      - .offset:         120
        .size:           8
        .value_kind:     by_value
      - .offset:         128
        .size:           8
        .value_kind:     by_value
      - .offset:         136
        .size:           4
        .value_kind:     by_value
    .group_segment_fixed_size: 4096
    .kernarg_segment_align: 8
    .kernarg_segment_size: 140
    .language:       OpenCL C
    .language_version:
      - 2
      - 0
    .max_flat_workgroup_size: 256
    .name:           _ZN12_GLOBAL__N_127rocblas_gemm_batched_kernelIdLi16ELi16ELi64ELi64ELi4ELi64ELi4ELi4ELi64ELc84ELc84EKPKdS3_KPdEEvlllT_PT11_llS8_llS6_PT12_llPT13_lli
    .private_segment_fixed_size: 0
    .sgpr_count:     54
    .sgpr_spill_count: 0
    .symbol:         _ZN12_GLOBAL__N_127rocblas_gemm_batched_kernelIdLi16ELi16ELi64ELi64ELi4ELi64ELi4ELi4ELi64ELc84ELc84EKPKdS3_KPdEEvlllT_PT11_llS8_llS6_PT12_llPT13_lli.kd
    .uniform_work_group_size: 1
    .uses_dynamic_stack: false
    .vgpr_count:     78
    .vgpr_spill_count: 0
    .wavefront_size: 32
    .workgroup_processor_mode: 1
  - .args:
      - .offset:         0
        .size:           8
        .value_kind:     by_value
      - .offset:         8
        .size:           8
        .value_kind:     by_value
      - .offset:         16
        .size:           8
        .value_kind:     by_value
      - .offset:         24
        .size:           8
        .value_kind:     by_value
      - .address_space:  global
        .offset:         32
        .size:           8
        .value_kind:     global_buffer
      - .offset:         40
        .size:           8
        .value_kind:     by_value
      - .offset:         48
        .size:           8
        .value_kind:     by_value
      - .address_space:  global
        .offset:         56
        .size:           8
        .value_kind:     global_buffer
      - .offset:         64
        .size:           8
        .value_kind:     by_value
      - .offset:         72
        .size:           8
        .value_kind:     by_value
      - .offset:         80
        .size:           8
        .value_kind:     by_value
      - .address_space:  global
        .offset:         88
        .size:           8
        .value_kind:     global_buffer
      - .offset:         96
        .size:           8
        .value_kind:     by_value
      - .offset:         104
        .size:           8
        .value_kind:     by_value
      - .address_space:  global
        .offset:         112
        .size:           8
        .value_kind:     global_buffer
      - .offset:         120
        .size:           8
        .value_kind:     by_value
      - .offset:         128
        .size:           8
        .value_kind:     by_value
      - .offset:         136
        .size:           4
        .value_kind:     by_value
    .group_segment_fixed_size: 4096
    .kernarg_segment_align: 8
    .kernarg_segment_size: 140
    .language:       OpenCL C
    .language_version:
      - 2
      - 0
    .max_flat_workgroup_size: 256
    .name:           _ZN12_GLOBAL__N_127rocblas_gemm_batched_kernelIdLi16ELi16ELi64ELi64ELi4ELi64ELi4ELi4ELi64ELc67ELc67EKPKdS3_KPdEEvlllT_PT11_llS8_llS6_PT12_llPT13_lli
    .private_segment_fixed_size: 0
    .sgpr_count:     54
    .sgpr_spill_count: 0
    .symbol:         _ZN12_GLOBAL__N_127rocblas_gemm_batched_kernelIdLi16ELi16ELi64ELi64ELi4ELi64ELi4ELi4ELi64ELc67ELc67EKPKdS3_KPdEEvlllT_PT11_llS8_llS6_PT12_llPT13_lli.kd
    .uniform_work_group_size: 1
    .uses_dynamic_stack: false
    .vgpr_count:     78
    .vgpr_spill_count: 0
    .wavefront_size: 32
    .workgroup_processor_mode: 1
  - .args:
      - .offset:         0
        .size:           8
        .value_kind:     by_value
      - .offset:         8
        .size:           8
        .value_kind:     by_value
      - .offset:         16
        .size:           8
        .value_kind:     by_value
      - .offset:         24
        .size:           8
        .value_kind:     by_value
      - .address_space:  global
        .offset:         32
        .size:           8
        .value_kind:     global_buffer
      - .offset:         40
        .size:           8
        .value_kind:     by_value
      - .offset:         48
        .size:           8
        .value_kind:     by_value
      - .address_space:  global
        .offset:         56
        .size:           8
        .value_kind:     global_buffer
      - .offset:         64
        .size:           8
        .value_kind:     by_value
      - .offset:         72
        .size:           8
        .value_kind:     by_value
      - .offset:         80
        .size:           8
        .value_kind:     by_value
      - .address_space:  global
        .offset:         88
        .size:           8
        .value_kind:     global_buffer
      - .offset:         96
        .size:           8
        .value_kind:     by_value
      - .offset:         104
        .size:           8
        .value_kind:     by_value
      - .address_space:  global
        .offset:         112
        .size:           8
        .value_kind:     global_buffer
      - .offset:         120
        .size:           8
        .value_kind:     by_value
      - .offset:         128
        .size:           8
        .value_kind:     by_value
      - .offset:         136
        .size:           4
        .value_kind:     by_value
    .group_segment_fixed_size: 4096
    .kernarg_segment_align: 8
    .kernarg_segment_size: 140
    .language:       OpenCL C
    .language_version:
      - 2
      - 0
    .max_flat_workgroup_size: 256
    .name:           _ZN12_GLOBAL__N_127rocblas_gemm_batched_kernelIdLi16ELi16ELi64ELi64ELi4ELi64ELi4ELi4ELi64ELc67ELc78EKPKdS3_KPdEEvlllT_PT11_llS8_llS6_PT12_llPT13_lli
    .private_segment_fixed_size: 0
    .sgpr_count:     54
    .sgpr_spill_count: 0
    .symbol:         _ZN12_GLOBAL__N_127rocblas_gemm_batched_kernelIdLi16ELi16ELi64ELi64ELi4ELi64ELi4ELi4ELi64ELc67ELc78EKPKdS3_KPdEEvlllT_PT11_llS8_llS6_PT12_llPT13_lli.kd
    .uniform_work_group_size: 1
    .uses_dynamic_stack: false
    .vgpr_count:     78
    .vgpr_spill_count: 0
    .wavefront_size: 32
    .workgroup_processor_mode: 1
  - .args:
      - .offset:         0
        .size:           8
        .value_kind:     by_value
      - .offset:         8
        .size:           8
        .value_kind:     by_value
      - .offset:         16
        .size:           8
        .value_kind:     by_value
      - .offset:         24
        .size:           8
        .value_kind:     by_value
      - .address_space:  global
        .offset:         32
        .size:           8
        .value_kind:     global_buffer
      - .offset:         40
        .size:           8
        .value_kind:     by_value
      - .offset:         48
        .size:           8
        .value_kind:     by_value
      - .address_space:  global
        .offset:         56
        .size:           8
        .value_kind:     global_buffer
      - .offset:         64
        .size:           8
        .value_kind:     by_value
      - .offset:         72
        .size:           8
        .value_kind:     by_value
      - .offset:         80
        .size:           8
        .value_kind:     by_value
      - .address_space:  global
        .offset:         88
        .size:           8
        .value_kind:     global_buffer
      - .offset:         96
        .size:           8
        .value_kind:     by_value
      - .offset:         104
        .size:           8
        .value_kind:     by_value
      - .address_space:  global
        .offset:         112
        .size:           8
        .value_kind:     global_buffer
      - .offset:         120
        .size:           8
        .value_kind:     by_value
      - .offset:         128
        .size:           8
        .value_kind:     by_value
      - .offset:         136
        .size:           4
        .value_kind:     by_value
    .group_segment_fixed_size: 4096
    .kernarg_segment_align: 8
    .kernarg_segment_size: 140
    .language:       OpenCL C
    .language_version:
      - 2
      - 0
    .max_flat_workgroup_size: 256
    .name:           _ZN12_GLOBAL__N_127rocblas_gemm_batched_kernelIdLi16ELi16ELi64ELi64ELi4ELi64ELi4ELi4ELi64ELc67ELc84EKPKdS3_KPdEEvlllT_PT11_llS8_llS6_PT12_llPT13_lli
    .private_segment_fixed_size: 0
    .sgpr_count:     54
    .sgpr_spill_count: 0
    .symbol:         _ZN12_GLOBAL__N_127rocblas_gemm_batched_kernelIdLi16ELi16ELi64ELi64ELi4ELi64ELi4ELi4ELi64ELc67ELc84EKPKdS3_KPdEEvlllT_PT11_llS8_llS6_PT12_llPT13_lli.kd
    .uniform_work_group_size: 1
    .uses_dynamic_stack: false
    .vgpr_count:     78
    .vgpr_spill_count: 0
    .wavefront_size: 32
    .workgroup_processor_mode: 1
  - .args:
      - .offset:         0
        .size:           8
        .value_kind:     by_value
      - .offset:         8
        .size:           8
        .value_kind:     by_value
      - .offset:         16
        .size:           8
        .value_kind:     by_value
      - .offset:         24
        .size:           8
        .value_kind:     by_value
      - .address_space:  global
        .offset:         32
        .size:           8
        .value_kind:     global_buffer
      - .offset:         40
        .size:           8
        .value_kind:     by_value
      - .offset:         48
        .size:           8
        .value_kind:     by_value
      - .address_space:  global
        .offset:         56
        .size:           8
        .value_kind:     global_buffer
      - .offset:         64
        .size:           8
        .value_kind:     by_value
      - .offset:         72
        .size:           8
        .value_kind:     by_value
      - .offset:         80
        .size:           8
        .value_kind:     by_value
      - .address_space:  global
        .offset:         88
        .size:           8
        .value_kind:     global_buffer
      - .offset:         96
        .size:           8
        .value_kind:     by_value
      - .offset:         104
        .size:           8
        .value_kind:     by_value
      - .address_space:  global
        .offset:         112
        .size:           8
        .value_kind:     global_buffer
      - .offset:         120
        .size:           8
        .value_kind:     by_value
      - .offset:         128
        .size:           8
        .value_kind:     by_value
      - .offset:         136
        .size:           4
        .value_kind:     by_value
    .group_segment_fixed_size: 4096
    .kernarg_segment_align: 8
    .kernarg_segment_size: 140
    .language:       OpenCL C
    .language_version:
      - 2
      - 0
    .max_flat_workgroup_size: 256
    .name:           _ZN12_GLOBAL__N_127rocblas_gemm_batched_kernelIdLi16ELi16ELi64ELi64ELi4ELi64ELi4ELi4ELi64ELc78ELc67EKPKdS3_KPdEEvlllT_PT11_llS8_llS6_PT12_llPT13_lli
    .private_segment_fixed_size: 0
    .sgpr_count:     54
    .sgpr_spill_count: 0
    .symbol:         _ZN12_GLOBAL__N_127rocblas_gemm_batched_kernelIdLi16ELi16ELi64ELi64ELi4ELi64ELi4ELi4ELi64ELc78ELc67EKPKdS3_KPdEEvlllT_PT11_llS8_llS6_PT12_llPT13_lli.kd
    .uniform_work_group_size: 1
    .uses_dynamic_stack: false
    .vgpr_count:     78
    .vgpr_spill_count: 0
    .wavefront_size: 32
    .workgroup_processor_mode: 1
  - .args:
      - .offset:         0
        .size:           8
        .value_kind:     by_value
      - .offset:         8
        .size:           8
        .value_kind:     by_value
      - .offset:         16
        .size:           8
        .value_kind:     by_value
      - .offset:         24
        .size:           8
        .value_kind:     by_value
      - .address_space:  global
        .offset:         32
        .size:           8
        .value_kind:     global_buffer
      - .offset:         40
        .size:           8
        .value_kind:     by_value
      - .offset:         48
        .size:           8
        .value_kind:     by_value
      - .address_space:  global
        .offset:         56
        .size:           8
        .value_kind:     global_buffer
      - .offset:         64
        .size:           8
        .value_kind:     by_value
      - .offset:         72
        .size:           8
        .value_kind:     by_value
      - .offset:         80
        .size:           8
        .value_kind:     by_value
      - .address_space:  global
        .offset:         88
        .size:           8
        .value_kind:     global_buffer
      - .offset:         96
        .size:           8
        .value_kind:     by_value
      - .offset:         104
        .size:           8
        .value_kind:     by_value
      - .address_space:  global
        .offset:         112
        .size:           8
        .value_kind:     global_buffer
      - .offset:         120
        .size:           8
        .value_kind:     by_value
      - .offset:         128
        .size:           8
        .value_kind:     by_value
      - .offset:         136
        .size:           4
        .value_kind:     by_value
    .group_segment_fixed_size: 4096
    .kernarg_segment_align: 8
    .kernarg_segment_size: 140
    .language:       OpenCL C
    .language_version:
      - 2
      - 0
    .max_flat_workgroup_size: 256
    .name:           _ZN12_GLOBAL__N_127rocblas_gemm_batched_kernelIdLi16ELi16ELi64ELi64ELi4ELi64ELi4ELi4ELi64ELc84ELc67EKPKdS3_KPdEEvlllT_PT11_llS8_llS6_PT12_llPT13_lli
    .private_segment_fixed_size: 0
    .sgpr_count:     54
    .sgpr_spill_count: 0
    .symbol:         _ZN12_GLOBAL__N_127rocblas_gemm_batched_kernelIdLi16ELi16ELi64ELi64ELi4ELi64ELi4ELi4ELi64ELc84ELc67EKPKdS3_KPdEEvlllT_PT11_llS8_llS6_PT12_llPT13_lli.kd
    .uniform_work_group_size: 1
    .uses_dynamic_stack: false
    .vgpr_count:     78
    .vgpr_spill_count: 0
    .wavefront_size: 32
    .workgroup_processor_mode: 1
  - .args:
      - .offset:         0
        .size:           8
        .value_kind:     by_value
      - .offset:         8
        .size:           8
        .value_kind:     by_value
      - .offset:         16
        .size:           8
        .value_kind:     by_value
      - .offset:         24
        .size:           8
        .value_kind:     by_value
      - .address_space:  global
        .offset:         32
        .size:           8
        .value_kind:     global_buffer
      - .offset:         40
        .size:           8
        .value_kind:     by_value
      - .offset:         48
        .size:           8
        .value_kind:     by_value
      - .address_space:  global
        .offset:         56
        .size:           8
        .value_kind:     global_buffer
      - .offset:         64
        .size:           8
        .value_kind:     by_value
      - .offset:         72
        .size:           8
        .value_kind:     by_value
      - .offset:         80
        .size:           8
        .value_kind:     by_value
      - .address_space:  global
        .offset:         88
        .size:           8
        .value_kind:     global_buffer
      - .offset:         96
        .size:           8
        .value_kind:     by_value
      - .offset:         104
        .size:           8
        .value_kind:     by_value
      - .address_space:  global
        .offset:         112
        .size:           8
        .value_kind:     global_buffer
      - .offset:         120
        .size:           8
        .value_kind:     by_value
      - .offset:         128
        .size:           8
        .value_kind:     by_value
      - .offset:         136
        .size:           4
        .value_kind:     by_value
    .group_segment_fixed_size: 4096
    .kernarg_segment_align: 8
    .kernarg_segment_size: 140
    .language:       OpenCL C
    .language_version:
      - 2
      - 0
    .max_flat_workgroup_size: 256
    .name:           _ZN12_GLOBAL__N_127rocblas_gemm_batched_kernelIdLi16ELi16ELi32ELi32ELi8ELi32ELi8ELi8ELi32ELc78ELc78EKPKdS3_KPdEEvlllT_PT11_llS8_llS6_PT12_llPT13_lli
    .private_segment_fixed_size: 0
    .sgpr_count:     54
    .sgpr_spill_count: 0
    .symbol:         _ZN12_GLOBAL__N_127rocblas_gemm_batched_kernelIdLi16ELi16ELi32ELi32ELi8ELi32ELi8ELi8ELi32ELc78ELc78EKPKdS3_KPdEEvlllT_PT11_llS8_llS6_PT12_llPT13_lli.kd
    .uniform_work_group_size: 1
    .uses_dynamic_stack: false
    .vgpr_count:     38
    .vgpr_spill_count: 0
    .wavefront_size: 32
    .workgroup_processor_mode: 1
  - .args:
      - .offset:         0
        .size:           8
        .value_kind:     by_value
      - .offset:         8
        .size:           8
        .value_kind:     by_value
      - .offset:         16
        .size:           8
        .value_kind:     by_value
      - .offset:         24
        .size:           8
        .value_kind:     by_value
      - .address_space:  global
        .offset:         32
        .size:           8
        .value_kind:     global_buffer
      - .offset:         40
        .size:           8
        .value_kind:     by_value
      - .offset:         48
        .size:           8
        .value_kind:     by_value
      - .address_space:  global
        .offset:         56
        .size:           8
        .value_kind:     global_buffer
      - .offset:         64
        .size:           8
        .value_kind:     by_value
      - .offset:         72
        .size:           8
        .value_kind:     by_value
      - .offset:         80
        .size:           8
        .value_kind:     by_value
      - .address_space:  global
        .offset:         88
        .size:           8
        .value_kind:     global_buffer
      - .offset:         96
        .size:           8
        .value_kind:     by_value
      - .offset:         104
        .size:           8
        .value_kind:     by_value
      - .address_space:  global
        .offset:         112
        .size:           8
        .value_kind:     global_buffer
      - .offset:         120
        .size:           8
        .value_kind:     by_value
      - .offset:         128
        .size:           8
        .value_kind:     by_value
      - .offset:         136
        .size:           4
        .value_kind:     by_value
    .group_segment_fixed_size: 4096
    .kernarg_segment_align: 8
    .kernarg_segment_size: 140
    .language:       OpenCL C
    .language_version:
      - 2
      - 0
    .max_flat_workgroup_size: 256
    .name:           _ZN12_GLOBAL__N_127rocblas_gemm_batched_kernelIdLi16ELi16ELi32ELi32ELi8ELi32ELi8ELi8ELi32ELc84ELc78EKPKdS3_KPdEEvlllT_PT11_llS8_llS6_PT12_llPT13_lli
    .private_segment_fixed_size: 0
    .sgpr_count:     54
    .sgpr_spill_count: 0
    .symbol:         _ZN12_GLOBAL__N_127rocblas_gemm_batched_kernelIdLi16ELi16ELi32ELi32ELi8ELi32ELi8ELi8ELi32ELc84ELc78EKPKdS3_KPdEEvlllT_PT11_llS8_llS6_PT12_llPT13_lli.kd
    .uniform_work_group_size: 1
    .uses_dynamic_stack: false
    .vgpr_count:     38
    .vgpr_spill_count: 0
    .wavefront_size: 32
    .workgroup_processor_mode: 1
  - .args:
      - .offset:         0
        .size:           8
        .value_kind:     by_value
      - .offset:         8
        .size:           8
        .value_kind:     by_value
      - .offset:         16
        .size:           8
        .value_kind:     by_value
      - .offset:         24
        .size:           8
        .value_kind:     by_value
      - .address_space:  global
        .offset:         32
        .size:           8
        .value_kind:     global_buffer
      - .offset:         40
        .size:           8
        .value_kind:     by_value
      - .offset:         48
        .size:           8
        .value_kind:     by_value
      - .address_space:  global
        .offset:         56
        .size:           8
        .value_kind:     global_buffer
      - .offset:         64
        .size:           8
        .value_kind:     by_value
      - .offset:         72
        .size:           8
        .value_kind:     by_value
      - .offset:         80
        .size:           8
        .value_kind:     by_value
      - .address_space:  global
        .offset:         88
        .size:           8
        .value_kind:     global_buffer
      - .offset:         96
        .size:           8
        .value_kind:     by_value
      - .offset:         104
        .size:           8
        .value_kind:     by_value
      - .address_space:  global
        .offset:         112
        .size:           8
        .value_kind:     global_buffer
      - .offset:         120
        .size:           8
        .value_kind:     by_value
      - .offset:         128
        .size:           8
        .value_kind:     by_value
      - .offset:         136
        .size:           4
        .value_kind:     by_value
    .group_segment_fixed_size: 4096
    .kernarg_segment_align: 8
    .kernarg_segment_size: 140
    .language:       OpenCL C
    .language_version:
      - 2
      - 0
    .max_flat_workgroup_size: 256
    .name:           _ZN12_GLOBAL__N_127rocblas_gemm_batched_kernelIdLi16ELi16ELi32ELi32ELi8ELi32ELi8ELi8ELi32ELc78ELc84EKPKdS3_KPdEEvlllT_PT11_llS8_llS6_PT12_llPT13_lli
    .private_segment_fixed_size: 0
    .sgpr_count:     54
    .sgpr_spill_count: 0
    .symbol:         _ZN12_GLOBAL__N_127rocblas_gemm_batched_kernelIdLi16ELi16ELi32ELi32ELi8ELi32ELi8ELi8ELi32ELc78ELc84EKPKdS3_KPdEEvlllT_PT11_llS8_llS6_PT12_llPT13_lli.kd
    .uniform_work_group_size: 1
    .uses_dynamic_stack: false
    .vgpr_count:     38
    .vgpr_spill_count: 0
    .wavefront_size: 32
    .workgroup_processor_mode: 1
  - .args:
      - .offset:         0
        .size:           8
        .value_kind:     by_value
      - .offset:         8
        .size:           8
        .value_kind:     by_value
      - .offset:         16
        .size:           8
        .value_kind:     by_value
      - .offset:         24
        .size:           8
        .value_kind:     by_value
      - .address_space:  global
        .offset:         32
        .size:           8
        .value_kind:     global_buffer
      - .offset:         40
        .size:           8
        .value_kind:     by_value
      - .offset:         48
        .size:           8
        .value_kind:     by_value
      - .address_space:  global
        .offset:         56
        .size:           8
        .value_kind:     global_buffer
      - .offset:         64
        .size:           8
        .value_kind:     by_value
      - .offset:         72
        .size:           8
        .value_kind:     by_value
      - .offset:         80
        .size:           8
        .value_kind:     by_value
      - .address_space:  global
        .offset:         88
        .size:           8
        .value_kind:     global_buffer
      - .offset:         96
        .size:           8
        .value_kind:     by_value
      - .offset:         104
        .size:           8
        .value_kind:     by_value
      - .address_space:  global
        .offset:         112
        .size:           8
        .value_kind:     global_buffer
      - .offset:         120
        .size:           8
        .value_kind:     by_value
      - .offset:         128
        .size:           8
        .value_kind:     by_value
      - .offset:         136
        .size:           4
        .value_kind:     by_value
    .group_segment_fixed_size: 4096
    .kernarg_segment_align: 8
    .kernarg_segment_size: 140
    .language:       OpenCL C
    .language_version:
      - 2
      - 0
    .max_flat_workgroup_size: 256
    .name:           _ZN12_GLOBAL__N_127rocblas_gemm_batched_kernelIdLi16ELi16ELi32ELi32ELi8ELi32ELi8ELi8ELi32ELc84ELc84EKPKdS3_KPdEEvlllT_PT11_llS8_llS6_PT12_llPT13_lli
    .private_segment_fixed_size: 0
    .sgpr_count:     54
    .sgpr_spill_count: 0
    .symbol:         _ZN12_GLOBAL__N_127rocblas_gemm_batched_kernelIdLi16ELi16ELi32ELi32ELi8ELi32ELi8ELi8ELi32ELc84ELc84EKPKdS3_KPdEEvlllT_PT11_llS8_llS6_PT12_llPT13_lli.kd
    .uniform_work_group_size: 1
    .uses_dynamic_stack: false
    .vgpr_count:     38
    .vgpr_spill_count: 0
    .wavefront_size: 32
    .workgroup_processor_mode: 1
  - .args:
      - .offset:         0
        .size:           8
        .value_kind:     by_value
      - .offset:         8
        .size:           8
        .value_kind:     by_value
      - .offset:         16
        .size:           8
        .value_kind:     by_value
      - .offset:         24
        .size:           8
        .value_kind:     by_value
      - .address_space:  global
        .offset:         32
        .size:           8
        .value_kind:     global_buffer
      - .offset:         40
        .size:           8
        .value_kind:     by_value
      - .offset:         48
        .size:           8
        .value_kind:     by_value
      - .address_space:  global
        .offset:         56
        .size:           8
        .value_kind:     global_buffer
      - .offset:         64
        .size:           8
        .value_kind:     by_value
      - .offset:         72
        .size:           8
        .value_kind:     by_value
      - .offset:         80
        .size:           8
        .value_kind:     by_value
      - .address_space:  global
        .offset:         88
        .size:           8
        .value_kind:     global_buffer
      - .offset:         96
        .size:           8
        .value_kind:     by_value
      - .offset:         104
        .size:           8
        .value_kind:     by_value
      - .address_space:  global
        .offset:         112
        .size:           8
        .value_kind:     global_buffer
      - .offset:         120
        .size:           8
        .value_kind:     by_value
      - .offset:         128
        .size:           8
        .value_kind:     by_value
      - .offset:         136
        .size:           4
        .value_kind:     by_value
    .group_segment_fixed_size: 4096
    .kernarg_segment_align: 8
    .kernarg_segment_size: 140
    .language:       OpenCL C
    .language_version:
      - 2
      - 0
    .max_flat_workgroup_size: 256
    .name:           _ZN12_GLOBAL__N_127rocblas_gemm_batched_kernelIdLi16ELi16ELi32ELi32ELi8ELi32ELi8ELi8ELi32ELc67ELc67EKPKdS3_KPdEEvlllT_PT11_llS8_llS6_PT12_llPT13_lli
    .private_segment_fixed_size: 0
    .sgpr_count:     54
    .sgpr_spill_count: 0
    .symbol:         _ZN12_GLOBAL__N_127rocblas_gemm_batched_kernelIdLi16ELi16ELi32ELi32ELi8ELi32ELi8ELi8ELi32ELc67ELc67EKPKdS3_KPdEEvlllT_PT11_llS8_llS6_PT12_llPT13_lli.kd
    .uniform_work_group_size: 1
    .uses_dynamic_stack: false
    .vgpr_count:     38
    .vgpr_spill_count: 0
    .wavefront_size: 32
    .workgroup_processor_mode: 1
  - .args:
      - .offset:         0
        .size:           8
        .value_kind:     by_value
      - .offset:         8
        .size:           8
        .value_kind:     by_value
      - .offset:         16
        .size:           8
        .value_kind:     by_value
      - .offset:         24
        .size:           8
        .value_kind:     by_value
      - .address_space:  global
        .offset:         32
        .size:           8
        .value_kind:     global_buffer
      - .offset:         40
        .size:           8
        .value_kind:     by_value
      - .offset:         48
        .size:           8
        .value_kind:     by_value
      - .address_space:  global
        .offset:         56
        .size:           8
        .value_kind:     global_buffer
      - .offset:         64
        .size:           8
        .value_kind:     by_value
      - .offset:         72
        .size:           8
        .value_kind:     by_value
      - .offset:         80
        .size:           8
        .value_kind:     by_value
      - .address_space:  global
        .offset:         88
        .size:           8
        .value_kind:     global_buffer
      - .offset:         96
        .size:           8
        .value_kind:     by_value
      - .offset:         104
        .size:           8
        .value_kind:     by_value
      - .address_space:  global
        .offset:         112
        .size:           8
        .value_kind:     global_buffer
      - .offset:         120
        .size:           8
        .value_kind:     by_value
      - .offset:         128
        .size:           8
        .value_kind:     by_value
      - .offset:         136
        .size:           4
        .value_kind:     by_value
    .group_segment_fixed_size: 4096
    .kernarg_segment_align: 8
    .kernarg_segment_size: 140
    .language:       OpenCL C
    .language_version:
      - 2
      - 0
    .max_flat_workgroup_size: 256
    .name:           _ZN12_GLOBAL__N_127rocblas_gemm_batched_kernelIdLi16ELi16ELi32ELi32ELi8ELi32ELi8ELi8ELi32ELc67ELc78EKPKdS3_KPdEEvlllT_PT11_llS8_llS6_PT12_llPT13_lli
    .private_segment_fixed_size: 0
    .sgpr_count:     54
    .sgpr_spill_count: 0
    .symbol:         _ZN12_GLOBAL__N_127rocblas_gemm_batched_kernelIdLi16ELi16ELi32ELi32ELi8ELi32ELi8ELi8ELi32ELc67ELc78EKPKdS3_KPdEEvlllT_PT11_llS8_llS6_PT12_llPT13_lli.kd
    .uniform_work_group_size: 1
    .uses_dynamic_stack: false
    .vgpr_count:     38
    .vgpr_spill_count: 0
    .wavefront_size: 32
    .workgroup_processor_mode: 1
  - .args:
      - .offset:         0
        .size:           8
        .value_kind:     by_value
      - .offset:         8
        .size:           8
        .value_kind:     by_value
      - .offset:         16
        .size:           8
        .value_kind:     by_value
      - .offset:         24
        .size:           8
        .value_kind:     by_value
      - .address_space:  global
        .offset:         32
        .size:           8
        .value_kind:     global_buffer
      - .offset:         40
        .size:           8
        .value_kind:     by_value
      - .offset:         48
        .size:           8
        .value_kind:     by_value
      - .address_space:  global
        .offset:         56
        .size:           8
        .value_kind:     global_buffer
      - .offset:         64
        .size:           8
        .value_kind:     by_value
      - .offset:         72
        .size:           8
        .value_kind:     by_value
      - .offset:         80
        .size:           8
        .value_kind:     by_value
      - .address_space:  global
        .offset:         88
        .size:           8
        .value_kind:     global_buffer
      - .offset:         96
        .size:           8
        .value_kind:     by_value
      - .offset:         104
        .size:           8
        .value_kind:     by_value
      - .address_space:  global
        .offset:         112
        .size:           8
        .value_kind:     global_buffer
      - .offset:         120
        .size:           8
        .value_kind:     by_value
      - .offset:         128
        .size:           8
        .value_kind:     by_value
      - .offset:         136
        .size:           4
        .value_kind:     by_value
    .group_segment_fixed_size: 4096
    .kernarg_segment_align: 8
    .kernarg_segment_size: 140
    .language:       OpenCL C
    .language_version:
      - 2
      - 0
    .max_flat_workgroup_size: 256
    .name:           _ZN12_GLOBAL__N_127rocblas_gemm_batched_kernelIdLi16ELi16ELi32ELi32ELi8ELi32ELi8ELi8ELi32ELc67ELc84EKPKdS3_KPdEEvlllT_PT11_llS8_llS6_PT12_llPT13_lli
    .private_segment_fixed_size: 0
    .sgpr_count:     54
    .sgpr_spill_count: 0
    .symbol:         _ZN12_GLOBAL__N_127rocblas_gemm_batched_kernelIdLi16ELi16ELi32ELi32ELi8ELi32ELi8ELi8ELi32ELc67ELc84EKPKdS3_KPdEEvlllT_PT11_llS8_llS6_PT12_llPT13_lli.kd
    .uniform_work_group_size: 1
    .uses_dynamic_stack: false
    .vgpr_count:     38
    .vgpr_spill_count: 0
    .wavefront_size: 32
    .workgroup_processor_mode: 1
  - .args:
      - .offset:         0
        .size:           8
        .value_kind:     by_value
      - .offset:         8
        .size:           8
        .value_kind:     by_value
      - .offset:         16
        .size:           8
        .value_kind:     by_value
      - .offset:         24
        .size:           8
        .value_kind:     by_value
      - .address_space:  global
        .offset:         32
        .size:           8
        .value_kind:     global_buffer
      - .offset:         40
        .size:           8
        .value_kind:     by_value
      - .offset:         48
        .size:           8
        .value_kind:     by_value
      - .address_space:  global
        .offset:         56
        .size:           8
        .value_kind:     global_buffer
      - .offset:         64
        .size:           8
        .value_kind:     by_value
      - .offset:         72
        .size:           8
        .value_kind:     by_value
      - .offset:         80
        .size:           8
        .value_kind:     by_value
      - .address_space:  global
        .offset:         88
        .size:           8
        .value_kind:     global_buffer
      - .offset:         96
        .size:           8
        .value_kind:     by_value
      - .offset:         104
        .size:           8
        .value_kind:     by_value
      - .address_space:  global
        .offset:         112
        .size:           8
        .value_kind:     global_buffer
      - .offset:         120
        .size:           8
        .value_kind:     by_value
      - .offset:         128
        .size:           8
        .value_kind:     by_value
      - .offset:         136
        .size:           4
        .value_kind:     by_value
    .group_segment_fixed_size: 4096
    .kernarg_segment_align: 8
    .kernarg_segment_size: 140
    .language:       OpenCL C
    .language_version:
      - 2
      - 0
    .max_flat_workgroup_size: 256
    .name:           _ZN12_GLOBAL__N_127rocblas_gemm_batched_kernelIdLi16ELi16ELi32ELi32ELi8ELi32ELi8ELi8ELi32ELc78ELc67EKPKdS3_KPdEEvlllT_PT11_llS8_llS6_PT12_llPT13_lli
    .private_segment_fixed_size: 0
    .sgpr_count:     54
    .sgpr_spill_count: 0
    .symbol:         _ZN12_GLOBAL__N_127rocblas_gemm_batched_kernelIdLi16ELi16ELi32ELi32ELi8ELi32ELi8ELi8ELi32ELc78ELc67EKPKdS3_KPdEEvlllT_PT11_llS8_llS6_PT12_llPT13_lli.kd
    .uniform_work_group_size: 1
    .uses_dynamic_stack: false
    .vgpr_count:     38
    .vgpr_spill_count: 0
    .wavefront_size: 32
    .workgroup_processor_mode: 1
  - .args:
      - .offset:         0
        .size:           8
        .value_kind:     by_value
      - .offset:         8
        .size:           8
        .value_kind:     by_value
      - .offset:         16
        .size:           8
        .value_kind:     by_value
      - .offset:         24
        .size:           8
        .value_kind:     by_value
      - .address_space:  global
        .offset:         32
        .size:           8
        .value_kind:     global_buffer
      - .offset:         40
        .size:           8
        .value_kind:     by_value
      - .offset:         48
        .size:           8
        .value_kind:     by_value
      - .address_space:  global
        .offset:         56
        .size:           8
        .value_kind:     global_buffer
      - .offset:         64
        .size:           8
        .value_kind:     by_value
      - .offset:         72
        .size:           8
        .value_kind:     by_value
      - .offset:         80
        .size:           8
        .value_kind:     by_value
      - .address_space:  global
        .offset:         88
        .size:           8
        .value_kind:     global_buffer
      - .offset:         96
        .size:           8
        .value_kind:     by_value
      - .offset:         104
        .size:           8
        .value_kind:     by_value
      - .address_space:  global
        .offset:         112
        .size:           8
        .value_kind:     global_buffer
      - .offset:         120
        .size:           8
        .value_kind:     by_value
      - .offset:         128
        .size:           8
        .value_kind:     by_value
      - .offset:         136
        .size:           4
        .value_kind:     by_value
    .group_segment_fixed_size: 4096
    .kernarg_segment_align: 8
    .kernarg_segment_size: 140
    .language:       OpenCL C
    .language_version:
      - 2
      - 0
    .max_flat_workgroup_size: 256
    .name:           _ZN12_GLOBAL__N_127rocblas_gemm_batched_kernelIdLi16ELi16ELi32ELi32ELi8ELi32ELi8ELi8ELi32ELc84ELc67EKPKdS3_KPdEEvlllT_PT11_llS8_llS6_PT12_llPT13_lli
    .private_segment_fixed_size: 0
    .sgpr_count:     54
    .sgpr_spill_count: 0
    .symbol:         _ZN12_GLOBAL__N_127rocblas_gemm_batched_kernelIdLi16ELi16ELi32ELi32ELi8ELi32ELi8ELi8ELi32ELc84ELc67EKPKdS3_KPdEEvlllT_PT11_llS8_llS6_PT12_llPT13_lli.kd
    .uniform_work_group_size: 1
    .uses_dynamic_stack: false
    .vgpr_count:     38
    .vgpr_spill_count: 0
    .wavefront_size: 32
    .workgroup_processor_mode: 1
  - .args:
      - .offset:         0
        .size:           8
        .value_kind:     by_value
      - .offset:         8
        .size:           8
        .value_kind:     by_value
      - .offset:         16
        .size:           8
        .value_kind:     by_value
      - .offset:         24
        .size:           8
        .value_kind:     by_value
      - .address_space:  global
        .offset:         32
        .size:           8
        .value_kind:     global_buffer
      - .offset:         40
        .size:           8
        .value_kind:     by_value
      - .offset:         48
        .size:           8
        .value_kind:     by_value
      - .address_space:  global
        .offset:         56
        .size:           8
        .value_kind:     global_buffer
      - .offset:         64
        .size:           8
        .value_kind:     by_value
      - .offset:         72
        .size:           8
        .value_kind:     by_value
      - .offset:         80
        .size:           8
        .value_kind:     by_value
      - .address_space:  global
        .offset:         88
        .size:           8
        .value_kind:     global_buffer
      - .offset:         96
        .size:           8
        .value_kind:     by_value
      - .offset:         104
        .size:           8
        .value_kind:     by_value
      - .address_space:  global
        .offset:         112
        .size:           8
        .value_kind:     global_buffer
      - .offset:         120
        .size:           8
        .value_kind:     by_value
      - .offset:         128
        .size:           8
        .value_kind:     by_value
      - .offset:         136
        .size:           4
        .value_kind:     by_value
    .group_segment_fixed_size: 4096
    .kernarg_segment_align: 8
    .kernarg_segment_size: 140
    .language:       OpenCL C
    .language_version:
      - 2
      - 0
    .max_flat_workgroup_size: 256
    .name:           _ZN12_GLOBAL__N_135rocblas_gemm_batched_general_kernelIdLi16ELi16ELi32ELi32ELi8ELi32ELi8ELi8ELi32ELc78ELc78EKPKdS3_KPdEEvlllT_PT11_llS8_llS6_PT12_llPT13_lli
    .private_segment_fixed_size: 0
    .sgpr_count:     54
    .sgpr_spill_count: 0
    .symbol:         _ZN12_GLOBAL__N_135rocblas_gemm_batched_general_kernelIdLi16ELi16ELi32ELi32ELi8ELi32ELi8ELi8ELi32ELc78ELc78EKPKdS3_KPdEEvlllT_PT11_llS8_llS6_PT12_llPT13_lli.kd
    .uniform_work_group_size: 1
    .uses_dynamic_stack: false
    .vgpr_count:     44
    .vgpr_spill_count: 0
    .wavefront_size: 32
    .workgroup_processor_mode: 1
  - .args:
      - .offset:         0
        .size:           8
        .value_kind:     by_value
      - .offset:         8
        .size:           8
        .value_kind:     by_value
      - .offset:         16
        .size:           8
        .value_kind:     by_value
      - .offset:         24
        .size:           8
        .value_kind:     by_value
      - .address_space:  global
        .offset:         32
        .size:           8
        .value_kind:     global_buffer
      - .offset:         40
        .size:           8
        .value_kind:     by_value
      - .offset:         48
        .size:           8
        .value_kind:     by_value
      - .address_space:  global
        .offset:         56
        .size:           8
        .value_kind:     global_buffer
      - .offset:         64
        .size:           8
        .value_kind:     by_value
      - .offset:         72
        .size:           8
        .value_kind:     by_value
      - .offset:         80
        .size:           8
        .value_kind:     by_value
      - .address_space:  global
        .offset:         88
        .size:           8
        .value_kind:     global_buffer
      - .offset:         96
        .size:           8
        .value_kind:     by_value
      - .offset:         104
        .size:           8
        .value_kind:     by_value
      - .address_space:  global
        .offset:         112
        .size:           8
        .value_kind:     global_buffer
      - .offset:         120
        .size:           8
        .value_kind:     by_value
      - .offset:         128
        .size:           8
        .value_kind:     by_value
      - .offset:         136
        .size:           4
        .value_kind:     by_value
    .group_segment_fixed_size: 4096
    .kernarg_segment_align: 8
    .kernarg_segment_size: 140
    .language:       OpenCL C
    .language_version:
      - 2
      - 0
    .max_flat_workgroup_size: 256
    .name:           _ZN12_GLOBAL__N_135rocblas_gemm_batched_general_kernelIdLi16ELi16ELi32ELi32ELi8ELi32ELi8ELi8ELi32ELc84ELc78EKPKdS3_KPdEEvlllT_PT11_llS8_llS6_PT12_llPT13_lli
    .private_segment_fixed_size: 0
    .sgpr_count:     54
    .sgpr_spill_count: 0
    .symbol:         _ZN12_GLOBAL__N_135rocblas_gemm_batched_general_kernelIdLi16ELi16ELi32ELi32ELi8ELi32ELi8ELi8ELi32ELc84ELc78EKPKdS3_KPdEEvlllT_PT11_llS8_llS6_PT12_llPT13_lli.kd
    .uniform_work_group_size: 1
    .uses_dynamic_stack: false
    .vgpr_count:     44
    .vgpr_spill_count: 0
    .wavefront_size: 32
    .workgroup_processor_mode: 1
  - .args:
      - .offset:         0
        .size:           8
        .value_kind:     by_value
      - .offset:         8
        .size:           8
        .value_kind:     by_value
      - .offset:         16
        .size:           8
        .value_kind:     by_value
      - .offset:         24
        .size:           8
        .value_kind:     by_value
      - .address_space:  global
        .offset:         32
        .size:           8
        .value_kind:     global_buffer
      - .offset:         40
        .size:           8
        .value_kind:     by_value
      - .offset:         48
        .size:           8
        .value_kind:     by_value
      - .address_space:  global
        .offset:         56
        .size:           8
        .value_kind:     global_buffer
      - .offset:         64
        .size:           8
        .value_kind:     by_value
      - .offset:         72
        .size:           8
        .value_kind:     by_value
      - .offset:         80
        .size:           8
        .value_kind:     by_value
      - .address_space:  global
        .offset:         88
        .size:           8
        .value_kind:     global_buffer
      - .offset:         96
        .size:           8
        .value_kind:     by_value
      - .offset:         104
        .size:           8
        .value_kind:     by_value
      - .address_space:  global
        .offset:         112
        .size:           8
        .value_kind:     global_buffer
      - .offset:         120
        .size:           8
        .value_kind:     by_value
      - .offset:         128
        .size:           8
        .value_kind:     by_value
      - .offset:         136
        .size:           4
        .value_kind:     by_value
    .group_segment_fixed_size: 4096
    .kernarg_segment_align: 8
    .kernarg_segment_size: 140
    .language:       OpenCL C
    .language_version:
      - 2
      - 0
    .max_flat_workgroup_size: 256
    .name:           _ZN12_GLOBAL__N_135rocblas_gemm_batched_general_kernelIdLi16ELi16ELi32ELi32ELi8ELi32ELi8ELi8ELi32ELc78ELc84EKPKdS3_KPdEEvlllT_PT11_llS8_llS6_PT12_llPT13_lli
    .private_segment_fixed_size: 0
    .sgpr_count:     54
    .sgpr_spill_count: 0
    .symbol:         _ZN12_GLOBAL__N_135rocblas_gemm_batched_general_kernelIdLi16ELi16ELi32ELi32ELi8ELi32ELi8ELi8ELi32ELc78ELc84EKPKdS3_KPdEEvlllT_PT11_llS8_llS6_PT12_llPT13_lli.kd
    .uniform_work_group_size: 1
    .uses_dynamic_stack: false
    .vgpr_count:     44
    .vgpr_spill_count: 0
    .wavefront_size: 32
    .workgroup_processor_mode: 1
  - .args:
      - .offset:         0
        .size:           8
        .value_kind:     by_value
      - .offset:         8
        .size:           8
        .value_kind:     by_value
      - .offset:         16
        .size:           8
        .value_kind:     by_value
      - .offset:         24
        .size:           8
        .value_kind:     by_value
      - .address_space:  global
        .offset:         32
        .size:           8
        .value_kind:     global_buffer
      - .offset:         40
        .size:           8
        .value_kind:     by_value
      - .offset:         48
        .size:           8
        .value_kind:     by_value
      - .address_space:  global
        .offset:         56
        .size:           8
        .value_kind:     global_buffer
      - .offset:         64
        .size:           8
        .value_kind:     by_value
      - .offset:         72
        .size:           8
        .value_kind:     by_value
      - .offset:         80
        .size:           8
        .value_kind:     by_value
      - .address_space:  global
        .offset:         88
        .size:           8
        .value_kind:     global_buffer
      - .offset:         96
        .size:           8
        .value_kind:     by_value
      - .offset:         104
        .size:           8
        .value_kind:     by_value
      - .address_space:  global
        .offset:         112
        .size:           8
        .value_kind:     global_buffer
      - .offset:         120
        .size:           8
        .value_kind:     by_value
      - .offset:         128
        .size:           8
        .value_kind:     by_value
      - .offset:         136
        .size:           4
        .value_kind:     by_value
    .group_segment_fixed_size: 4096
    .kernarg_segment_align: 8
    .kernarg_segment_size: 140
    .language:       OpenCL C
    .language_version:
      - 2
      - 0
    .max_flat_workgroup_size: 256
    .name:           _ZN12_GLOBAL__N_135rocblas_gemm_batched_general_kernelIdLi16ELi16ELi32ELi32ELi8ELi32ELi8ELi8ELi32ELc84ELc84EKPKdS3_KPdEEvlllT_PT11_llS8_llS6_PT12_llPT13_lli
    .private_segment_fixed_size: 0
    .sgpr_count:     54
    .sgpr_spill_count: 0
    .symbol:         _ZN12_GLOBAL__N_135rocblas_gemm_batched_general_kernelIdLi16ELi16ELi32ELi32ELi8ELi32ELi8ELi8ELi32ELc84ELc84EKPKdS3_KPdEEvlllT_PT11_llS8_llS6_PT12_llPT13_lli.kd
    .uniform_work_group_size: 1
    .uses_dynamic_stack: false
    .vgpr_count:     44
    .vgpr_spill_count: 0
    .wavefront_size: 32
    .workgroup_processor_mode: 1
  - .args:
      - .offset:         0
        .size:           8
        .value_kind:     by_value
      - .offset:         8
        .size:           8
        .value_kind:     by_value
      - .offset:         16
        .size:           8
        .value_kind:     by_value
      - .offset:         24
        .size:           8
        .value_kind:     by_value
      - .address_space:  global
        .offset:         32
        .size:           8
        .value_kind:     global_buffer
      - .offset:         40
        .size:           8
        .value_kind:     by_value
      - .offset:         48
        .size:           8
        .value_kind:     by_value
      - .address_space:  global
        .offset:         56
        .size:           8
        .value_kind:     global_buffer
      - .offset:         64
        .size:           8
        .value_kind:     by_value
      - .offset:         72
        .size:           8
        .value_kind:     by_value
      - .offset:         80
        .size:           8
        .value_kind:     by_value
      - .address_space:  global
        .offset:         88
        .size:           8
        .value_kind:     global_buffer
      - .offset:         96
        .size:           8
        .value_kind:     by_value
      - .offset:         104
        .size:           8
        .value_kind:     by_value
      - .address_space:  global
        .offset:         112
        .size:           8
        .value_kind:     global_buffer
      - .offset:         120
        .size:           8
        .value_kind:     by_value
      - .offset:         128
        .size:           8
        .value_kind:     by_value
      - .offset:         136
        .size:           4
        .value_kind:     by_value
    .group_segment_fixed_size: 4096
    .kernarg_segment_align: 8
    .kernarg_segment_size: 140
    .language:       OpenCL C
    .language_version:
      - 2
      - 0
    .max_flat_workgroup_size: 256
    .name:           _ZN12_GLOBAL__N_135rocblas_gemm_batched_general_kernelIdLi16ELi16ELi32ELi32ELi8ELi32ELi8ELi8ELi32ELc67ELc67EKPKdS3_KPdEEvlllT_PT11_llS8_llS6_PT12_llPT13_lli
    .private_segment_fixed_size: 0
    .sgpr_count:     54
    .sgpr_spill_count: 0
    .symbol:         _ZN12_GLOBAL__N_135rocblas_gemm_batched_general_kernelIdLi16ELi16ELi32ELi32ELi8ELi32ELi8ELi8ELi32ELc67ELc67EKPKdS3_KPdEEvlllT_PT11_llS8_llS6_PT12_llPT13_lli.kd
    .uniform_work_group_size: 1
    .uses_dynamic_stack: false
    .vgpr_count:     44
    .vgpr_spill_count: 0
    .wavefront_size: 32
    .workgroup_processor_mode: 1
  - .args:
      - .offset:         0
        .size:           8
        .value_kind:     by_value
      - .offset:         8
        .size:           8
        .value_kind:     by_value
      - .offset:         16
        .size:           8
        .value_kind:     by_value
      - .offset:         24
        .size:           8
        .value_kind:     by_value
      - .address_space:  global
        .offset:         32
        .size:           8
        .value_kind:     global_buffer
      - .offset:         40
        .size:           8
        .value_kind:     by_value
      - .offset:         48
        .size:           8
        .value_kind:     by_value
      - .address_space:  global
        .offset:         56
        .size:           8
        .value_kind:     global_buffer
      - .offset:         64
        .size:           8
        .value_kind:     by_value
      - .offset:         72
        .size:           8
        .value_kind:     by_value
      - .offset:         80
        .size:           8
        .value_kind:     by_value
      - .address_space:  global
        .offset:         88
        .size:           8
        .value_kind:     global_buffer
      - .offset:         96
        .size:           8
        .value_kind:     by_value
      - .offset:         104
        .size:           8
        .value_kind:     by_value
      - .address_space:  global
        .offset:         112
        .size:           8
        .value_kind:     global_buffer
      - .offset:         120
        .size:           8
        .value_kind:     by_value
      - .offset:         128
        .size:           8
        .value_kind:     by_value
      - .offset:         136
        .size:           4
        .value_kind:     by_value
    .group_segment_fixed_size: 4096
    .kernarg_segment_align: 8
    .kernarg_segment_size: 140
    .language:       OpenCL C
    .language_version:
      - 2
      - 0
    .max_flat_workgroup_size: 256
    .name:           _ZN12_GLOBAL__N_135rocblas_gemm_batched_general_kernelIdLi16ELi16ELi32ELi32ELi8ELi32ELi8ELi8ELi32ELc67ELc78EKPKdS3_KPdEEvlllT_PT11_llS8_llS6_PT12_llPT13_lli
    .private_segment_fixed_size: 0
    .sgpr_count:     54
    .sgpr_spill_count: 0
    .symbol:         _ZN12_GLOBAL__N_135rocblas_gemm_batched_general_kernelIdLi16ELi16ELi32ELi32ELi8ELi32ELi8ELi8ELi32ELc67ELc78EKPKdS3_KPdEEvlllT_PT11_llS8_llS6_PT12_llPT13_lli.kd
    .uniform_work_group_size: 1
    .uses_dynamic_stack: false
    .vgpr_count:     44
    .vgpr_spill_count: 0
    .wavefront_size: 32
    .workgroup_processor_mode: 1
  - .args:
      - .offset:         0
        .size:           8
        .value_kind:     by_value
      - .offset:         8
        .size:           8
        .value_kind:     by_value
      - .offset:         16
        .size:           8
        .value_kind:     by_value
      - .offset:         24
        .size:           8
        .value_kind:     by_value
      - .address_space:  global
        .offset:         32
        .size:           8
        .value_kind:     global_buffer
      - .offset:         40
        .size:           8
        .value_kind:     by_value
      - .offset:         48
        .size:           8
        .value_kind:     by_value
      - .address_space:  global
        .offset:         56
        .size:           8
        .value_kind:     global_buffer
      - .offset:         64
        .size:           8
        .value_kind:     by_value
      - .offset:         72
        .size:           8
        .value_kind:     by_value
      - .offset:         80
        .size:           8
        .value_kind:     by_value
      - .address_space:  global
        .offset:         88
        .size:           8
        .value_kind:     global_buffer
      - .offset:         96
        .size:           8
        .value_kind:     by_value
      - .offset:         104
        .size:           8
        .value_kind:     by_value
      - .address_space:  global
        .offset:         112
        .size:           8
        .value_kind:     global_buffer
      - .offset:         120
        .size:           8
        .value_kind:     by_value
      - .offset:         128
        .size:           8
        .value_kind:     by_value
      - .offset:         136
        .size:           4
        .value_kind:     by_value
    .group_segment_fixed_size: 4096
    .kernarg_segment_align: 8
    .kernarg_segment_size: 140
    .language:       OpenCL C
    .language_version:
      - 2
      - 0
    .max_flat_workgroup_size: 256
    .name:           _ZN12_GLOBAL__N_135rocblas_gemm_batched_general_kernelIdLi16ELi16ELi32ELi32ELi8ELi32ELi8ELi8ELi32ELc67ELc84EKPKdS3_KPdEEvlllT_PT11_llS8_llS6_PT12_llPT13_lli
    .private_segment_fixed_size: 0
    .sgpr_count:     54
    .sgpr_spill_count: 0
    .symbol:         _ZN12_GLOBAL__N_135rocblas_gemm_batched_general_kernelIdLi16ELi16ELi32ELi32ELi8ELi32ELi8ELi8ELi32ELc67ELc84EKPKdS3_KPdEEvlllT_PT11_llS8_llS6_PT12_llPT13_lli.kd
    .uniform_work_group_size: 1
    .uses_dynamic_stack: false
    .vgpr_count:     44
    .vgpr_spill_count: 0
    .wavefront_size: 32
    .workgroup_processor_mode: 1
  - .args:
      - .offset:         0
        .size:           8
        .value_kind:     by_value
      - .offset:         8
        .size:           8
        .value_kind:     by_value
      - .offset:         16
        .size:           8
        .value_kind:     by_value
      - .offset:         24
        .size:           8
        .value_kind:     by_value
      - .address_space:  global
        .offset:         32
        .size:           8
        .value_kind:     global_buffer
      - .offset:         40
        .size:           8
        .value_kind:     by_value
      - .offset:         48
        .size:           8
        .value_kind:     by_value
      - .address_space:  global
        .offset:         56
        .size:           8
        .value_kind:     global_buffer
      - .offset:         64
        .size:           8
        .value_kind:     by_value
      - .offset:         72
        .size:           8
        .value_kind:     by_value
      - .offset:         80
        .size:           8
        .value_kind:     by_value
      - .address_space:  global
        .offset:         88
        .size:           8
        .value_kind:     global_buffer
      - .offset:         96
        .size:           8
        .value_kind:     by_value
      - .offset:         104
        .size:           8
        .value_kind:     by_value
      - .address_space:  global
        .offset:         112
        .size:           8
        .value_kind:     global_buffer
      - .offset:         120
        .size:           8
        .value_kind:     by_value
      - .offset:         128
        .size:           8
        .value_kind:     by_value
      - .offset:         136
        .size:           4
        .value_kind:     by_value
    .group_segment_fixed_size: 4096
    .kernarg_segment_align: 8
    .kernarg_segment_size: 140
    .language:       OpenCL C
    .language_version:
      - 2
      - 0
    .max_flat_workgroup_size: 256
    .name:           _ZN12_GLOBAL__N_135rocblas_gemm_batched_general_kernelIdLi16ELi16ELi32ELi32ELi8ELi32ELi8ELi8ELi32ELc78ELc67EKPKdS3_KPdEEvlllT_PT11_llS8_llS6_PT12_llPT13_lli
    .private_segment_fixed_size: 0
    .sgpr_count:     54
    .sgpr_spill_count: 0
    .symbol:         _ZN12_GLOBAL__N_135rocblas_gemm_batched_general_kernelIdLi16ELi16ELi32ELi32ELi8ELi32ELi8ELi8ELi32ELc78ELc67EKPKdS3_KPdEEvlllT_PT11_llS8_llS6_PT12_llPT13_lli.kd
    .uniform_work_group_size: 1
    .uses_dynamic_stack: false
    .vgpr_count:     44
    .vgpr_spill_count: 0
    .wavefront_size: 32
    .workgroup_processor_mode: 1
  - .args:
      - .offset:         0
        .size:           8
        .value_kind:     by_value
      - .offset:         8
        .size:           8
        .value_kind:     by_value
      - .offset:         16
        .size:           8
        .value_kind:     by_value
      - .offset:         24
        .size:           8
        .value_kind:     by_value
      - .address_space:  global
        .offset:         32
        .size:           8
        .value_kind:     global_buffer
      - .offset:         40
        .size:           8
        .value_kind:     by_value
      - .offset:         48
        .size:           8
        .value_kind:     by_value
      - .address_space:  global
        .offset:         56
        .size:           8
        .value_kind:     global_buffer
      - .offset:         64
        .size:           8
        .value_kind:     by_value
      - .offset:         72
        .size:           8
        .value_kind:     by_value
      - .offset:         80
        .size:           8
        .value_kind:     by_value
      - .address_space:  global
        .offset:         88
        .size:           8
        .value_kind:     global_buffer
      - .offset:         96
        .size:           8
        .value_kind:     by_value
      - .offset:         104
        .size:           8
        .value_kind:     by_value
      - .address_space:  global
        .offset:         112
        .size:           8
        .value_kind:     global_buffer
      - .offset:         120
        .size:           8
        .value_kind:     by_value
      - .offset:         128
        .size:           8
        .value_kind:     by_value
      - .offset:         136
        .size:           4
        .value_kind:     by_value
    .group_segment_fixed_size: 4096
    .kernarg_segment_align: 8
    .kernarg_segment_size: 140
    .language:       OpenCL C
    .language_version:
      - 2
      - 0
    .max_flat_workgroup_size: 256
    .name:           _ZN12_GLOBAL__N_135rocblas_gemm_batched_general_kernelIdLi16ELi16ELi32ELi32ELi8ELi32ELi8ELi8ELi32ELc84ELc67EKPKdS3_KPdEEvlllT_PT11_llS8_llS6_PT12_llPT13_lli
    .private_segment_fixed_size: 0
    .sgpr_count:     54
    .sgpr_spill_count: 0
    .symbol:         _ZN12_GLOBAL__N_135rocblas_gemm_batched_general_kernelIdLi16ELi16ELi32ELi32ELi8ELi32ELi8ELi8ELi32ELc84ELc67EKPKdS3_KPdEEvlllT_PT11_llS8_llS6_PT12_llPT13_lli.kd
    .uniform_work_group_size: 1
    .uses_dynamic_stack: false
    .vgpr_count:     44
    .vgpr_spill_count: 0
    .wavefront_size: 32
    .workgroup_processor_mode: 1
  - .args:
      - .offset:         0
        .size:           4
        .value_kind:     by_value
      - .offset:         4
        .size:           4
        .value_kind:     by_value
      - .offset:         8
        .size:           4
        .value_kind:     by_value
      - .address_space:  global
        .offset:         16
        .size:           8
        .value_kind:     global_buffer
      - .offset:         24
        .size:           8
        .value_kind:     by_value
      - .offset:         32
        .size:           8
        .value_kind:     by_value
      - .offset:         40
        .size:           8
        .value_kind:     by_value
      - .address_space:  global
        .offset:         48
        .size:           8
        .value_kind:     global_buffer
      - .offset:         56
        .size:           8
        .value_kind:     by_value
      - .offset:         64
        .size:           8
        .value_kind:     by_value
      - .offset:         72
        .size:           8
        .value_kind:     by_value
      - .offset:         80
        .size:           4
        .value_kind:     by_value
    .group_segment_fixed_size: 0
    .kernarg_segment_align: 8
    .kernarg_segment_size: 84
    .language:       OpenCL C
    .language_version:
      - 2
      - 0
    .max_flat_workgroup_size: 1024
    .name:           _ZN12_GLOBAL__N_120gemm_ex_scale_kernelILi32ELi32EfPKPKfPKPfEEviiT1_T2_lllT3_llli
    .private_segment_fixed_size: 0
    .sgpr_count:     22
    .sgpr_spill_count: 0
    .symbol:         _ZN12_GLOBAL__N_120gemm_ex_scale_kernelILi32ELi32EfPKPKfPKPfEEviiT1_T2_lllT3_llli.kd
    .uniform_work_group_size: 1
    .uses_dynamic_stack: false
    .vgpr_count:     8
    .vgpr_spill_count: 0
    .wavefront_size: 32
    .workgroup_processor_mode: 1
  - .args:
      - .offset:         0
        .size:           8
        .value_kind:     by_value
      - .offset:         8
        .size:           8
        .value_kind:     by_value
      - .offset:         16
        .size:           8
        .value_kind:     by_value
      - .offset:         24
        .size:           4
        .value_kind:     by_value
      - .address_space:  global
        .offset:         32
        .size:           8
        .value_kind:     global_buffer
      - .offset:         40
        .size:           8
        .value_kind:     by_value
      - .offset:         48
        .size:           8
        .value_kind:     by_value
      - .address_space:  global
        .offset:         56
        .size:           8
        .value_kind:     global_buffer
      - .offset:         64
        .size:           8
        .value_kind:     by_value
      - .offset:         72
        .size:           8
        .value_kind:     by_value
      - .offset:         80
        .size:           4
        .value_kind:     by_value
      - .address_space:  global
        .offset:         88
        .size:           8
        .value_kind:     global_buffer
      - .offset:         96
        .size:           8
        .value_kind:     by_value
      - .offset:         104
        .size:           8
        .value_kind:     by_value
      - .address_space:  global
        .offset:         112
        .size:           8
        .value_kind:     global_buffer
      - .offset:         120
        .size:           8
        .value_kind:     by_value
      - .offset:         128
        .size:           8
        .value_kind:     by_value
      - .offset:         136
        .size:           4
        .value_kind:     by_value
    .group_segment_fixed_size: 2048
    .kernarg_segment_align: 8
    .kernarg_segment_size: 140
    .language:       OpenCL C
    .language_version:
      - 2
      - 0
    .max_flat_workgroup_size: 256
    .name:           _ZN12_GLOBAL__N_127rocblas_gemm_batched_kernelIfLi16ELi16ELi64ELi64ELi4ELi64ELi4ELi4ELi64ELc78ELc78EKPKfS3_KPfEEvlllT_PT11_llS8_llS6_PT12_llPT13_lli
    .private_segment_fixed_size: 0
    .sgpr_count:     38
    .sgpr_spill_count: 0
    .symbol:         _ZN12_GLOBAL__N_127rocblas_gemm_batched_kernelIfLi16ELi16ELi64ELi64ELi4ELi64ELi4ELi4ELi64ELc78ELc78EKPKfS3_KPfEEvlllT_PT11_llS8_llS6_PT12_llPT13_lli.kd
    .uniform_work_group_size: 1
    .uses_dynamic_stack: false
    .vgpr_count:     58
    .vgpr_spill_count: 0
    .wavefront_size: 32
    .workgroup_processor_mode: 1
  - .args:
      - .offset:         0
        .size:           8
        .value_kind:     by_value
      - .offset:         8
        .size:           8
        .value_kind:     by_value
      - .offset:         16
        .size:           8
        .value_kind:     by_value
      - .offset:         24
        .size:           4
        .value_kind:     by_value
      - .address_space:  global
        .offset:         32
        .size:           8
        .value_kind:     global_buffer
      - .offset:         40
        .size:           8
        .value_kind:     by_value
      - .offset:         48
        .size:           8
        .value_kind:     by_value
      - .address_space:  global
        .offset:         56
        .size:           8
        .value_kind:     global_buffer
      - .offset:         64
        .size:           8
        .value_kind:     by_value
      - .offset:         72
        .size:           8
        .value_kind:     by_value
      - .offset:         80
        .size:           4
        .value_kind:     by_value
      - .address_space:  global
        .offset:         88
        .size:           8
        .value_kind:     global_buffer
      - .offset:         96
        .size:           8
        .value_kind:     by_value
      - .offset:         104
        .size:           8
        .value_kind:     by_value
      - .address_space:  global
        .offset:         112
        .size:           8
        .value_kind:     global_buffer
      - .offset:         120
        .size:           8
        .value_kind:     by_value
      - .offset:         128
        .size:           8
        .value_kind:     by_value
      - .offset:         136
        .size:           4
        .value_kind:     by_value
    .group_segment_fixed_size: 2048
    .kernarg_segment_align: 8
    .kernarg_segment_size: 140
    .language:       OpenCL C
    .language_version:
      - 2
      - 0
    .max_flat_workgroup_size: 256
    .name:           _ZN12_GLOBAL__N_127rocblas_gemm_batched_kernelIfLi16ELi16ELi64ELi64ELi4ELi64ELi4ELi4ELi64ELc84ELc78EKPKfS3_KPfEEvlllT_PT11_llS8_llS6_PT12_llPT13_lli
    .private_segment_fixed_size: 0
    .sgpr_count:     38
    .sgpr_spill_count: 0
    .symbol:         _ZN12_GLOBAL__N_127rocblas_gemm_batched_kernelIfLi16ELi16ELi64ELi64ELi4ELi64ELi4ELi4ELi64ELc84ELc78EKPKfS3_KPfEEvlllT_PT11_llS8_llS6_PT12_llPT13_lli.kd
    .uniform_work_group_size: 1
    .uses_dynamic_stack: false
    .vgpr_count:     58
    .vgpr_spill_count: 0
    .wavefront_size: 32
    .workgroup_processor_mode: 1
  - .args:
      - .offset:         0
        .size:           8
        .value_kind:     by_value
      - .offset:         8
        .size:           8
        .value_kind:     by_value
      - .offset:         16
        .size:           8
        .value_kind:     by_value
      - .offset:         24
        .size:           4
        .value_kind:     by_value
      - .address_space:  global
        .offset:         32
        .size:           8
        .value_kind:     global_buffer
      - .offset:         40
        .size:           8
        .value_kind:     by_value
      - .offset:         48
        .size:           8
        .value_kind:     by_value
      - .address_space:  global
        .offset:         56
        .size:           8
        .value_kind:     global_buffer
      - .offset:         64
        .size:           8
        .value_kind:     by_value
      - .offset:         72
        .size:           8
        .value_kind:     by_value
      - .offset:         80
        .size:           4
        .value_kind:     by_value
      - .address_space:  global
        .offset:         88
        .size:           8
        .value_kind:     global_buffer
      - .offset:         96
        .size:           8
        .value_kind:     by_value
      - .offset:         104
        .size:           8
        .value_kind:     by_value
      - .address_space:  global
        .offset:         112
        .size:           8
        .value_kind:     global_buffer
      - .offset:         120
        .size:           8
        .value_kind:     by_value
      - .offset:         128
        .size:           8
        .value_kind:     by_value
      - .offset:         136
        .size:           4
        .value_kind:     by_value
    .group_segment_fixed_size: 2048
    .kernarg_segment_align: 8
    .kernarg_segment_size: 140
    .language:       OpenCL C
    .language_version:
      - 2
      - 0
    .max_flat_workgroup_size: 256
    .name:           _ZN12_GLOBAL__N_127rocblas_gemm_batched_kernelIfLi16ELi16ELi64ELi64ELi4ELi64ELi4ELi4ELi64ELc78ELc84EKPKfS3_KPfEEvlllT_PT11_llS8_llS6_PT12_llPT13_lli
    .private_segment_fixed_size: 0
    .sgpr_count:     38
    .sgpr_spill_count: 0
    .symbol:         _ZN12_GLOBAL__N_127rocblas_gemm_batched_kernelIfLi16ELi16ELi64ELi64ELi4ELi64ELi4ELi4ELi64ELc78ELc84EKPKfS3_KPfEEvlllT_PT11_llS8_llS6_PT12_llPT13_lli.kd
    .uniform_work_group_size: 1
    .uses_dynamic_stack: false
    .vgpr_count:     58
    .vgpr_spill_count: 0
    .wavefront_size: 32
    .workgroup_processor_mode: 1
  - .args:
      - .offset:         0
        .size:           8
        .value_kind:     by_value
      - .offset:         8
        .size:           8
        .value_kind:     by_value
      - .offset:         16
        .size:           8
        .value_kind:     by_value
      - .offset:         24
        .size:           4
        .value_kind:     by_value
      - .address_space:  global
        .offset:         32
        .size:           8
        .value_kind:     global_buffer
      - .offset:         40
        .size:           8
        .value_kind:     by_value
      - .offset:         48
        .size:           8
        .value_kind:     by_value
      - .address_space:  global
        .offset:         56
        .size:           8
        .value_kind:     global_buffer
      - .offset:         64
        .size:           8
        .value_kind:     by_value
      - .offset:         72
        .size:           8
        .value_kind:     by_value
      - .offset:         80
        .size:           4
        .value_kind:     by_value
      - .address_space:  global
        .offset:         88
        .size:           8
        .value_kind:     global_buffer
      - .offset:         96
        .size:           8
        .value_kind:     by_value
      - .offset:         104
        .size:           8
        .value_kind:     by_value
      - .address_space:  global
        .offset:         112
        .size:           8
        .value_kind:     global_buffer
      - .offset:         120
        .size:           8
        .value_kind:     by_value
      - .offset:         128
        .size:           8
        .value_kind:     by_value
      - .offset:         136
        .size:           4
        .value_kind:     by_value
    .group_segment_fixed_size: 2048
    .kernarg_segment_align: 8
    .kernarg_segment_size: 140
    .language:       OpenCL C
    .language_version:
      - 2
      - 0
    .max_flat_workgroup_size: 256
    .name:           _ZN12_GLOBAL__N_127rocblas_gemm_batched_kernelIfLi16ELi16ELi64ELi64ELi4ELi64ELi4ELi4ELi64ELc84ELc84EKPKfS3_KPfEEvlllT_PT11_llS8_llS6_PT12_llPT13_lli
    .private_segment_fixed_size: 0
    .sgpr_count:     38
    .sgpr_spill_count: 0
    .symbol:         _ZN12_GLOBAL__N_127rocblas_gemm_batched_kernelIfLi16ELi16ELi64ELi64ELi4ELi64ELi4ELi4ELi64ELc84ELc84EKPKfS3_KPfEEvlllT_PT11_llS8_llS6_PT12_llPT13_lli.kd
    .uniform_work_group_size: 1
    .uses_dynamic_stack: false
    .vgpr_count:     58
    .vgpr_spill_count: 0
    .wavefront_size: 32
    .workgroup_processor_mode: 1
  - .args:
      - .offset:         0
        .size:           8
        .value_kind:     by_value
      - .offset:         8
        .size:           8
        .value_kind:     by_value
      - .offset:         16
        .size:           8
        .value_kind:     by_value
      - .offset:         24
        .size:           4
        .value_kind:     by_value
      - .address_space:  global
        .offset:         32
        .size:           8
        .value_kind:     global_buffer
      - .offset:         40
        .size:           8
        .value_kind:     by_value
      - .offset:         48
        .size:           8
        .value_kind:     by_value
      - .address_space:  global
        .offset:         56
        .size:           8
        .value_kind:     global_buffer
      - .offset:         64
        .size:           8
        .value_kind:     by_value
      - .offset:         72
        .size:           8
        .value_kind:     by_value
      - .offset:         80
        .size:           4
        .value_kind:     by_value
      - .address_space:  global
        .offset:         88
        .size:           8
        .value_kind:     global_buffer
      - .offset:         96
        .size:           8
        .value_kind:     by_value
      - .offset:         104
        .size:           8
        .value_kind:     by_value
      - .address_space:  global
        .offset:         112
        .size:           8
        .value_kind:     global_buffer
      - .offset:         120
        .size:           8
        .value_kind:     by_value
      - .offset:         128
        .size:           8
        .value_kind:     by_value
      - .offset:         136
        .size:           4
        .value_kind:     by_value
    .group_segment_fixed_size: 2048
    .kernarg_segment_align: 8
    .kernarg_segment_size: 140
    .language:       OpenCL C
    .language_version:
      - 2
      - 0
    .max_flat_workgroup_size: 256
    .name:           _ZN12_GLOBAL__N_127rocblas_gemm_batched_kernelIfLi16ELi16ELi64ELi64ELi4ELi64ELi4ELi4ELi64ELc67ELc67EKPKfS3_KPfEEvlllT_PT11_llS8_llS6_PT12_llPT13_lli
    .private_segment_fixed_size: 0
    .sgpr_count:     38
    .sgpr_spill_count: 0
    .symbol:         _ZN12_GLOBAL__N_127rocblas_gemm_batched_kernelIfLi16ELi16ELi64ELi64ELi4ELi64ELi4ELi4ELi64ELc67ELc67EKPKfS3_KPfEEvlllT_PT11_llS8_llS6_PT12_llPT13_lli.kd
    .uniform_work_group_size: 1
    .uses_dynamic_stack: false
    .vgpr_count:     58
    .vgpr_spill_count: 0
    .wavefront_size: 32
    .workgroup_processor_mode: 1
  - .args:
      - .offset:         0
        .size:           8
        .value_kind:     by_value
      - .offset:         8
        .size:           8
        .value_kind:     by_value
      - .offset:         16
        .size:           8
        .value_kind:     by_value
      - .offset:         24
        .size:           4
        .value_kind:     by_value
      - .address_space:  global
        .offset:         32
        .size:           8
        .value_kind:     global_buffer
      - .offset:         40
        .size:           8
        .value_kind:     by_value
      - .offset:         48
        .size:           8
        .value_kind:     by_value
      - .address_space:  global
        .offset:         56
        .size:           8
        .value_kind:     global_buffer
      - .offset:         64
        .size:           8
        .value_kind:     by_value
      - .offset:         72
        .size:           8
        .value_kind:     by_value
      - .offset:         80
        .size:           4
        .value_kind:     by_value
      - .address_space:  global
        .offset:         88
        .size:           8
        .value_kind:     global_buffer
      - .offset:         96
        .size:           8
        .value_kind:     by_value
      - .offset:         104
        .size:           8
        .value_kind:     by_value
      - .address_space:  global
        .offset:         112
        .size:           8
        .value_kind:     global_buffer
      - .offset:         120
        .size:           8
        .value_kind:     by_value
      - .offset:         128
        .size:           8
        .value_kind:     by_value
      - .offset:         136
        .size:           4
        .value_kind:     by_value
    .group_segment_fixed_size: 2048
    .kernarg_segment_align: 8
    .kernarg_segment_size: 140
    .language:       OpenCL C
    .language_version:
      - 2
      - 0
    .max_flat_workgroup_size: 256
    .name:           _ZN12_GLOBAL__N_127rocblas_gemm_batched_kernelIfLi16ELi16ELi64ELi64ELi4ELi64ELi4ELi4ELi64ELc67ELc78EKPKfS3_KPfEEvlllT_PT11_llS8_llS6_PT12_llPT13_lli
    .private_segment_fixed_size: 0
    .sgpr_count:     38
    .sgpr_spill_count: 0
    .symbol:         _ZN12_GLOBAL__N_127rocblas_gemm_batched_kernelIfLi16ELi16ELi64ELi64ELi4ELi64ELi4ELi4ELi64ELc67ELc78EKPKfS3_KPfEEvlllT_PT11_llS8_llS6_PT12_llPT13_lli.kd
    .uniform_work_group_size: 1
    .uses_dynamic_stack: false
    .vgpr_count:     58
    .vgpr_spill_count: 0
    .wavefront_size: 32
    .workgroup_processor_mode: 1
  - .args:
      - .offset:         0
        .size:           8
        .value_kind:     by_value
      - .offset:         8
        .size:           8
        .value_kind:     by_value
      - .offset:         16
        .size:           8
        .value_kind:     by_value
      - .offset:         24
        .size:           4
        .value_kind:     by_value
      - .address_space:  global
        .offset:         32
        .size:           8
        .value_kind:     global_buffer
      - .offset:         40
        .size:           8
        .value_kind:     by_value
      - .offset:         48
        .size:           8
        .value_kind:     by_value
      - .address_space:  global
        .offset:         56
        .size:           8
        .value_kind:     global_buffer
      - .offset:         64
        .size:           8
        .value_kind:     by_value
      - .offset:         72
        .size:           8
        .value_kind:     by_value
      - .offset:         80
        .size:           4
        .value_kind:     by_value
      - .address_space:  global
        .offset:         88
        .size:           8
        .value_kind:     global_buffer
      - .offset:         96
        .size:           8
        .value_kind:     by_value
      - .offset:         104
        .size:           8
        .value_kind:     by_value
      - .address_space:  global
        .offset:         112
        .size:           8
        .value_kind:     global_buffer
      - .offset:         120
        .size:           8
        .value_kind:     by_value
      - .offset:         128
        .size:           8
        .value_kind:     by_value
      - .offset:         136
        .size:           4
        .value_kind:     by_value
    .group_segment_fixed_size: 2048
    .kernarg_segment_align: 8
    .kernarg_segment_size: 140
    .language:       OpenCL C
    .language_version:
      - 2
      - 0
    .max_flat_workgroup_size: 256
    .name:           _ZN12_GLOBAL__N_127rocblas_gemm_batched_kernelIfLi16ELi16ELi64ELi64ELi4ELi64ELi4ELi4ELi64ELc67ELc84EKPKfS3_KPfEEvlllT_PT11_llS8_llS6_PT12_llPT13_lli
    .private_segment_fixed_size: 0
    .sgpr_count:     38
    .sgpr_spill_count: 0
    .symbol:         _ZN12_GLOBAL__N_127rocblas_gemm_batched_kernelIfLi16ELi16ELi64ELi64ELi4ELi64ELi4ELi4ELi64ELc67ELc84EKPKfS3_KPfEEvlllT_PT11_llS8_llS6_PT12_llPT13_lli.kd
    .uniform_work_group_size: 1
    .uses_dynamic_stack: false
    .vgpr_count:     58
    .vgpr_spill_count: 0
    .wavefront_size: 32
    .workgroup_processor_mode: 1
  - .args:
      - .offset:         0
        .size:           8
        .value_kind:     by_value
      - .offset:         8
        .size:           8
        .value_kind:     by_value
      - .offset:         16
        .size:           8
        .value_kind:     by_value
      - .offset:         24
        .size:           4
        .value_kind:     by_value
      - .address_space:  global
        .offset:         32
        .size:           8
        .value_kind:     global_buffer
      - .offset:         40
        .size:           8
        .value_kind:     by_value
      - .offset:         48
        .size:           8
        .value_kind:     by_value
      - .address_space:  global
        .offset:         56
        .size:           8
        .value_kind:     global_buffer
      - .offset:         64
        .size:           8
        .value_kind:     by_value
      - .offset:         72
        .size:           8
        .value_kind:     by_value
      - .offset:         80
        .size:           4
        .value_kind:     by_value
      - .address_space:  global
        .offset:         88
        .size:           8
        .value_kind:     global_buffer
      - .offset:         96
        .size:           8
        .value_kind:     by_value
      - .offset:         104
        .size:           8
        .value_kind:     by_value
      - .address_space:  global
        .offset:         112
        .size:           8
        .value_kind:     global_buffer
      - .offset:         120
        .size:           8
        .value_kind:     by_value
      - .offset:         128
        .size:           8
        .value_kind:     by_value
      - .offset:         136
        .size:           4
        .value_kind:     by_value
    .group_segment_fixed_size: 2048
    .kernarg_segment_align: 8
    .kernarg_segment_size: 140
    .language:       OpenCL C
    .language_version:
      - 2
      - 0
    .max_flat_workgroup_size: 256
    .name:           _ZN12_GLOBAL__N_127rocblas_gemm_batched_kernelIfLi16ELi16ELi64ELi64ELi4ELi64ELi4ELi4ELi64ELc78ELc67EKPKfS3_KPfEEvlllT_PT11_llS8_llS6_PT12_llPT13_lli
    .private_segment_fixed_size: 0
    .sgpr_count:     38
    .sgpr_spill_count: 0
    .symbol:         _ZN12_GLOBAL__N_127rocblas_gemm_batched_kernelIfLi16ELi16ELi64ELi64ELi4ELi64ELi4ELi4ELi64ELc78ELc67EKPKfS3_KPfEEvlllT_PT11_llS8_llS6_PT12_llPT13_lli.kd
    .uniform_work_group_size: 1
    .uses_dynamic_stack: false
    .vgpr_count:     58
    .vgpr_spill_count: 0
    .wavefront_size: 32
    .workgroup_processor_mode: 1
  - .args:
      - .offset:         0
        .size:           8
        .value_kind:     by_value
      - .offset:         8
        .size:           8
        .value_kind:     by_value
      - .offset:         16
        .size:           8
        .value_kind:     by_value
      - .offset:         24
        .size:           4
        .value_kind:     by_value
      - .address_space:  global
        .offset:         32
        .size:           8
        .value_kind:     global_buffer
      - .offset:         40
        .size:           8
        .value_kind:     by_value
      - .offset:         48
        .size:           8
        .value_kind:     by_value
      - .address_space:  global
        .offset:         56
        .size:           8
        .value_kind:     global_buffer
      - .offset:         64
        .size:           8
        .value_kind:     by_value
      - .offset:         72
        .size:           8
        .value_kind:     by_value
      - .offset:         80
        .size:           4
        .value_kind:     by_value
      - .address_space:  global
        .offset:         88
        .size:           8
        .value_kind:     global_buffer
      - .offset:         96
        .size:           8
        .value_kind:     by_value
      - .offset:         104
        .size:           8
        .value_kind:     by_value
      - .address_space:  global
        .offset:         112
        .size:           8
        .value_kind:     global_buffer
      - .offset:         120
        .size:           8
        .value_kind:     by_value
      - .offset:         128
        .size:           8
        .value_kind:     by_value
      - .offset:         136
        .size:           4
        .value_kind:     by_value
    .group_segment_fixed_size: 2048
    .kernarg_segment_align: 8
    .kernarg_segment_size: 140
    .language:       OpenCL C
    .language_version:
      - 2
      - 0
    .max_flat_workgroup_size: 256
    .name:           _ZN12_GLOBAL__N_127rocblas_gemm_batched_kernelIfLi16ELi16ELi64ELi64ELi4ELi64ELi4ELi4ELi64ELc84ELc67EKPKfS3_KPfEEvlllT_PT11_llS8_llS6_PT12_llPT13_lli
    .private_segment_fixed_size: 0
    .sgpr_count:     38
    .sgpr_spill_count: 0
    .symbol:         _ZN12_GLOBAL__N_127rocblas_gemm_batched_kernelIfLi16ELi16ELi64ELi64ELi4ELi64ELi4ELi4ELi64ELc84ELc67EKPKfS3_KPfEEvlllT_PT11_llS8_llS6_PT12_llPT13_lli.kd
    .uniform_work_group_size: 1
    .uses_dynamic_stack: false
    .vgpr_count:     58
    .vgpr_spill_count: 0
    .wavefront_size: 32
    .workgroup_processor_mode: 1
  - .args:
      - .offset:         0
        .size:           8
        .value_kind:     by_value
      - .offset:         8
        .size:           8
        .value_kind:     by_value
      - .offset:         16
        .size:           8
        .value_kind:     by_value
      - .offset:         24
        .size:           4
        .value_kind:     by_value
      - .address_space:  global
        .offset:         32
        .size:           8
        .value_kind:     global_buffer
      - .offset:         40
        .size:           8
        .value_kind:     by_value
      - .offset:         48
        .size:           8
        .value_kind:     by_value
      - .address_space:  global
        .offset:         56
        .size:           8
        .value_kind:     global_buffer
      - .offset:         64
        .size:           8
        .value_kind:     by_value
      - .offset:         72
        .size:           8
        .value_kind:     by_value
      - .offset:         80
        .size:           4
        .value_kind:     by_value
      - .address_space:  global
        .offset:         88
        .size:           8
        .value_kind:     global_buffer
      - .offset:         96
        .size:           8
        .value_kind:     by_value
      - .offset:         104
        .size:           8
        .value_kind:     by_value
      - .address_space:  global
        .offset:         112
        .size:           8
        .value_kind:     global_buffer
      - .offset:         120
        .size:           8
        .value_kind:     by_value
      - .offset:         128
        .size:           8
        .value_kind:     by_value
      - .offset:         136
        .size:           4
        .value_kind:     by_value
    .group_segment_fixed_size: 2048
    .kernarg_segment_align: 8
    .kernarg_segment_size: 140
    .language:       OpenCL C
    .language_version:
      - 2
      - 0
    .max_flat_workgroup_size: 256
    .name:           _ZN12_GLOBAL__N_127rocblas_gemm_batched_kernelIfLi16ELi16ELi32ELi32ELi8ELi32ELi8ELi8ELi32ELc78ELc78EKPKfS3_KPfEEvlllT_PT11_llS8_llS6_PT12_llPT13_lli
    .private_segment_fixed_size: 0
    .sgpr_count:     38
    .sgpr_spill_count: 0
    .symbol:         _ZN12_GLOBAL__N_127rocblas_gemm_batched_kernelIfLi16ELi16ELi32ELi32ELi8ELi32ELi8ELi8ELi32ELc78ELc78EKPKfS3_KPfEEvlllT_PT11_llS8_llS6_PT12_llPT13_lli.kd
    .uniform_work_group_size: 1
    .uses_dynamic_stack: false
    .vgpr_count:     46
    .vgpr_spill_count: 0
    .wavefront_size: 32
    .workgroup_processor_mode: 1
  - .args:
      - .offset:         0
        .size:           8
        .value_kind:     by_value
      - .offset:         8
        .size:           8
        .value_kind:     by_value
      - .offset:         16
        .size:           8
        .value_kind:     by_value
      - .offset:         24
        .size:           4
        .value_kind:     by_value
      - .address_space:  global
        .offset:         32
        .size:           8
        .value_kind:     global_buffer
      - .offset:         40
        .size:           8
        .value_kind:     by_value
      - .offset:         48
        .size:           8
        .value_kind:     by_value
      - .address_space:  global
        .offset:         56
        .size:           8
        .value_kind:     global_buffer
      - .offset:         64
        .size:           8
        .value_kind:     by_value
      - .offset:         72
        .size:           8
        .value_kind:     by_value
      - .offset:         80
        .size:           4
        .value_kind:     by_value
      - .address_space:  global
        .offset:         88
        .size:           8
        .value_kind:     global_buffer
      - .offset:         96
        .size:           8
        .value_kind:     by_value
      - .offset:         104
        .size:           8
        .value_kind:     by_value
      - .address_space:  global
        .offset:         112
        .size:           8
        .value_kind:     global_buffer
      - .offset:         120
        .size:           8
        .value_kind:     by_value
      - .offset:         128
        .size:           8
        .value_kind:     by_value
      - .offset:         136
        .size:           4
        .value_kind:     by_value
    .group_segment_fixed_size: 2048
    .kernarg_segment_align: 8
    .kernarg_segment_size: 140
    .language:       OpenCL C
    .language_version:
      - 2
      - 0
    .max_flat_workgroup_size: 256
    .name:           _ZN12_GLOBAL__N_127rocblas_gemm_batched_kernelIfLi16ELi16ELi32ELi32ELi8ELi32ELi8ELi8ELi32ELc84ELc78EKPKfS3_KPfEEvlllT_PT11_llS8_llS6_PT12_llPT13_lli
    .private_segment_fixed_size: 0
    .sgpr_count:     38
    .sgpr_spill_count: 0
    .symbol:         _ZN12_GLOBAL__N_127rocblas_gemm_batched_kernelIfLi16ELi16ELi32ELi32ELi8ELi32ELi8ELi8ELi32ELc84ELc78EKPKfS3_KPfEEvlllT_PT11_llS8_llS6_PT12_llPT13_lli.kd
    .uniform_work_group_size: 1
    .uses_dynamic_stack: false
    .vgpr_count:     46
    .vgpr_spill_count: 0
    .wavefront_size: 32
    .workgroup_processor_mode: 1
  - .args:
      - .offset:         0
        .size:           8
        .value_kind:     by_value
      - .offset:         8
        .size:           8
        .value_kind:     by_value
      - .offset:         16
        .size:           8
        .value_kind:     by_value
      - .offset:         24
        .size:           4
        .value_kind:     by_value
      - .address_space:  global
        .offset:         32
        .size:           8
        .value_kind:     global_buffer
      - .offset:         40
        .size:           8
        .value_kind:     by_value
      - .offset:         48
        .size:           8
        .value_kind:     by_value
      - .address_space:  global
        .offset:         56
        .size:           8
        .value_kind:     global_buffer
      - .offset:         64
        .size:           8
        .value_kind:     by_value
      - .offset:         72
        .size:           8
        .value_kind:     by_value
      - .offset:         80
        .size:           4
        .value_kind:     by_value
      - .address_space:  global
        .offset:         88
        .size:           8
        .value_kind:     global_buffer
      - .offset:         96
        .size:           8
        .value_kind:     by_value
      - .offset:         104
        .size:           8
        .value_kind:     by_value
      - .address_space:  global
        .offset:         112
        .size:           8
        .value_kind:     global_buffer
      - .offset:         120
        .size:           8
        .value_kind:     by_value
      - .offset:         128
        .size:           8
        .value_kind:     by_value
      - .offset:         136
        .size:           4
        .value_kind:     by_value
    .group_segment_fixed_size: 2048
    .kernarg_segment_align: 8
    .kernarg_segment_size: 140
    .language:       OpenCL C
    .language_version:
      - 2
      - 0
    .max_flat_workgroup_size: 256
    .name:           _ZN12_GLOBAL__N_127rocblas_gemm_batched_kernelIfLi16ELi16ELi32ELi32ELi8ELi32ELi8ELi8ELi32ELc78ELc84EKPKfS3_KPfEEvlllT_PT11_llS8_llS6_PT12_llPT13_lli
    .private_segment_fixed_size: 0
    .sgpr_count:     38
    .sgpr_spill_count: 0
    .symbol:         _ZN12_GLOBAL__N_127rocblas_gemm_batched_kernelIfLi16ELi16ELi32ELi32ELi8ELi32ELi8ELi8ELi32ELc78ELc84EKPKfS3_KPfEEvlllT_PT11_llS8_llS6_PT12_llPT13_lli.kd
    .uniform_work_group_size: 1
    .uses_dynamic_stack: false
    .vgpr_count:     46
    .vgpr_spill_count: 0
    .wavefront_size: 32
    .workgroup_processor_mode: 1
  - .args:
      - .offset:         0
        .size:           8
        .value_kind:     by_value
      - .offset:         8
        .size:           8
        .value_kind:     by_value
      - .offset:         16
        .size:           8
        .value_kind:     by_value
      - .offset:         24
        .size:           4
        .value_kind:     by_value
      - .address_space:  global
        .offset:         32
        .size:           8
        .value_kind:     global_buffer
      - .offset:         40
        .size:           8
        .value_kind:     by_value
      - .offset:         48
        .size:           8
        .value_kind:     by_value
      - .address_space:  global
        .offset:         56
        .size:           8
        .value_kind:     global_buffer
      - .offset:         64
        .size:           8
        .value_kind:     by_value
      - .offset:         72
        .size:           8
        .value_kind:     by_value
      - .offset:         80
        .size:           4
        .value_kind:     by_value
      - .address_space:  global
        .offset:         88
        .size:           8
        .value_kind:     global_buffer
      - .offset:         96
        .size:           8
        .value_kind:     by_value
      - .offset:         104
        .size:           8
        .value_kind:     by_value
      - .address_space:  global
        .offset:         112
        .size:           8
        .value_kind:     global_buffer
      - .offset:         120
        .size:           8
        .value_kind:     by_value
      - .offset:         128
        .size:           8
        .value_kind:     by_value
      - .offset:         136
        .size:           4
        .value_kind:     by_value
    .group_segment_fixed_size: 2048
    .kernarg_segment_align: 8
    .kernarg_segment_size: 140
    .language:       OpenCL C
    .language_version:
      - 2
      - 0
    .max_flat_workgroup_size: 256
    .name:           _ZN12_GLOBAL__N_127rocblas_gemm_batched_kernelIfLi16ELi16ELi32ELi32ELi8ELi32ELi8ELi8ELi32ELc84ELc84EKPKfS3_KPfEEvlllT_PT11_llS8_llS6_PT12_llPT13_lli
    .private_segment_fixed_size: 0
    .sgpr_count:     38
    .sgpr_spill_count: 0
    .symbol:         _ZN12_GLOBAL__N_127rocblas_gemm_batched_kernelIfLi16ELi16ELi32ELi32ELi8ELi32ELi8ELi8ELi32ELc84ELc84EKPKfS3_KPfEEvlllT_PT11_llS8_llS6_PT12_llPT13_lli.kd
    .uniform_work_group_size: 1
    .uses_dynamic_stack: false
    .vgpr_count:     46
    .vgpr_spill_count: 0
    .wavefront_size: 32
    .workgroup_processor_mode: 1
  - .args:
      - .offset:         0
        .size:           8
        .value_kind:     by_value
      - .offset:         8
        .size:           8
        .value_kind:     by_value
      - .offset:         16
        .size:           8
        .value_kind:     by_value
      - .offset:         24
        .size:           4
        .value_kind:     by_value
      - .address_space:  global
        .offset:         32
        .size:           8
        .value_kind:     global_buffer
      - .offset:         40
        .size:           8
        .value_kind:     by_value
      - .offset:         48
        .size:           8
        .value_kind:     by_value
      - .address_space:  global
        .offset:         56
        .size:           8
        .value_kind:     global_buffer
      - .offset:         64
        .size:           8
        .value_kind:     by_value
      - .offset:         72
        .size:           8
        .value_kind:     by_value
      - .offset:         80
        .size:           4
        .value_kind:     by_value
      - .address_space:  global
        .offset:         88
        .size:           8
        .value_kind:     global_buffer
      - .offset:         96
        .size:           8
        .value_kind:     by_value
      - .offset:         104
        .size:           8
        .value_kind:     by_value
      - .address_space:  global
        .offset:         112
        .size:           8
        .value_kind:     global_buffer
      - .offset:         120
        .size:           8
        .value_kind:     by_value
      - .offset:         128
        .size:           8
        .value_kind:     by_value
      - .offset:         136
        .size:           4
        .value_kind:     by_value
    .group_segment_fixed_size: 2048
    .kernarg_segment_align: 8
    .kernarg_segment_size: 140
    .language:       OpenCL C
    .language_version:
      - 2
      - 0
    .max_flat_workgroup_size: 256
    .name:           _ZN12_GLOBAL__N_127rocblas_gemm_batched_kernelIfLi16ELi16ELi32ELi32ELi8ELi32ELi8ELi8ELi32ELc67ELc67EKPKfS3_KPfEEvlllT_PT11_llS8_llS6_PT12_llPT13_lli
    .private_segment_fixed_size: 0
    .sgpr_count:     38
    .sgpr_spill_count: 0
    .symbol:         _ZN12_GLOBAL__N_127rocblas_gemm_batched_kernelIfLi16ELi16ELi32ELi32ELi8ELi32ELi8ELi8ELi32ELc67ELc67EKPKfS3_KPfEEvlllT_PT11_llS8_llS6_PT12_llPT13_lli.kd
    .uniform_work_group_size: 1
    .uses_dynamic_stack: false
    .vgpr_count:     46
    .vgpr_spill_count: 0
    .wavefront_size: 32
    .workgroup_processor_mode: 1
  - .args:
      - .offset:         0
        .size:           8
        .value_kind:     by_value
      - .offset:         8
        .size:           8
        .value_kind:     by_value
      - .offset:         16
        .size:           8
        .value_kind:     by_value
      - .offset:         24
        .size:           4
        .value_kind:     by_value
      - .address_space:  global
        .offset:         32
        .size:           8
        .value_kind:     global_buffer
      - .offset:         40
        .size:           8
        .value_kind:     by_value
      - .offset:         48
        .size:           8
        .value_kind:     by_value
      - .address_space:  global
        .offset:         56
        .size:           8
        .value_kind:     global_buffer
      - .offset:         64
        .size:           8
        .value_kind:     by_value
      - .offset:         72
        .size:           8
        .value_kind:     by_value
      - .offset:         80
        .size:           4
        .value_kind:     by_value
      - .address_space:  global
        .offset:         88
        .size:           8
        .value_kind:     global_buffer
      - .offset:         96
        .size:           8
        .value_kind:     by_value
      - .offset:         104
        .size:           8
        .value_kind:     by_value
      - .address_space:  global
        .offset:         112
        .size:           8
        .value_kind:     global_buffer
      - .offset:         120
        .size:           8
        .value_kind:     by_value
      - .offset:         128
        .size:           8
        .value_kind:     by_value
      - .offset:         136
        .size:           4
        .value_kind:     by_value
    .group_segment_fixed_size: 2048
    .kernarg_segment_align: 8
    .kernarg_segment_size: 140
    .language:       OpenCL C
    .language_version:
      - 2
      - 0
    .max_flat_workgroup_size: 256
    .name:           _ZN12_GLOBAL__N_127rocblas_gemm_batched_kernelIfLi16ELi16ELi32ELi32ELi8ELi32ELi8ELi8ELi32ELc67ELc78EKPKfS3_KPfEEvlllT_PT11_llS8_llS6_PT12_llPT13_lli
    .private_segment_fixed_size: 0
    .sgpr_count:     38
    .sgpr_spill_count: 0
    .symbol:         _ZN12_GLOBAL__N_127rocblas_gemm_batched_kernelIfLi16ELi16ELi32ELi32ELi8ELi32ELi8ELi8ELi32ELc67ELc78EKPKfS3_KPfEEvlllT_PT11_llS8_llS6_PT12_llPT13_lli.kd
    .uniform_work_group_size: 1
    .uses_dynamic_stack: false
    .vgpr_count:     46
    .vgpr_spill_count: 0
    .wavefront_size: 32
    .workgroup_processor_mode: 1
  - .args:
      - .offset:         0
        .size:           8
        .value_kind:     by_value
      - .offset:         8
        .size:           8
        .value_kind:     by_value
      - .offset:         16
        .size:           8
        .value_kind:     by_value
      - .offset:         24
        .size:           4
        .value_kind:     by_value
      - .address_space:  global
        .offset:         32
        .size:           8
        .value_kind:     global_buffer
      - .offset:         40
        .size:           8
        .value_kind:     by_value
      - .offset:         48
        .size:           8
        .value_kind:     by_value
      - .address_space:  global
        .offset:         56
        .size:           8
        .value_kind:     global_buffer
      - .offset:         64
        .size:           8
        .value_kind:     by_value
      - .offset:         72
        .size:           8
        .value_kind:     by_value
      - .offset:         80
        .size:           4
        .value_kind:     by_value
      - .address_space:  global
        .offset:         88
        .size:           8
        .value_kind:     global_buffer
      - .offset:         96
        .size:           8
        .value_kind:     by_value
      - .offset:         104
        .size:           8
        .value_kind:     by_value
      - .address_space:  global
        .offset:         112
        .size:           8
        .value_kind:     global_buffer
      - .offset:         120
        .size:           8
        .value_kind:     by_value
      - .offset:         128
        .size:           8
        .value_kind:     by_value
      - .offset:         136
        .size:           4
        .value_kind:     by_value
    .group_segment_fixed_size: 2048
    .kernarg_segment_align: 8
    .kernarg_segment_size: 140
    .language:       OpenCL C
    .language_version:
      - 2
      - 0
    .max_flat_workgroup_size: 256
    .name:           _ZN12_GLOBAL__N_127rocblas_gemm_batched_kernelIfLi16ELi16ELi32ELi32ELi8ELi32ELi8ELi8ELi32ELc67ELc84EKPKfS3_KPfEEvlllT_PT11_llS8_llS6_PT12_llPT13_lli
    .private_segment_fixed_size: 0
    .sgpr_count:     38
    .sgpr_spill_count: 0
    .symbol:         _ZN12_GLOBAL__N_127rocblas_gemm_batched_kernelIfLi16ELi16ELi32ELi32ELi8ELi32ELi8ELi8ELi32ELc67ELc84EKPKfS3_KPfEEvlllT_PT11_llS8_llS6_PT12_llPT13_lli.kd
    .uniform_work_group_size: 1
    .uses_dynamic_stack: false
    .vgpr_count:     46
    .vgpr_spill_count: 0
    .wavefront_size: 32
    .workgroup_processor_mode: 1
  - .args:
      - .offset:         0
        .size:           8
        .value_kind:     by_value
      - .offset:         8
        .size:           8
        .value_kind:     by_value
      - .offset:         16
        .size:           8
        .value_kind:     by_value
      - .offset:         24
        .size:           4
        .value_kind:     by_value
      - .address_space:  global
        .offset:         32
        .size:           8
        .value_kind:     global_buffer
      - .offset:         40
        .size:           8
        .value_kind:     by_value
      - .offset:         48
        .size:           8
        .value_kind:     by_value
      - .address_space:  global
        .offset:         56
        .size:           8
        .value_kind:     global_buffer
      - .offset:         64
        .size:           8
        .value_kind:     by_value
      - .offset:         72
        .size:           8
        .value_kind:     by_value
      - .offset:         80
        .size:           4
        .value_kind:     by_value
      - .address_space:  global
        .offset:         88
        .size:           8
        .value_kind:     global_buffer
      - .offset:         96
        .size:           8
        .value_kind:     by_value
      - .offset:         104
        .size:           8
        .value_kind:     by_value
      - .address_space:  global
        .offset:         112
        .size:           8
        .value_kind:     global_buffer
      - .offset:         120
        .size:           8
        .value_kind:     by_value
      - .offset:         128
        .size:           8
        .value_kind:     by_value
      - .offset:         136
        .size:           4
        .value_kind:     by_value
    .group_segment_fixed_size: 2048
    .kernarg_segment_align: 8
    .kernarg_segment_size: 140
    .language:       OpenCL C
    .language_version:
      - 2
      - 0
    .max_flat_workgroup_size: 256
    .name:           _ZN12_GLOBAL__N_127rocblas_gemm_batched_kernelIfLi16ELi16ELi32ELi32ELi8ELi32ELi8ELi8ELi32ELc78ELc67EKPKfS3_KPfEEvlllT_PT11_llS8_llS6_PT12_llPT13_lli
    .private_segment_fixed_size: 0
    .sgpr_count:     38
    .sgpr_spill_count: 0
    .symbol:         _ZN12_GLOBAL__N_127rocblas_gemm_batched_kernelIfLi16ELi16ELi32ELi32ELi8ELi32ELi8ELi8ELi32ELc78ELc67EKPKfS3_KPfEEvlllT_PT11_llS8_llS6_PT12_llPT13_lli.kd
    .uniform_work_group_size: 1
    .uses_dynamic_stack: false
    .vgpr_count:     46
    .vgpr_spill_count: 0
    .wavefront_size: 32
    .workgroup_processor_mode: 1
  - .args:
      - .offset:         0
        .size:           8
        .value_kind:     by_value
      - .offset:         8
        .size:           8
        .value_kind:     by_value
      - .offset:         16
        .size:           8
        .value_kind:     by_value
      - .offset:         24
        .size:           4
        .value_kind:     by_value
      - .address_space:  global
        .offset:         32
        .size:           8
        .value_kind:     global_buffer
      - .offset:         40
        .size:           8
        .value_kind:     by_value
      - .offset:         48
        .size:           8
        .value_kind:     by_value
      - .address_space:  global
        .offset:         56
        .size:           8
        .value_kind:     global_buffer
      - .offset:         64
        .size:           8
        .value_kind:     by_value
      - .offset:         72
        .size:           8
        .value_kind:     by_value
      - .offset:         80
        .size:           4
        .value_kind:     by_value
      - .address_space:  global
        .offset:         88
        .size:           8
        .value_kind:     global_buffer
      - .offset:         96
        .size:           8
        .value_kind:     by_value
      - .offset:         104
        .size:           8
        .value_kind:     by_value
      - .address_space:  global
        .offset:         112
        .size:           8
        .value_kind:     global_buffer
      - .offset:         120
        .size:           8
        .value_kind:     by_value
      - .offset:         128
        .size:           8
        .value_kind:     by_value
      - .offset:         136
        .size:           4
        .value_kind:     by_value
    .group_segment_fixed_size: 2048
    .kernarg_segment_align: 8
    .kernarg_segment_size: 140
    .language:       OpenCL C
    .language_version:
      - 2
      - 0
    .max_flat_workgroup_size: 256
    .name:           _ZN12_GLOBAL__N_127rocblas_gemm_batched_kernelIfLi16ELi16ELi32ELi32ELi8ELi32ELi8ELi8ELi32ELc84ELc67EKPKfS3_KPfEEvlllT_PT11_llS8_llS6_PT12_llPT13_lli
    .private_segment_fixed_size: 0
    .sgpr_count:     38
    .sgpr_spill_count: 0
    .symbol:         _ZN12_GLOBAL__N_127rocblas_gemm_batched_kernelIfLi16ELi16ELi32ELi32ELi8ELi32ELi8ELi8ELi32ELc84ELc67EKPKfS3_KPfEEvlllT_PT11_llS8_llS6_PT12_llPT13_lli.kd
    .uniform_work_group_size: 1
    .uses_dynamic_stack: false
    .vgpr_count:     46
    .vgpr_spill_count: 0
    .wavefront_size: 32
    .workgroup_processor_mode: 1
  - .args:
      - .offset:         0
        .size:           8
        .value_kind:     by_value
      - .offset:         8
        .size:           8
        .value_kind:     by_value
      - .offset:         16
        .size:           8
        .value_kind:     by_value
      - .offset:         24
        .size:           4
        .value_kind:     by_value
      - .address_space:  global
        .offset:         32
        .size:           8
        .value_kind:     global_buffer
      - .offset:         40
        .size:           8
        .value_kind:     by_value
      - .offset:         48
        .size:           8
        .value_kind:     by_value
      - .address_space:  global
        .offset:         56
        .size:           8
        .value_kind:     global_buffer
      - .offset:         64
        .size:           8
        .value_kind:     by_value
      - .offset:         72
        .size:           8
        .value_kind:     by_value
      - .offset:         80
        .size:           4
        .value_kind:     by_value
      - .address_space:  global
        .offset:         88
        .size:           8
        .value_kind:     global_buffer
      - .offset:         96
        .size:           8
        .value_kind:     by_value
      - .offset:         104
        .size:           8
        .value_kind:     by_value
      - .address_space:  global
        .offset:         112
        .size:           8
        .value_kind:     global_buffer
      - .offset:         120
        .size:           8
        .value_kind:     by_value
      - .offset:         128
        .size:           8
        .value_kind:     by_value
      - .offset:         136
        .size:           4
        .value_kind:     by_value
    .group_segment_fixed_size: 2048
    .kernarg_segment_align: 8
    .kernarg_segment_size: 140
    .language:       OpenCL C
    .language_version:
      - 2
      - 0
    .max_flat_workgroup_size: 256
    .name:           _ZN12_GLOBAL__N_135rocblas_gemm_batched_general_kernelIfLi16ELi16ELi32ELi32ELi8ELi32ELi8ELi8ELi32ELc78ELc78EKPKfS3_KPfEEvlllT_PT11_llS8_llS6_PT12_llPT13_lli
    .private_segment_fixed_size: 0
    .sgpr_count:     46
    .sgpr_spill_count: 0
    .symbol:         _ZN12_GLOBAL__N_135rocblas_gemm_batched_general_kernelIfLi16ELi16ELi32ELi32ELi8ELi32ELi8ELi8ELi32ELc78ELc78EKPKfS3_KPfEEvlllT_PT11_llS8_llS6_PT12_llPT13_lli.kd
    .uniform_work_group_size: 1
    .uses_dynamic_stack: false
    .vgpr_count:     44
    .vgpr_spill_count: 0
    .wavefront_size: 32
    .workgroup_processor_mode: 1
  - .args:
      - .offset:         0
        .size:           8
        .value_kind:     by_value
      - .offset:         8
        .size:           8
        .value_kind:     by_value
      - .offset:         16
        .size:           8
        .value_kind:     by_value
      - .offset:         24
        .size:           4
        .value_kind:     by_value
      - .address_space:  global
        .offset:         32
        .size:           8
        .value_kind:     global_buffer
      - .offset:         40
        .size:           8
        .value_kind:     by_value
      - .offset:         48
        .size:           8
        .value_kind:     by_value
      - .address_space:  global
        .offset:         56
        .size:           8
        .value_kind:     global_buffer
      - .offset:         64
        .size:           8
        .value_kind:     by_value
      - .offset:         72
        .size:           8
        .value_kind:     by_value
      - .offset:         80
        .size:           4
        .value_kind:     by_value
      - .address_space:  global
        .offset:         88
        .size:           8
        .value_kind:     global_buffer
      - .offset:         96
        .size:           8
        .value_kind:     by_value
      - .offset:         104
        .size:           8
        .value_kind:     by_value
      - .address_space:  global
        .offset:         112
        .size:           8
        .value_kind:     global_buffer
      - .offset:         120
        .size:           8
        .value_kind:     by_value
      - .offset:         128
        .size:           8
        .value_kind:     by_value
      - .offset:         136
        .size:           4
        .value_kind:     by_value
    .group_segment_fixed_size: 2048
    .kernarg_segment_align: 8
    .kernarg_segment_size: 140
    .language:       OpenCL C
    .language_version:
      - 2
      - 0
    .max_flat_workgroup_size: 256
    .name:           _ZN12_GLOBAL__N_135rocblas_gemm_batched_general_kernelIfLi16ELi16ELi32ELi32ELi8ELi32ELi8ELi8ELi32ELc84ELc78EKPKfS3_KPfEEvlllT_PT11_llS8_llS6_PT12_llPT13_lli
    .private_segment_fixed_size: 0
    .sgpr_count:     42
    .sgpr_spill_count: 0
    .symbol:         _ZN12_GLOBAL__N_135rocblas_gemm_batched_general_kernelIfLi16ELi16ELi32ELi32ELi8ELi32ELi8ELi8ELi32ELc84ELc78EKPKfS3_KPfEEvlllT_PT11_llS8_llS6_PT12_llPT13_lli.kd
    .uniform_work_group_size: 1
    .uses_dynamic_stack: false
    .vgpr_count:     44
    .vgpr_spill_count: 0
    .wavefront_size: 32
    .workgroup_processor_mode: 1
  - .args:
      - .offset:         0
        .size:           8
        .value_kind:     by_value
      - .offset:         8
        .size:           8
        .value_kind:     by_value
      - .offset:         16
        .size:           8
        .value_kind:     by_value
      - .offset:         24
        .size:           4
        .value_kind:     by_value
      - .address_space:  global
        .offset:         32
        .size:           8
        .value_kind:     global_buffer
      - .offset:         40
        .size:           8
        .value_kind:     by_value
      - .offset:         48
        .size:           8
        .value_kind:     by_value
      - .address_space:  global
        .offset:         56
        .size:           8
        .value_kind:     global_buffer
      - .offset:         64
        .size:           8
        .value_kind:     by_value
      - .offset:         72
        .size:           8
        .value_kind:     by_value
      - .offset:         80
        .size:           4
        .value_kind:     by_value
      - .address_space:  global
        .offset:         88
        .size:           8
        .value_kind:     global_buffer
      - .offset:         96
        .size:           8
        .value_kind:     by_value
      - .offset:         104
        .size:           8
        .value_kind:     by_value
      - .address_space:  global
        .offset:         112
        .size:           8
        .value_kind:     global_buffer
      - .offset:         120
        .size:           8
        .value_kind:     by_value
      - .offset:         128
        .size:           8
        .value_kind:     by_value
      - .offset:         136
        .size:           4
        .value_kind:     by_value
    .group_segment_fixed_size: 2048
    .kernarg_segment_align: 8
    .kernarg_segment_size: 140
    .language:       OpenCL C
    .language_version:
      - 2
      - 0
    .max_flat_workgroup_size: 256
    .name:           _ZN12_GLOBAL__N_135rocblas_gemm_batched_general_kernelIfLi16ELi16ELi32ELi32ELi8ELi32ELi8ELi8ELi32ELc78ELc84EKPKfS3_KPfEEvlllT_PT11_llS8_llS6_PT12_llPT13_lli
    .private_segment_fixed_size: 0
    .sgpr_count:     48
    .sgpr_spill_count: 0
    .symbol:         _ZN12_GLOBAL__N_135rocblas_gemm_batched_general_kernelIfLi16ELi16ELi32ELi32ELi8ELi32ELi8ELi8ELi32ELc78ELc84EKPKfS3_KPfEEvlllT_PT11_llS8_llS6_PT12_llPT13_lli.kd
    .uniform_work_group_size: 1
    .uses_dynamic_stack: false
    .vgpr_count:     44
    .vgpr_spill_count: 0
    .wavefront_size: 32
    .workgroup_processor_mode: 1
  - .args:
      - .offset:         0
        .size:           8
        .value_kind:     by_value
      - .offset:         8
        .size:           8
        .value_kind:     by_value
      - .offset:         16
        .size:           8
        .value_kind:     by_value
      - .offset:         24
        .size:           4
        .value_kind:     by_value
      - .address_space:  global
        .offset:         32
        .size:           8
        .value_kind:     global_buffer
      - .offset:         40
        .size:           8
        .value_kind:     by_value
      - .offset:         48
        .size:           8
        .value_kind:     by_value
      - .address_space:  global
        .offset:         56
        .size:           8
        .value_kind:     global_buffer
      - .offset:         64
        .size:           8
        .value_kind:     by_value
      - .offset:         72
        .size:           8
        .value_kind:     by_value
      - .offset:         80
        .size:           4
        .value_kind:     by_value
      - .address_space:  global
        .offset:         88
        .size:           8
        .value_kind:     global_buffer
      - .offset:         96
        .size:           8
        .value_kind:     by_value
      - .offset:         104
        .size:           8
        .value_kind:     by_value
      - .address_space:  global
        .offset:         112
        .size:           8
        .value_kind:     global_buffer
      - .offset:         120
        .size:           8
        .value_kind:     by_value
      - .offset:         128
        .size:           8
        .value_kind:     by_value
      - .offset:         136
        .size:           4
        .value_kind:     by_value
    .group_segment_fixed_size: 2048
    .kernarg_segment_align: 8
    .kernarg_segment_size: 140
    .language:       OpenCL C
    .language_version:
      - 2
      - 0
    .max_flat_workgroup_size: 256
    .name:           _ZN12_GLOBAL__N_135rocblas_gemm_batched_general_kernelIfLi16ELi16ELi32ELi32ELi8ELi32ELi8ELi8ELi32ELc84ELc84EKPKfS3_KPfEEvlllT_PT11_llS8_llS6_PT12_llPT13_lli
    .private_segment_fixed_size: 0
    .sgpr_count:     46
    .sgpr_spill_count: 0
    .symbol:         _ZN12_GLOBAL__N_135rocblas_gemm_batched_general_kernelIfLi16ELi16ELi32ELi32ELi8ELi32ELi8ELi8ELi32ELc84ELc84EKPKfS3_KPfEEvlllT_PT11_llS8_llS6_PT12_llPT13_lli.kd
    .uniform_work_group_size: 1
    .uses_dynamic_stack: false
    .vgpr_count:     44
    .vgpr_spill_count: 0
    .wavefront_size: 32
    .workgroup_processor_mode: 1
  - .args:
      - .offset:         0
        .size:           8
        .value_kind:     by_value
      - .offset:         8
        .size:           8
        .value_kind:     by_value
      - .offset:         16
        .size:           8
        .value_kind:     by_value
      - .offset:         24
        .size:           4
        .value_kind:     by_value
      - .address_space:  global
        .offset:         32
        .size:           8
        .value_kind:     global_buffer
      - .offset:         40
        .size:           8
        .value_kind:     by_value
      - .offset:         48
        .size:           8
        .value_kind:     by_value
      - .address_space:  global
        .offset:         56
        .size:           8
        .value_kind:     global_buffer
      - .offset:         64
        .size:           8
        .value_kind:     by_value
      - .offset:         72
        .size:           8
        .value_kind:     by_value
      - .offset:         80
        .size:           4
        .value_kind:     by_value
      - .address_space:  global
        .offset:         88
        .size:           8
        .value_kind:     global_buffer
      - .offset:         96
        .size:           8
        .value_kind:     by_value
      - .offset:         104
        .size:           8
        .value_kind:     by_value
      - .address_space:  global
        .offset:         112
        .size:           8
        .value_kind:     global_buffer
      - .offset:         120
        .size:           8
        .value_kind:     by_value
      - .offset:         128
        .size:           8
        .value_kind:     by_value
      - .offset:         136
        .size:           4
        .value_kind:     by_value
    .group_segment_fixed_size: 2048
    .kernarg_segment_align: 8
    .kernarg_segment_size: 140
    .language:       OpenCL C
    .language_version:
      - 2
      - 0
    .max_flat_workgroup_size: 256
    .name:           _ZN12_GLOBAL__N_135rocblas_gemm_batched_general_kernelIfLi16ELi16ELi32ELi32ELi8ELi32ELi8ELi8ELi32ELc67ELc67EKPKfS3_KPfEEvlllT_PT11_llS8_llS6_PT12_llPT13_lli
    .private_segment_fixed_size: 0
    .sgpr_count:     46
    .sgpr_spill_count: 0
    .symbol:         _ZN12_GLOBAL__N_135rocblas_gemm_batched_general_kernelIfLi16ELi16ELi32ELi32ELi8ELi32ELi8ELi8ELi32ELc67ELc67EKPKfS3_KPfEEvlllT_PT11_llS8_llS6_PT12_llPT13_lli.kd
    .uniform_work_group_size: 1
    .uses_dynamic_stack: false
    .vgpr_count:     44
    .vgpr_spill_count: 0
    .wavefront_size: 32
    .workgroup_processor_mode: 1
  - .args:
      - .offset:         0
        .size:           8
        .value_kind:     by_value
      - .offset:         8
        .size:           8
        .value_kind:     by_value
      - .offset:         16
        .size:           8
        .value_kind:     by_value
      - .offset:         24
        .size:           4
        .value_kind:     by_value
      - .address_space:  global
        .offset:         32
        .size:           8
        .value_kind:     global_buffer
      - .offset:         40
        .size:           8
        .value_kind:     by_value
      - .offset:         48
        .size:           8
        .value_kind:     by_value
      - .address_space:  global
        .offset:         56
        .size:           8
        .value_kind:     global_buffer
      - .offset:         64
        .size:           8
        .value_kind:     by_value
      - .offset:         72
        .size:           8
        .value_kind:     by_value
      - .offset:         80
        .size:           4
        .value_kind:     by_value
      - .address_space:  global
        .offset:         88
        .size:           8
        .value_kind:     global_buffer
      - .offset:         96
        .size:           8
        .value_kind:     by_value
      - .offset:         104
        .size:           8
        .value_kind:     by_value
      - .address_space:  global
        .offset:         112
        .size:           8
        .value_kind:     global_buffer
      - .offset:         120
        .size:           8
        .value_kind:     by_value
      - .offset:         128
        .size:           8
        .value_kind:     by_value
      - .offset:         136
        .size:           4
        .value_kind:     by_value
    .group_segment_fixed_size: 2048
    .kernarg_segment_align: 8
    .kernarg_segment_size: 140
    .language:       OpenCL C
    .language_version:
      - 2
      - 0
    .max_flat_workgroup_size: 256
    .name:           _ZN12_GLOBAL__N_135rocblas_gemm_batched_general_kernelIfLi16ELi16ELi32ELi32ELi8ELi32ELi8ELi8ELi32ELc67ELc78EKPKfS3_KPfEEvlllT_PT11_llS8_llS6_PT12_llPT13_lli
    .private_segment_fixed_size: 0
    .sgpr_count:     42
    .sgpr_spill_count: 0
    .symbol:         _ZN12_GLOBAL__N_135rocblas_gemm_batched_general_kernelIfLi16ELi16ELi32ELi32ELi8ELi32ELi8ELi8ELi32ELc67ELc78EKPKfS3_KPfEEvlllT_PT11_llS8_llS6_PT12_llPT13_lli.kd
    .uniform_work_group_size: 1
    .uses_dynamic_stack: false
    .vgpr_count:     44
    .vgpr_spill_count: 0
    .wavefront_size: 32
    .workgroup_processor_mode: 1
  - .args:
      - .offset:         0
        .size:           8
        .value_kind:     by_value
      - .offset:         8
        .size:           8
        .value_kind:     by_value
      - .offset:         16
        .size:           8
        .value_kind:     by_value
      - .offset:         24
        .size:           4
        .value_kind:     by_value
      - .address_space:  global
        .offset:         32
        .size:           8
        .value_kind:     global_buffer
      - .offset:         40
        .size:           8
        .value_kind:     by_value
      - .offset:         48
        .size:           8
        .value_kind:     by_value
      - .address_space:  global
        .offset:         56
        .size:           8
        .value_kind:     global_buffer
      - .offset:         64
        .size:           8
        .value_kind:     by_value
      - .offset:         72
        .size:           8
        .value_kind:     by_value
      - .offset:         80
        .size:           4
        .value_kind:     by_value
      - .address_space:  global
        .offset:         88
        .size:           8
        .value_kind:     global_buffer
      - .offset:         96
        .size:           8
        .value_kind:     by_value
      - .offset:         104
        .size:           8
        .value_kind:     by_value
      - .address_space:  global
        .offset:         112
        .size:           8
        .value_kind:     global_buffer
      - .offset:         120
        .size:           8
        .value_kind:     by_value
      - .offset:         128
        .size:           8
        .value_kind:     by_value
      - .offset:         136
        .size:           4
        .value_kind:     by_value
    .group_segment_fixed_size: 2048
    .kernarg_segment_align: 8
    .kernarg_segment_size: 140
    .language:       OpenCL C
    .language_version:
      - 2
      - 0
    .max_flat_workgroup_size: 256
    .name:           _ZN12_GLOBAL__N_135rocblas_gemm_batched_general_kernelIfLi16ELi16ELi32ELi32ELi8ELi32ELi8ELi8ELi32ELc67ELc84EKPKfS3_KPfEEvlllT_PT11_llS8_llS6_PT12_llPT13_lli
    .private_segment_fixed_size: 0
    .sgpr_count:     46
    .sgpr_spill_count: 0
    .symbol:         _ZN12_GLOBAL__N_135rocblas_gemm_batched_general_kernelIfLi16ELi16ELi32ELi32ELi8ELi32ELi8ELi8ELi32ELc67ELc84EKPKfS3_KPfEEvlllT_PT11_llS8_llS6_PT12_llPT13_lli.kd
    .uniform_work_group_size: 1
    .uses_dynamic_stack: false
    .vgpr_count:     44
    .vgpr_spill_count: 0
    .wavefront_size: 32
    .workgroup_processor_mode: 1
  - .args:
      - .offset:         0
        .size:           8
        .value_kind:     by_value
      - .offset:         8
        .size:           8
        .value_kind:     by_value
      - .offset:         16
        .size:           8
        .value_kind:     by_value
      - .offset:         24
        .size:           4
        .value_kind:     by_value
      - .address_space:  global
        .offset:         32
        .size:           8
        .value_kind:     global_buffer
      - .offset:         40
        .size:           8
        .value_kind:     by_value
      - .offset:         48
        .size:           8
        .value_kind:     by_value
      - .address_space:  global
        .offset:         56
        .size:           8
        .value_kind:     global_buffer
      - .offset:         64
        .size:           8
        .value_kind:     by_value
      - .offset:         72
        .size:           8
        .value_kind:     by_value
      - .offset:         80
        .size:           4
        .value_kind:     by_value
      - .address_space:  global
        .offset:         88
        .size:           8
        .value_kind:     global_buffer
      - .offset:         96
        .size:           8
        .value_kind:     by_value
      - .offset:         104
        .size:           8
        .value_kind:     by_value
      - .address_space:  global
        .offset:         112
        .size:           8
        .value_kind:     global_buffer
      - .offset:         120
        .size:           8
        .value_kind:     by_value
      - .offset:         128
        .size:           8
        .value_kind:     by_value
      - .offset:         136
        .size:           4
        .value_kind:     by_value
    .group_segment_fixed_size: 2048
    .kernarg_segment_align: 8
    .kernarg_segment_size: 140
    .language:       OpenCL C
    .language_version:
      - 2
      - 0
    .max_flat_workgroup_size: 256
    .name:           _ZN12_GLOBAL__N_135rocblas_gemm_batched_general_kernelIfLi16ELi16ELi32ELi32ELi8ELi32ELi8ELi8ELi32ELc78ELc67EKPKfS3_KPfEEvlllT_PT11_llS8_llS6_PT12_llPT13_lli
    .private_segment_fixed_size: 0
    .sgpr_count:     48
    .sgpr_spill_count: 0
    .symbol:         _ZN12_GLOBAL__N_135rocblas_gemm_batched_general_kernelIfLi16ELi16ELi32ELi32ELi8ELi32ELi8ELi8ELi32ELc78ELc67EKPKfS3_KPfEEvlllT_PT11_llS8_llS6_PT12_llPT13_lli.kd
    .uniform_work_group_size: 1
    .uses_dynamic_stack: false
    .vgpr_count:     44
    .vgpr_spill_count: 0
    .wavefront_size: 32
    .workgroup_processor_mode: 1
  - .args:
      - .offset:         0
        .size:           8
        .value_kind:     by_value
      - .offset:         8
        .size:           8
        .value_kind:     by_value
      - .offset:         16
        .size:           8
        .value_kind:     by_value
      - .offset:         24
        .size:           4
        .value_kind:     by_value
      - .address_space:  global
        .offset:         32
        .size:           8
        .value_kind:     global_buffer
      - .offset:         40
        .size:           8
        .value_kind:     by_value
      - .offset:         48
        .size:           8
        .value_kind:     by_value
      - .address_space:  global
        .offset:         56
        .size:           8
        .value_kind:     global_buffer
      - .offset:         64
        .size:           8
        .value_kind:     by_value
      - .offset:         72
        .size:           8
        .value_kind:     by_value
      - .offset:         80
        .size:           4
        .value_kind:     by_value
      - .address_space:  global
        .offset:         88
        .size:           8
        .value_kind:     global_buffer
      - .offset:         96
        .size:           8
        .value_kind:     by_value
      - .offset:         104
        .size:           8
        .value_kind:     by_value
      - .address_space:  global
        .offset:         112
        .size:           8
        .value_kind:     global_buffer
      - .offset:         120
        .size:           8
        .value_kind:     by_value
      - .offset:         128
        .size:           8
        .value_kind:     by_value
      - .offset:         136
        .size:           4
        .value_kind:     by_value
    .group_segment_fixed_size: 2048
    .kernarg_segment_align: 8
    .kernarg_segment_size: 140
    .language:       OpenCL C
    .language_version:
      - 2
      - 0
    .max_flat_workgroup_size: 256
    .name:           _ZN12_GLOBAL__N_135rocblas_gemm_batched_general_kernelIfLi16ELi16ELi32ELi32ELi8ELi32ELi8ELi8ELi32ELc84ELc67EKPKfS3_KPfEEvlllT_PT11_llS8_llS6_PT12_llPT13_lli
    .private_segment_fixed_size: 0
    .sgpr_count:     46
    .sgpr_spill_count: 0
    .symbol:         _ZN12_GLOBAL__N_135rocblas_gemm_batched_general_kernelIfLi16ELi16ELi32ELi32ELi8ELi32ELi8ELi8ELi32ELc84ELc67EKPKfS3_KPfEEvlllT_PT11_llS8_llS6_PT12_llPT13_lli.kd
    .uniform_work_group_size: 1
    .uses_dynamic_stack: false
    .vgpr_count:     44
    .vgpr_spill_count: 0
    .wavefront_size: 32
    .workgroup_processor_mode: 1
  - .args:
      - .offset:         0
        .size:           4
        .value_kind:     by_value
      - .offset:         4
        .size:           4
        .value_kind:     by_value
      - .offset:         8
        .size:           2
        .value_kind:     by_value
      - .address_space:  global
        .offset:         16
        .size:           8
        .value_kind:     global_buffer
      - .offset:         24
        .size:           8
        .value_kind:     by_value
      - .offset:         32
        .size:           8
        .value_kind:     by_value
      - .offset:         40
        .size:           8
        .value_kind:     by_value
      - .address_space:  global
        .offset:         48
        .size:           8
        .value_kind:     global_buffer
      - .offset:         56
        .size:           8
        .value_kind:     by_value
      - .offset:         64
        .size:           8
        .value_kind:     by_value
      - .offset:         72
        .size:           8
        .value_kind:     by_value
      - .offset:         80
        .size:           4
        .value_kind:     by_value
    .group_segment_fixed_size: 0
    .kernarg_segment_align: 8
    .kernarg_segment_size: 84
    .language:       OpenCL C
    .language_version:
      - 2
      - 0
    .max_flat_workgroup_size: 1024
    .name:           _ZN12_GLOBAL__N_120gemm_ex_scale_kernelILi32ELi32EDF16_PKPKDF16_PKPDF16_EEviiT1_T2_lllT3_llli
    .private_segment_fixed_size: 0
    .sgpr_count:     22
    .sgpr_spill_count: 0
    .symbol:         _ZN12_GLOBAL__N_120gemm_ex_scale_kernelILi32ELi32EDF16_PKPKDF16_PKPDF16_EEviiT1_T2_lllT3_llli.kd
    .uniform_work_group_size: 1
    .uses_dynamic_stack: false
    .vgpr_count:     8
    .vgpr_spill_count: 0
    .wavefront_size: 32
    .workgroup_processor_mode: 1
  - .args:
      - .offset:         0
        .size:           8
        .value_kind:     by_value
      - .offset:         8
        .size:           8
        .value_kind:     by_value
      - .offset:         16
        .size:           8
        .value_kind:     by_value
      - .offset:         24
        .size:           2
        .value_kind:     by_value
      - .address_space:  global
        .offset:         32
        .size:           8
        .value_kind:     global_buffer
      - .offset:         40
        .size:           8
        .value_kind:     by_value
      - .offset:         48
        .size:           8
        .value_kind:     by_value
      - .address_space:  global
        .offset:         56
        .size:           8
        .value_kind:     global_buffer
      - .offset:         64
        .size:           8
        .value_kind:     by_value
      - .offset:         72
        .size:           8
        .value_kind:     by_value
      - .offset:         80
        .size:           2
        .value_kind:     by_value
      - .address_space:  global
        .offset:         88
        .size:           8
        .value_kind:     global_buffer
      - .offset:         96
        .size:           8
        .value_kind:     by_value
      - .offset:         104
        .size:           8
        .value_kind:     by_value
      - .address_space:  global
        .offset:         112
        .size:           8
        .value_kind:     global_buffer
      - .offset:         120
        .size:           8
        .value_kind:     by_value
      - .offset:         128
        .size:           8
        .value_kind:     by_value
      - .offset:         136
        .size:           4
        .value_kind:     by_value
    .group_segment_fixed_size: 1024
    .kernarg_segment_align: 8
    .kernarg_segment_size: 140
    .language:       OpenCL C
    .language_version:
      - 2
      - 0
    .max_flat_workgroup_size: 256
    .name:           _ZN12_GLOBAL__N_127rocblas_gemm_batched_kernelIDF16_Li16ELi16ELi64ELi64ELi4ELi64ELi4ELi4ELi64ELc78ELc78EKPKDF16_S3_KPDF16_EEvlllT_PT11_llS8_llS6_PT12_llPT13_lli
    .private_segment_fixed_size: 0
    .sgpr_count:     38
    .sgpr_spill_count: 0
    .symbol:         _ZN12_GLOBAL__N_127rocblas_gemm_batched_kernelIDF16_Li16ELi16ELi64ELi64ELi4ELi64ELi4ELi4ELi64ELc78ELc78EKPKDF16_S3_KPDF16_EEvlllT_PT11_llS8_llS6_PT12_llPT13_lli.kd
    .uniform_work_group_size: 1
    .uses_dynamic_stack: false
    .vgpr_count:     36
    .vgpr_spill_count: 0
    .wavefront_size: 32
    .workgroup_processor_mode: 1
  - .args:
      - .offset:         0
        .size:           8
        .value_kind:     by_value
      - .offset:         8
        .size:           8
        .value_kind:     by_value
      - .offset:         16
        .size:           8
        .value_kind:     by_value
      - .offset:         24
        .size:           2
        .value_kind:     by_value
      - .address_space:  global
        .offset:         32
        .size:           8
        .value_kind:     global_buffer
      - .offset:         40
        .size:           8
        .value_kind:     by_value
      - .offset:         48
        .size:           8
        .value_kind:     by_value
      - .address_space:  global
        .offset:         56
        .size:           8
        .value_kind:     global_buffer
      - .offset:         64
        .size:           8
        .value_kind:     by_value
      - .offset:         72
        .size:           8
        .value_kind:     by_value
      - .offset:         80
        .size:           2
        .value_kind:     by_value
      - .address_space:  global
        .offset:         88
        .size:           8
        .value_kind:     global_buffer
      - .offset:         96
        .size:           8
        .value_kind:     by_value
      - .offset:         104
        .size:           8
        .value_kind:     by_value
      - .address_space:  global
        .offset:         112
        .size:           8
        .value_kind:     global_buffer
      - .offset:         120
        .size:           8
        .value_kind:     by_value
      - .offset:         128
        .size:           8
        .value_kind:     by_value
      - .offset:         136
        .size:           4
        .value_kind:     by_value
    .group_segment_fixed_size: 1024
    .kernarg_segment_align: 8
    .kernarg_segment_size: 140
    .language:       OpenCL C
    .language_version:
      - 2
      - 0
    .max_flat_workgroup_size: 256
    .name:           _ZN12_GLOBAL__N_127rocblas_gemm_batched_kernelIDF16_Li16ELi16ELi64ELi64ELi4ELi64ELi4ELi4ELi64ELc84ELc78EKPKDF16_S3_KPDF16_EEvlllT_PT11_llS8_llS6_PT12_llPT13_lli
    .private_segment_fixed_size: 0
    .sgpr_count:     38
    .sgpr_spill_count: 0
    .symbol:         _ZN12_GLOBAL__N_127rocblas_gemm_batched_kernelIDF16_Li16ELi16ELi64ELi64ELi4ELi64ELi4ELi4ELi64ELc84ELc78EKPKDF16_S3_KPDF16_EEvlllT_PT11_llS8_llS6_PT12_llPT13_lli.kd
    .uniform_work_group_size: 1
    .uses_dynamic_stack: false
    .vgpr_count:     36
    .vgpr_spill_count: 0
    .wavefront_size: 32
    .workgroup_processor_mode: 1
  - .args:
      - .offset:         0
        .size:           8
        .value_kind:     by_value
      - .offset:         8
        .size:           8
        .value_kind:     by_value
      - .offset:         16
        .size:           8
        .value_kind:     by_value
      - .offset:         24
        .size:           2
        .value_kind:     by_value
      - .address_space:  global
        .offset:         32
        .size:           8
        .value_kind:     global_buffer
      - .offset:         40
        .size:           8
        .value_kind:     by_value
      - .offset:         48
        .size:           8
        .value_kind:     by_value
      - .address_space:  global
        .offset:         56
        .size:           8
        .value_kind:     global_buffer
      - .offset:         64
        .size:           8
        .value_kind:     by_value
      - .offset:         72
        .size:           8
        .value_kind:     by_value
      - .offset:         80
        .size:           2
        .value_kind:     by_value
      - .address_space:  global
        .offset:         88
        .size:           8
        .value_kind:     global_buffer
      - .offset:         96
        .size:           8
        .value_kind:     by_value
      - .offset:         104
        .size:           8
        .value_kind:     by_value
      - .address_space:  global
        .offset:         112
        .size:           8
        .value_kind:     global_buffer
      - .offset:         120
        .size:           8
        .value_kind:     by_value
      - .offset:         128
        .size:           8
        .value_kind:     by_value
      - .offset:         136
        .size:           4
        .value_kind:     by_value
    .group_segment_fixed_size: 1024
    .kernarg_segment_align: 8
    .kernarg_segment_size: 140
    .language:       OpenCL C
    .language_version:
      - 2
      - 0
    .max_flat_workgroup_size: 256
    .name:           _ZN12_GLOBAL__N_127rocblas_gemm_batched_kernelIDF16_Li16ELi16ELi64ELi64ELi4ELi64ELi4ELi4ELi64ELc78ELc84EKPKDF16_S3_KPDF16_EEvlllT_PT11_llS8_llS6_PT12_llPT13_lli
    .private_segment_fixed_size: 0
    .sgpr_count:     38
    .sgpr_spill_count: 0
    .symbol:         _ZN12_GLOBAL__N_127rocblas_gemm_batched_kernelIDF16_Li16ELi16ELi64ELi64ELi4ELi64ELi4ELi4ELi64ELc78ELc84EKPKDF16_S3_KPDF16_EEvlllT_PT11_llS8_llS6_PT12_llPT13_lli.kd
    .uniform_work_group_size: 1
    .uses_dynamic_stack: false
    .vgpr_count:     36
    .vgpr_spill_count: 0
    .wavefront_size: 32
    .workgroup_processor_mode: 1
  - .args:
      - .offset:         0
        .size:           8
        .value_kind:     by_value
      - .offset:         8
        .size:           8
        .value_kind:     by_value
      - .offset:         16
        .size:           8
        .value_kind:     by_value
      - .offset:         24
        .size:           2
        .value_kind:     by_value
      - .address_space:  global
        .offset:         32
        .size:           8
        .value_kind:     global_buffer
      - .offset:         40
        .size:           8
        .value_kind:     by_value
      - .offset:         48
        .size:           8
        .value_kind:     by_value
      - .address_space:  global
        .offset:         56
        .size:           8
        .value_kind:     global_buffer
      - .offset:         64
        .size:           8
        .value_kind:     by_value
      - .offset:         72
        .size:           8
        .value_kind:     by_value
      - .offset:         80
        .size:           2
        .value_kind:     by_value
      - .address_space:  global
        .offset:         88
        .size:           8
        .value_kind:     global_buffer
      - .offset:         96
        .size:           8
        .value_kind:     by_value
      - .offset:         104
        .size:           8
        .value_kind:     by_value
      - .address_space:  global
        .offset:         112
        .size:           8
        .value_kind:     global_buffer
      - .offset:         120
        .size:           8
        .value_kind:     by_value
      - .offset:         128
        .size:           8
        .value_kind:     by_value
      - .offset:         136
        .size:           4
        .value_kind:     by_value
    .group_segment_fixed_size: 1024
    .kernarg_segment_align: 8
    .kernarg_segment_size: 140
    .language:       OpenCL C
    .language_version:
      - 2
      - 0
    .max_flat_workgroup_size: 256
    .name:           _ZN12_GLOBAL__N_127rocblas_gemm_batched_kernelIDF16_Li16ELi16ELi64ELi64ELi4ELi64ELi4ELi4ELi64ELc84ELc84EKPKDF16_S3_KPDF16_EEvlllT_PT11_llS8_llS6_PT12_llPT13_lli
    .private_segment_fixed_size: 0
    .sgpr_count:     38
    .sgpr_spill_count: 0
    .symbol:         _ZN12_GLOBAL__N_127rocblas_gemm_batched_kernelIDF16_Li16ELi16ELi64ELi64ELi4ELi64ELi4ELi4ELi64ELc84ELc84EKPKDF16_S3_KPDF16_EEvlllT_PT11_llS8_llS6_PT12_llPT13_lli.kd
    .uniform_work_group_size: 1
    .uses_dynamic_stack: false
    .vgpr_count:     36
    .vgpr_spill_count: 0
    .wavefront_size: 32
    .workgroup_processor_mode: 1
  - .args:
      - .offset:         0
        .size:           8
        .value_kind:     by_value
      - .offset:         8
        .size:           8
        .value_kind:     by_value
      - .offset:         16
        .size:           8
        .value_kind:     by_value
      - .offset:         24
        .size:           2
        .value_kind:     by_value
      - .address_space:  global
        .offset:         32
        .size:           8
        .value_kind:     global_buffer
      - .offset:         40
        .size:           8
        .value_kind:     by_value
      - .offset:         48
        .size:           8
        .value_kind:     by_value
      - .address_space:  global
        .offset:         56
        .size:           8
        .value_kind:     global_buffer
      - .offset:         64
        .size:           8
        .value_kind:     by_value
      - .offset:         72
        .size:           8
        .value_kind:     by_value
      - .offset:         80
        .size:           2
        .value_kind:     by_value
      - .address_space:  global
        .offset:         88
        .size:           8
        .value_kind:     global_buffer
      - .offset:         96
        .size:           8
        .value_kind:     by_value
      - .offset:         104
        .size:           8
        .value_kind:     by_value
      - .address_space:  global
        .offset:         112
        .size:           8
        .value_kind:     global_buffer
      - .offset:         120
        .size:           8
        .value_kind:     by_value
      - .offset:         128
        .size:           8
        .value_kind:     by_value
      - .offset:         136
        .size:           4
        .value_kind:     by_value
    .group_segment_fixed_size: 1024
    .kernarg_segment_align: 8
    .kernarg_segment_size: 140
    .language:       OpenCL C
    .language_version:
      - 2
      - 0
    .max_flat_workgroup_size: 256
    .name:           _ZN12_GLOBAL__N_127rocblas_gemm_batched_kernelIDF16_Li16ELi16ELi64ELi64ELi4ELi64ELi4ELi4ELi64ELc67ELc67EKPKDF16_S3_KPDF16_EEvlllT_PT11_llS8_llS6_PT12_llPT13_lli
    .private_segment_fixed_size: 0
    .sgpr_count:     38
    .sgpr_spill_count: 0
    .symbol:         _ZN12_GLOBAL__N_127rocblas_gemm_batched_kernelIDF16_Li16ELi16ELi64ELi64ELi4ELi64ELi4ELi4ELi64ELc67ELc67EKPKDF16_S3_KPDF16_EEvlllT_PT11_llS8_llS6_PT12_llPT13_lli.kd
    .uniform_work_group_size: 1
    .uses_dynamic_stack: false
    .vgpr_count:     36
    .vgpr_spill_count: 0
    .wavefront_size: 32
    .workgroup_processor_mode: 1
  - .args:
      - .offset:         0
        .size:           8
        .value_kind:     by_value
      - .offset:         8
        .size:           8
        .value_kind:     by_value
      - .offset:         16
        .size:           8
        .value_kind:     by_value
      - .offset:         24
        .size:           2
        .value_kind:     by_value
      - .address_space:  global
        .offset:         32
        .size:           8
        .value_kind:     global_buffer
      - .offset:         40
        .size:           8
        .value_kind:     by_value
      - .offset:         48
        .size:           8
        .value_kind:     by_value
      - .address_space:  global
        .offset:         56
        .size:           8
        .value_kind:     global_buffer
      - .offset:         64
        .size:           8
        .value_kind:     by_value
      - .offset:         72
        .size:           8
        .value_kind:     by_value
      - .offset:         80
        .size:           2
        .value_kind:     by_value
      - .address_space:  global
        .offset:         88
        .size:           8
        .value_kind:     global_buffer
      - .offset:         96
        .size:           8
        .value_kind:     by_value
      - .offset:         104
        .size:           8
        .value_kind:     by_value
      - .address_space:  global
        .offset:         112
        .size:           8
        .value_kind:     global_buffer
      - .offset:         120
        .size:           8
        .value_kind:     by_value
      - .offset:         128
        .size:           8
        .value_kind:     by_value
      - .offset:         136
        .size:           4
        .value_kind:     by_value
    .group_segment_fixed_size: 1024
    .kernarg_segment_align: 8
    .kernarg_segment_size: 140
    .language:       OpenCL C
    .language_version:
      - 2
      - 0
    .max_flat_workgroup_size: 256
    .name:           _ZN12_GLOBAL__N_127rocblas_gemm_batched_kernelIDF16_Li16ELi16ELi64ELi64ELi4ELi64ELi4ELi4ELi64ELc67ELc78EKPKDF16_S3_KPDF16_EEvlllT_PT11_llS8_llS6_PT12_llPT13_lli
    .private_segment_fixed_size: 0
    .sgpr_count:     38
    .sgpr_spill_count: 0
    .symbol:         _ZN12_GLOBAL__N_127rocblas_gemm_batched_kernelIDF16_Li16ELi16ELi64ELi64ELi4ELi64ELi4ELi4ELi64ELc67ELc78EKPKDF16_S3_KPDF16_EEvlllT_PT11_llS8_llS6_PT12_llPT13_lli.kd
    .uniform_work_group_size: 1
    .uses_dynamic_stack: false
    .vgpr_count:     36
    .vgpr_spill_count: 0
    .wavefront_size: 32
    .workgroup_processor_mode: 1
  - .args:
      - .offset:         0
        .size:           8
        .value_kind:     by_value
      - .offset:         8
        .size:           8
        .value_kind:     by_value
      - .offset:         16
        .size:           8
        .value_kind:     by_value
      - .offset:         24
        .size:           2
        .value_kind:     by_value
      - .address_space:  global
        .offset:         32
        .size:           8
        .value_kind:     global_buffer
      - .offset:         40
        .size:           8
        .value_kind:     by_value
      - .offset:         48
        .size:           8
        .value_kind:     by_value
      - .address_space:  global
        .offset:         56
        .size:           8
        .value_kind:     global_buffer
      - .offset:         64
        .size:           8
        .value_kind:     by_value
      - .offset:         72
        .size:           8
        .value_kind:     by_value
      - .offset:         80
        .size:           2
        .value_kind:     by_value
      - .address_space:  global
        .offset:         88
        .size:           8
        .value_kind:     global_buffer
      - .offset:         96
        .size:           8
        .value_kind:     by_value
      - .offset:         104
        .size:           8
        .value_kind:     by_value
      - .address_space:  global
        .offset:         112
        .size:           8
        .value_kind:     global_buffer
      - .offset:         120
        .size:           8
        .value_kind:     by_value
      - .offset:         128
        .size:           8
        .value_kind:     by_value
      - .offset:         136
        .size:           4
        .value_kind:     by_value
    .group_segment_fixed_size: 1024
    .kernarg_segment_align: 8
    .kernarg_segment_size: 140
    .language:       OpenCL C
    .language_version:
      - 2
      - 0
    .max_flat_workgroup_size: 256
    .name:           _ZN12_GLOBAL__N_127rocblas_gemm_batched_kernelIDF16_Li16ELi16ELi64ELi64ELi4ELi64ELi4ELi4ELi64ELc67ELc84EKPKDF16_S3_KPDF16_EEvlllT_PT11_llS8_llS6_PT12_llPT13_lli
    .private_segment_fixed_size: 0
    .sgpr_count:     38
    .sgpr_spill_count: 0
    .symbol:         _ZN12_GLOBAL__N_127rocblas_gemm_batched_kernelIDF16_Li16ELi16ELi64ELi64ELi4ELi64ELi4ELi4ELi64ELc67ELc84EKPKDF16_S3_KPDF16_EEvlllT_PT11_llS8_llS6_PT12_llPT13_lli.kd
    .uniform_work_group_size: 1
    .uses_dynamic_stack: false
    .vgpr_count:     36
    .vgpr_spill_count: 0
    .wavefront_size: 32
    .workgroup_processor_mode: 1
  - .args:
      - .offset:         0
        .size:           8
        .value_kind:     by_value
      - .offset:         8
        .size:           8
        .value_kind:     by_value
      - .offset:         16
        .size:           8
        .value_kind:     by_value
      - .offset:         24
        .size:           2
        .value_kind:     by_value
      - .address_space:  global
        .offset:         32
        .size:           8
        .value_kind:     global_buffer
      - .offset:         40
        .size:           8
        .value_kind:     by_value
      - .offset:         48
        .size:           8
        .value_kind:     by_value
      - .address_space:  global
        .offset:         56
        .size:           8
        .value_kind:     global_buffer
      - .offset:         64
        .size:           8
        .value_kind:     by_value
      - .offset:         72
        .size:           8
        .value_kind:     by_value
      - .offset:         80
        .size:           2
        .value_kind:     by_value
      - .address_space:  global
        .offset:         88
        .size:           8
        .value_kind:     global_buffer
      - .offset:         96
        .size:           8
        .value_kind:     by_value
      - .offset:         104
        .size:           8
        .value_kind:     by_value
      - .address_space:  global
        .offset:         112
        .size:           8
        .value_kind:     global_buffer
      - .offset:         120
        .size:           8
        .value_kind:     by_value
      - .offset:         128
        .size:           8
        .value_kind:     by_value
      - .offset:         136
        .size:           4
        .value_kind:     by_value
    .group_segment_fixed_size: 1024
    .kernarg_segment_align: 8
    .kernarg_segment_size: 140
    .language:       OpenCL C
    .language_version:
      - 2
      - 0
    .max_flat_workgroup_size: 256
    .name:           _ZN12_GLOBAL__N_127rocblas_gemm_batched_kernelIDF16_Li16ELi16ELi64ELi64ELi4ELi64ELi4ELi4ELi64ELc78ELc67EKPKDF16_S3_KPDF16_EEvlllT_PT11_llS8_llS6_PT12_llPT13_lli
    .private_segment_fixed_size: 0
    .sgpr_count:     38
    .sgpr_spill_count: 0
    .symbol:         _ZN12_GLOBAL__N_127rocblas_gemm_batched_kernelIDF16_Li16ELi16ELi64ELi64ELi4ELi64ELi4ELi4ELi64ELc78ELc67EKPKDF16_S3_KPDF16_EEvlllT_PT11_llS8_llS6_PT12_llPT13_lli.kd
    .uniform_work_group_size: 1
    .uses_dynamic_stack: false
    .vgpr_count:     36
    .vgpr_spill_count: 0
    .wavefront_size: 32
    .workgroup_processor_mode: 1
  - .args:
      - .offset:         0
        .size:           8
        .value_kind:     by_value
      - .offset:         8
        .size:           8
        .value_kind:     by_value
      - .offset:         16
        .size:           8
        .value_kind:     by_value
      - .offset:         24
        .size:           2
        .value_kind:     by_value
      - .address_space:  global
        .offset:         32
        .size:           8
        .value_kind:     global_buffer
      - .offset:         40
        .size:           8
        .value_kind:     by_value
      - .offset:         48
        .size:           8
        .value_kind:     by_value
      - .address_space:  global
        .offset:         56
        .size:           8
        .value_kind:     global_buffer
      - .offset:         64
        .size:           8
        .value_kind:     by_value
      - .offset:         72
        .size:           8
        .value_kind:     by_value
      - .offset:         80
        .size:           2
        .value_kind:     by_value
      - .address_space:  global
        .offset:         88
        .size:           8
        .value_kind:     global_buffer
      - .offset:         96
        .size:           8
        .value_kind:     by_value
      - .offset:         104
        .size:           8
        .value_kind:     by_value
      - .address_space:  global
        .offset:         112
        .size:           8
        .value_kind:     global_buffer
      - .offset:         120
        .size:           8
        .value_kind:     by_value
      - .offset:         128
        .size:           8
        .value_kind:     by_value
      - .offset:         136
        .size:           4
        .value_kind:     by_value
    .group_segment_fixed_size: 1024
    .kernarg_segment_align: 8
    .kernarg_segment_size: 140
    .language:       OpenCL C
    .language_version:
      - 2
      - 0
    .max_flat_workgroup_size: 256
    .name:           _ZN12_GLOBAL__N_127rocblas_gemm_batched_kernelIDF16_Li16ELi16ELi64ELi64ELi4ELi64ELi4ELi4ELi64ELc84ELc67EKPKDF16_S3_KPDF16_EEvlllT_PT11_llS8_llS6_PT12_llPT13_lli
    .private_segment_fixed_size: 0
    .sgpr_count:     38
    .sgpr_spill_count: 0
    .symbol:         _ZN12_GLOBAL__N_127rocblas_gemm_batched_kernelIDF16_Li16ELi16ELi64ELi64ELi4ELi64ELi4ELi4ELi64ELc84ELc67EKPKDF16_S3_KPDF16_EEvlllT_PT11_llS8_llS6_PT12_llPT13_lli.kd
    .uniform_work_group_size: 1
    .uses_dynamic_stack: false
    .vgpr_count:     36
    .vgpr_spill_count: 0
    .wavefront_size: 32
    .workgroup_processor_mode: 1
  - .args:
      - .offset:         0
        .size:           8
        .value_kind:     by_value
      - .offset:         8
        .size:           8
        .value_kind:     by_value
      - .offset:         16
        .size:           8
        .value_kind:     by_value
      - .offset:         24
        .size:           2
        .value_kind:     by_value
      - .address_space:  global
        .offset:         32
        .size:           8
        .value_kind:     global_buffer
      - .offset:         40
        .size:           8
        .value_kind:     by_value
      - .offset:         48
        .size:           8
        .value_kind:     by_value
      - .address_space:  global
        .offset:         56
        .size:           8
        .value_kind:     global_buffer
      - .offset:         64
        .size:           8
        .value_kind:     by_value
      - .offset:         72
        .size:           8
        .value_kind:     by_value
      - .offset:         80
        .size:           2
        .value_kind:     by_value
      - .address_space:  global
        .offset:         88
        .size:           8
        .value_kind:     global_buffer
      - .offset:         96
        .size:           8
        .value_kind:     by_value
      - .offset:         104
        .size:           8
        .value_kind:     by_value
      - .address_space:  global
        .offset:         112
        .size:           8
        .value_kind:     global_buffer
      - .offset:         120
        .size:           8
        .value_kind:     by_value
      - .offset:         128
        .size:           8
        .value_kind:     by_value
      - .offset:         136
        .size:           4
        .value_kind:     by_value
    .group_segment_fixed_size: 1024
    .kernarg_segment_align: 8
    .kernarg_segment_size: 140
    .language:       OpenCL C
    .language_version:
      - 2
      - 0
    .max_flat_workgroup_size: 256
    .name:           _ZN12_GLOBAL__N_127rocblas_gemm_batched_kernelIDF16_Li16ELi16ELi32ELi32ELi8ELi32ELi8ELi8ELi32ELc78ELc78EKPKDF16_S3_KPDF16_EEvlllT_PT11_llS8_llS6_PT12_llPT13_lli
    .private_segment_fixed_size: 0
    .sgpr_count:     38
    .sgpr_spill_count: 0
    .symbol:         _ZN12_GLOBAL__N_127rocblas_gemm_batched_kernelIDF16_Li16ELi16ELi32ELi32ELi8ELi32ELi8ELi8ELi32ELc78ELc78EKPKDF16_S3_KPDF16_EEvlllT_PT11_llS8_llS6_PT12_llPT13_lli.kd
    .uniform_work_group_size: 1
    .uses_dynamic_stack: false
    .vgpr_count:     28
    .vgpr_spill_count: 0
    .wavefront_size: 32
    .workgroup_processor_mode: 1
  - .args:
      - .offset:         0
        .size:           8
        .value_kind:     by_value
      - .offset:         8
        .size:           8
        .value_kind:     by_value
      - .offset:         16
        .size:           8
        .value_kind:     by_value
      - .offset:         24
        .size:           2
        .value_kind:     by_value
      - .address_space:  global
        .offset:         32
        .size:           8
        .value_kind:     global_buffer
      - .offset:         40
        .size:           8
        .value_kind:     by_value
      - .offset:         48
        .size:           8
        .value_kind:     by_value
      - .address_space:  global
        .offset:         56
        .size:           8
        .value_kind:     global_buffer
      - .offset:         64
        .size:           8
        .value_kind:     by_value
      - .offset:         72
        .size:           8
        .value_kind:     by_value
      - .offset:         80
        .size:           2
        .value_kind:     by_value
      - .address_space:  global
        .offset:         88
        .size:           8
        .value_kind:     global_buffer
      - .offset:         96
        .size:           8
        .value_kind:     by_value
      - .offset:         104
        .size:           8
        .value_kind:     by_value
      - .address_space:  global
        .offset:         112
        .size:           8
        .value_kind:     global_buffer
      - .offset:         120
        .size:           8
        .value_kind:     by_value
      - .offset:         128
        .size:           8
        .value_kind:     by_value
      - .offset:         136
        .size:           4
        .value_kind:     by_value
    .group_segment_fixed_size: 1024
    .kernarg_segment_align: 8
    .kernarg_segment_size: 140
    .language:       OpenCL C
    .language_version:
      - 2
      - 0
    .max_flat_workgroup_size: 256
    .name:           _ZN12_GLOBAL__N_127rocblas_gemm_batched_kernelIDF16_Li16ELi16ELi32ELi32ELi8ELi32ELi8ELi8ELi32ELc84ELc78EKPKDF16_S3_KPDF16_EEvlllT_PT11_llS8_llS6_PT12_llPT13_lli
    .private_segment_fixed_size: 0
    .sgpr_count:     38
    .sgpr_spill_count: 0
    .symbol:         _ZN12_GLOBAL__N_127rocblas_gemm_batched_kernelIDF16_Li16ELi16ELi32ELi32ELi8ELi32ELi8ELi8ELi32ELc84ELc78EKPKDF16_S3_KPDF16_EEvlllT_PT11_llS8_llS6_PT12_llPT13_lli.kd
    .uniform_work_group_size: 1
    .uses_dynamic_stack: false
    .vgpr_count:     28
    .vgpr_spill_count: 0
    .wavefront_size: 32
    .workgroup_processor_mode: 1
  - .args:
      - .offset:         0
        .size:           8
        .value_kind:     by_value
      - .offset:         8
        .size:           8
        .value_kind:     by_value
      - .offset:         16
        .size:           8
        .value_kind:     by_value
      - .offset:         24
        .size:           2
        .value_kind:     by_value
      - .address_space:  global
        .offset:         32
        .size:           8
        .value_kind:     global_buffer
      - .offset:         40
        .size:           8
        .value_kind:     by_value
      - .offset:         48
        .size:           8
        .value_kind:     by_value
      - .address_space:  global
        .offset:         56
        .size:           8
        .value_kind:     global_buffer
      - .offset:         64
        .size:           8
        .value_kind:     by_value
      - .offset:         72
        .size:           8
        .value_kind:     by_value
      - .offset:         80
        .size:           2
        .value_kind:     by_value
      - .address_space:  global
        .offset:         88
        .size:           8
        .value_kind:     global_buffer
      - .offset:         96
        .size:           8
        .value_kind:     by_value
      - .offset:         104
        .size:           8
        .value_kind:     by_value
      - .address_space:  global
        .offset:         112
        .size:           8
        .value_kind:     global_buffer
      - .offset:         120
        .size:           8
        .value_kind:     by_value
      - .offset:         128
        .size:           8
        .value_kind:     by_value
      - .offset:         136
        .size:           4
        .value_kind:     by_value
    .group_segment_fixed_size: 1024
    .kernarg_segment_align: 8
    .kernarg_segment_size: 140
    .language:       OpenCL C
    .language_version:
      - 2
      - 0
    .max_flat_workgroup_size: 256
    .name:           _ZN12_GLOBAL__N_127rocblas_gemm_batched_kernelIDF16_Li16ELi16ELi32ELi32ELi8ELi32ELi8ELi8ELi32ELc78ELc84EKPKDF16_S3_KPDF16_EEvlllT_PT11_llS8_llS6_PT12_llPT13_lli
    .private_segment_fixed_size: 0
    .sgpr_count:     38
    .sgpr_spill_count: 0
    .symbol:         _ZN12_GLOBAL__N_127rocblas_gemm_batched_kernelIDF16_Li16ELi16ELi32ELi32ELi8ELi32ELi8ELi8ELi32ELc78ELc84EKPKDF16_S3_KPDF16_EEvlllT_PT11_llS8_llS6_PT12_llPT13_lli.kd
    .uniform_work_group_size: 1
    .uses_dynamic_stack: false
    .vgpr_count:     28
    .vgpr_spill_count: 0
    .wavefront_size: 32
    .workgroup_processor_mode: 1
  - .args:
      - .offset:         0
        .size:           8
        .value_kind:     by_value
      - .offset:         8
        .size:           8
        .value_kind:     by_value
      - .offset:         16
        .size:           8
        .value_kind:     by_value
      - .offset:         24
        .size:           2
        .value_kind:     by_value
      - .address_space:  global
        .offset:         32
        .size:           8
        .value_kind:     global_buffer
      - .offset:         40
        .size:           8
        .value_kind:     by_value
      - .offset:         48
        .size:           8
        .value_kind:     by_value
      - .address_space:  global
        .offset:         56
        .size:           8
        .value_kind:     global_buffer
      - .offset:         64
        .size:           8
        .value_kind:     by_value
      - .offset:         72
        .size:           8
        .value_kind:     by_value
      - .offset:         80
        .size:           2
        .value_kind:     by_value
      - .address_space:  global
        .offset:         88
        .size:           8
        .value_kind:     global_buffer
      - .offset:         96
        .size:           8
        .value_kind:     by_value
      - .offset:         104
        .size:           8
        .value_kind:     by_value
      - .address_space:  global
        .offset:         112
        .size:           8
        .value_kind:     global_buffer
      - .offset:         120
        .size:           8
        .value_kind:     by_value
      - .offset:         128
        .size:           8
        .value_kind:     by_value
      - .offset:         136
        .size:           4
        .value_kind:     by_value
    .group_segment_fixed_size: 1024
    .kernarg_segment_align: 8
    .kernarg_segment_size: 140
    .language:       OpenCL C
    .language_version:
      - 2
      - 0
    .max_flat_workgroup_size: 256
    .name:           _ZN12_GLOBAL__N_127rocblas_gemm_batched_kernelIDF16_Li16ELi16ELi32ELi32ELi8ELi32ELi8ELi8ELi32ELc84ELc84EKPKDF16_S3_KPDF16_EEvlllT_PT11_llS8_llS6_PT12_llPT13_lli
    .private_segment_fixed_size: 0
    .sgpr_count:     38
    .sgpr_spill_count: 0
    .symbol:         _ZN12_GLOBAL__N_127rocblas_gemm_batched_kernelIDF16_Li16ELi16ELi32ELi32ELi8ELi32ELi8ELi8ELi32ELc84ELc84EKPKDF16_S3_KPDF16_EEvlllT_PT11_llS8_llS6_PT12_llPT13_lli.kd
    .uniform_work_group_size: 1
    .uses_dynamic_stack: false
    .vgpr_count:     28
    .vgpr_spill_count: 0
    .wavefront_size: 32
    .workgroup_processor_mode: 1
  - .args:
      - .offset:         0
        .size:           8
        .value_kind:     by_value
      - .offset:         8
        .size:           8
        .value_kind:     by_value
      - .offset:         16
        .size:           8
        .value_kind:     by_value
      - .offset:         24
        .size:           2
        .value_kind:     by_value
      - .address_space:  global
        .offset:         32
        .size:           8
        .value_kind:     global_buffer
      - .offset:         40
        .size:           8
        .value_kind:     by_value
      - .offset:         48
        .size:           8
        .value_kind:     by_value
      - .address_space:  global
        .offset:         56
        .size:           8
        .value_kind:     global_buffer
      - .offset:         64
        .size:           8
        .value_kind:     by_value
      - .offset:         72
        .size:           8
        .value_kind:     by_value
      - .offset:         80
        .size:           2
        .value_kind:     by_value
      - .address_space:  global
        .offset:         88
        .size:           8
        .value_kind:     global_buffer
      - .offset:         96
        .size:           8
        .value_kind:     by_value
      - .offset:         104
        .size:           8
        .value_kind:     by_value
      - .address_space:  global
        .offset:         112
        .size:           8
        .value_kind:     global_buffer
      - .offset:         120
        .size:           8
        .value_kind:     by_value
      - .offset:         128
        .size:           8
        .value_kind:     by_value
      - .offset:         136
        .size:           4
        .value_kind:     by_value
    .group_segment_fixed_size: 1024
    .kernarg_segment_align: 8
    .kernarg_segment_size: 140
    .language:       OpenCL C
    .language_version:
      - 2
      - 0
    .max_flat_workgroup_size: 256
    .name:           _ZN12_GLOBAL__N_127rocblas_gemm_batched_kernelIDF16_Li16ELi16ELi32ELi32ELi8ELi32ELi8ELi8ELi32ELc67ELc67EKPKDF16_S3_KPDF16_EEvlllT_PT11_llS8_llS6_PT12_llPT13_lli
    .private_segment_fixed_size: 0
    .sgpr_count:     38
    .sgpr_spill_count: 0
    .symbol:         _ZN12_GLOBAL__N_127rocblas_gemm_batched_kernelIDF16_Li16ELi16ELi32ELi32ELi8ELi32ELi8ELi8ELi32ELc67ELc67EKPKDF16_S3_KPDF16_EEvlllT_PT11_llS8_llS6_PT12_llPT13_lli.kd
    .uniform_work_group_size: 1
    .uses_dynamic_stack: false
    .vgpr_count:     28
    .vgpr_spill_count: 0
    .wavefront_size: 32
    .workgroup_processor_mode: 1
  - .args:
      - .offset:         0
        .size:           8
        .value_kind:     by_value
      - .offset:         8
        .size:           8
        .value_kind:     by_value
      - .offset:         16
        .size:           8
        .value_kind:     by_value
      - .offset:         24
        .size:           2
        .value_kind:     by_value
      - .address_space:  global
        .offset:         32
        .size:           8
        .value_kind:     global_buffer
      - .offset:         40
        .size:           8
        .value_kind:     by_value
      - .offset:         48
        .size:           8
        .value_kind:     by_value
      - .address_space:  global
        .offset:         56
        .size:           8
        .value_kind:     global_buffer
      - .offset:         64
        .size:           8
        .value_kind:     by_value
      - .offset:         72
        .size:           8
        .value_kind:     by_value
      - .offset:         80
        .size:           2
        .value_kind:     by_value
      - .address_space:  global
        .offset:         88
        .size:           8
        .value_kind:     global_buffer
      - .offset:         96
        .size:           8
        .value_kind:     by_value
      - .offset:         104
        .size:           8
        .value_kind:     by_value
      - .address_space:  global
        .offset:         112
        .size:           8
        .value_kind:     global_buffer
      - .offset:         120
        .size:           8
        .value_kind:     by_value
      - .offset:         128
        .size:           8
        .value_kind:     by_value
      - .offset:         136
        .size:           4
        .value_kind:     by_value
    .group_segment_fixed_size: 1024
    .kernarg_segment_align: 8
    .kernarg_segment_size: 140
    .language:       OpenCL C
    .language_version:
      - 2
      - 0
    .max_flat_workgroup_size: 256
    .name:           _ZN12_GLOBAL__N_127rocblas_gemm_batched_kernelIDF16_Li16ELi16ELi32ELi32ELi8ELi32ELi8ELi8ELi32ELc67ELc78EKPKDF16_S3_KPDF16_EEvlllT_PT11_llS8_llS6_PT12_llPT13_lli
    .private_segment_fixed_size: 0
    .sgpr_count:     38
    .sgpr_spill_count: 0
    .symbol:         _ZN12_GLOBAL__N_127rocblas_gemm_batched_kernelIDF16_Li16ELi16ELi32ELi32ELi8ELi32ELi8ELi8ELi32ELc67ELc78EKPKDF16_S3_KPDF16_EEvlllT_PT11_llS8_llS6_PT12_llPT13_lli.kd
    .uniform_work_group_size: 1
    .uses_dynamic_stack: false
    .vgpr_count:     28
    .vgpr_spill_count: 0
    .wavefront_size: 32
    .workgroup_processor_mode: 1
  - .args:
      - .offset:         0
        .size:           8
        .value_kind:     by_value
      - .offset:         8
        .size:           8
        .value_kind:     by_value
      - .offset:         16
        .size:           8
        .value_kind:     by_value
      - .offset:         24
        .size:           2
        .value_kind:     by_value
      - .address_space:  global
        .offset:         32
        .size:           8
        .value_kind:     global_buffer
      - .offset:         40
        .size:           8
        .value_kind:     by_value
      - .offset:         48
        .size:           8
        .value_kind:     by_value
      - .address_space:  global
        .offset:         56
        .size:           8
        .value_kind:     global_buffer
      - .offset:         64
        .size:           8
        .value_kind:     by_value
      - .offset:         72
        .size:           8
        .value_kind:     by_value
      - .offset:         80
        .size:           2
        .value_kind:     by_value
      - .address_space:  global
        .offset:         88
        .size:           8
        .value_kind:     global_buffer
      - .offset:         96
        .size:           8
        .value_kind:     by_value
      - .offset:         104
        .size:           8
        .value_kind:     by_value
      - .address_space:  global
        .offset:         112
        .size:           8
        .value_kind:     global_buffer
      - .offset:         120
        .size:           8
        .value_kind:     by_value
      - .offset:         128
        .size:           8
        .value_kind:     by_value
      - .offset:         136
        .size:           4
        .value_kind:     by_value
    .group_segment_fixed_size: 1024
    .kernarg_segment_align: 8
    .kernarg_segment_size: 140
    .language:       OpenCL C
    .language_version:
      - 2
      - 0
    .max_flat_workgroup_size: 256
    .name:           _ZN12_GLOBAL__N_127rocblas_gemm_batched_kernelIDF16_Li16ELi16ELi32ELi32ELi8ELi32ELi8ELi8ELi32ELc67ELc84EKPKDF16_S3_KPDF16_EEvlllT_PT11_llS8_llS6_PT12_llPT13_lli
    .private_segment_fixed_size: 0
    .sgpr_count:     38
    .sgpr_spill_count: 0
    .symbol:         _ZN12_GLOBAL__N_127rocblas_gemm_batched_kernelIDF16_Li16ELi16ELi32ELi32ELi8ELi32ELi8ELi8ELi32ELc67ELc84EKPKDF16_S3_KPDF16_EEvlllT_PT11_llS8_llS6_PT12_llPT13_lli.kd
    .uniform_work_group_size: 1
    .uses_dynamic_stack: false
    .vgpr_count:     28
    .vgpr_spill_count: 0
    .wavefront_size: 32
    .workgroup_processor_mode: 1
  - .args:
      - .offset:         0
        .size:           8
        .value_kind:     by_value
      - .offset:         8
        .size:           8
        .value_kind:     by_value
      - .offset:         16
        .size:           8
        .value_kind:     by_value
      - .offset:         24
        .size:           2
        .value_kind:     by_value
      - .address_space:  global
        .offset:         32
        .size:           8
        .value_kind:     global_buffer
      - .offset:         40
        .size:           8
        .value_kind:     by_value
      - .offset:         48
        .size:           8
        .value_kind:     by_value
      - .address_space:  global
        .offset:         56
        .size:           8
        .value_kind:     global_buffer
      - .offset:         64
        .size:           8
        .value_kind:     by_value
      - .offset:         72
        .size:           8
        .value_kind:     by_value
      - .offset:         80
        .size:           2
        .value_kind:     by_value
      - .address_space:  global
        .offset:         88
        .size:           8
        .value_kind:     global_buffer
      - .offset:         96
        .size:           8
        .value_kind:     by_value
      - .offset:         104
        .size:           8
        .value_kind:     by_value
      - .address_space:  global
        .offset:         112
        .size:           8
        .value_kind:     global_buffer
      - .offset:         120
        .size:           8
        .value_kind:     by_value
      - .offset:         128
        .size:           8
        .value_kind:     by_value
      - .offset:         136
        .size:           4
        .value_kind:     by_value
    .group_segment_fixed_size: 1024
    .kernarg_segment_align: 8
    .kernarg_segment_size: 140
    .language:       OpenCL C
    .language_version:
      - 2
      - 0
    .max_flat_workgroup_size: 256
    .name:           _ZN12_GLOBAL__N_127rocblas_gemm_batched_kernelIDF16_Li16ELi16ELi32ELi32ELi8ELi32ELi8ELi8ELi32ELc78ELc67EKPKDF16_S3_KPDF16_EEvlllT_PT11_llS8_llS6_PT12_llPT13_lli
    .private_segment_fixed_size: 0
    .sgpr_count:     38
    .sgpr_spill_count: 0
    .symbol:         _ZN12_GLOBAL__N_127rocblas_gemm_batched_kernelIDF16_Li16ELi16ELi32ELi32ELi8ELi32ELi8ELi8ELi32ELc78ELc67EKPKDF16_S3_KPDF16_EEvlllT_PT11_llS8_llS6_PT12_llPT13_lli.kd
    .uniform_work_group_size: 1
    .uses_dynamic_stack: false
    .vgpr_count:     28
    .vgpr_spill_count: 0
    .wavefront_size: 32
    .workgroup_processor_mode: 1
  - .args:
      - .offset:         0
        .size:           8
        .value_kind:     by_value
      - .offset:         8
        .size:           8
        .value_kind:     by_value
      - .offset:         16
        .size:           8
        .value_kind:     by_value
      - .offset:         24
        .size:           2
        .value_kind:     by_value
      - .address_space:  global
        .offset:         32
        .size:           8
        .value_kind:     global_buffer
      - .offset:         40
        .size:           8
        .value_kind:     by_value
      - .offset:         48
        .size:           8
        .value_kind:     by_value
      - .address_space:  global
        .offset:         56
        .size:           8
        .value_kind:     global_buffer
      - .offset:         64
        .size:           8
        .value_kind:     by_value
      - .offset:         72
        .size:           8
        .value_kind:     by_value
      - .offset:         80
        .size:           2
        .value_kind:     by_value
      - .address_space:  global
        .offset:         88
        .size:           8
        .value_kind:     global_buffer
      - .offset:         96
        .size:           8
        .value_kind:     by_value
      - .offset:         104
        .size:           8
        .value_kind:     by_value
      - .address_space:  global
        .offset:         112
        .size:           8
        .value_kind:     global_buffer
      - .offset:         120
        .size:           8
        .value_kind:     by_value
      - .offset:         128
        .size:           8
        .value_kind:     by_value
      - .offset:         136
        .size:           4
        .value_kind:     by_value
    .group_segment_fixed_size: 1024
    .kernarg_segment_align: 8
    .kernarg_segment_size: 140
    .language:       OpenCL C
    .language_version:
      - 2
      - 0
    .max_flat_workgroup_size: 256
    .name:           _ZN12_GLOBAL__N_127rocblas_gemm_batched_kernelIDF16_Li16ELi16ELi32ELi32ELi8ELi32ELi8ELi8ELi32ELc84ELc67EKPKDF16_S3_KPDF16_EEvlllT_PT11_llS8_llS6_PT12_llPT13_lli
    .private_segment_fixed_size: 0
    .sgpr_count:     38
    .sgpr_spill_count: 0
    .symbol:         _ZN12_GLOBAL__N_127rocblas_gemm_batched_kernelIDF16_Li16ELi16ELi32ELi32ELi8ELi32ELi8ELi8ELi32ELc84ELc67EKPKDF16_S3_KPDF16_EEvlllT_PT11_llS8_llS6_PT12_llPT13_lli.kd
    .uniform_work_group_size: 1
    .uses_dynamic_stack: false
    .vgpr_count:     28
    .vgpr_spill_count: 0
    .wavefront_size: 32
    .workgroup_processor_mode: 1
  - .args:
      - .offset:         0
        .size:           8
        .value_kind:     by_value
      - .offset:         8
        .size:           8
        .value_kind:     by_value
      - .offset:         16
        .size:           8
        .value_kind:     by_value
      - .offset:         24
        .size:           2
        .value_kind:     by_value
      - .address_space:  global
        .offset:         32
        .size:           8
        .value_kind:     global_buffer
      - .offset:         40
        .size:           8
        .value_kind:     by_value
      - .offset:         48
        .size:           8
        .value_kind:     by_value
      - .address_space:  global
        .offset:         56
        .size:           8
        .value_kind:     global_buffer
      - .offset:         64
        .size:           8
        .value_kind:     by_value
      - .offset:         72
        .size:           8
        .value_kind:     by_value
      - .offset:         80
        .size:           2
        .value_kind:     by_value
      - .address_space:  global
        .offset:         88
        .size:           8
        .value_kind:     global_buffer
      - .offset:         96
        .size:           8
        .value_kind:     by_value
      - .offset:         104
        .size:           8
        .value_kind:     by_value
      - .address_space:  global
        .offset:         112
        .size:           8
        .value_kind:     global_buffer
      - .offset:         120
        .size:           8
        .value_kind:     by_value
      - .offset:         128
        .size:           8
        .value_kind:     by_value
      - .offset:         136
        .size:           4
        .value_kind:     by_value
    .group_segment_fixed_size: 1024
    .kernarg_segment_align: 8
    .kernarg_segment_size: 140
    .language:       OpenCL C
    .language_version:
      - 2
      - 0
    .max_flat_workgroup_size: 256
    .name:           _ZN12_GLOBAL__N_135rocblas_gemm_batched_general_kernelIDF16_Li16ELi16ELi32ELi32ELi8ELi32ELi8ELi8ELi32ELc78ELc78EKPKDF16_S3_KPDF16_EEvlllT_PT11_llS8_llS6_PT12_llPT13_lli
    .private_segment_fixed_size: 0
    .sgpr_count:     46
    .sgpr_spill_count: 0
    .symbol:         _ZN12_GLOBAL__N_135rocblas_gemm_batched_general_kernelIDF16_Li16ELi16ELi32ELi32ELi8ELi32ELi8ELi8ELi32ELc78ELc78EKPKDF16_S3_KPDF16_EEvlllT_PT11_llS8_llS6_PT12_llPT13_lli.kd
    .uniform_work_group_size: 1
    .uses_dynamic_stack: false
    .vgpr_count:     30
    .vgpr_spill_count: 0
    .wavefront_size: 32
    .workgroup_processor_mode: 1
  - .args:
      - .offset:         0
        .size:           8
        .value_kind:     by_value
      - .offset:         8
        .size:           8
        .value_kind:     by_value
      - .offset:         16
        .size:           8
        .value_kind:     by_value
      - .offset:         24
        .size:           2
        .value_kind:     by_value
      - .address_space:  global
        .offset:         32
        .size:           8
        .value_kind:     global_buffer
      - .offset:         40
        .size:           8
        .value_kind:     by_value
      - .offset:         48
        .size:           8
        .value_kind:     by_value
      - .address_space:  global
        .offset:         56
        .size:           8
        .value_kind:     global_buffer
      - .offset:         64
        .size:           8
        .value_kind:     by_value
      - .offset:         72
        .size:           8
        .value_kind:     by_value
      - .offset:         80
        .size:           2
        .value_kind:     by_value
      - .address_space:  global
        .offset:         88
        .size:           8
        .value_kind:     global_buffer
      - .offset:         96
        .size:           8
        .value_kind:     by_value
      - .offset:         104
        .size:           8
        .value_kind:     by_value
      - .address_space:  global
        .offset:         112
        .size:           8
        .value_kind:     global_buffer
      - .offset:         120
        .size:           8
        .value_kind:     by_value
      - .offset:         128
        .size:           8
        .value_kind:     by_value
      - .offset:         136
        .size:           4
        .value_kind:     by_value
    .group_segment_fixed_size: 1024
    .kernarg_segment_align: 8
    .kernarg_segment_size: 140
    .language:       OpenCL C
    .language_version:
      - 2
      - 0
    .max_flat_workgroup_size: 256
    .name:           _ZN12_GLOBAL__N_135rocblas_gemm_batched_general_kernelIDF16_Li16ELi16ELi32ELi32ELi8ELi32ELi8ELi8ELi32ELc84ELc78EKPKDF16_S3_KPDF16_EEvlllT_PT11_llS8_llS6_PT12_llPT13_lli
    .private_segment_fixed_size: 0
    .sgpr_count:     42
    .sgpr_spill_count: 0
    .symbol:         _ZN12_GLOBAL__N_135rocblas_gemm_batched_general_kernelIDF16_Li16ELi16ELi32ELi32ELi8ELi32ELi8ELi8ELi32ELc84ELc78EKPKDF16_S3_KPDF16_EEvlllT_PT11_llS8_llS6_PT12_llPT13_lli.kd
    .uniform_work_group_size: 1
    .uses_dynamic_stack: false
    .vgpr_count:     30
    .vgpr_spill_count: 0
    .wavefront_size: 32
    .workgroup_processor_mode: 1
  - .args:
      - .offset:         0
        .size:           8
        .value_kind:     by_value
      - .offset:         8
        .size:           8
        .value_kind:     by_value
      - .offset:         16
        .size:           8
        .value_kind:     by_value
      - .offset:         24
        .size:           2
        .value_kind:     by_value
      - .address_space:  global
        .offset:         32
        .size:           8
        .value_kind:     global_buffer
      - .offset:         40
        .size:           8
        .value_kind:     by_value
      - .offset:         48
        .size:           8
        .value_kind:     by_value
      - .address_space:  global
        .offset:         56
        .size:           8
        .value_kind:     global_buffer
      - .offset:         64
        .size:           8
        .value_kind:     by_value
      - .offset:         72
        .size:           8
        .value_kind:     by_value
      - .offset:         80
        .size:           2
        .value_kind:     by_value
      - .address_space:  global
        .offset:         88
        .size:           8
        .value_kind:     global_buffer
      - .offset:         96
        .size:           8
        .value_kind:     by_value
      - .offset:         104
        .size:           8
        .value_kind:     by_value
      - .address_space:  global
        .offset:         112
        .size:           8
        .value_kind:     global_buffer
      - .offset:         120
        .size:           8
        .value_kind:     by_value
      - .offset:         128
        .size:           8
        .value_kind:     by_value
      - .offset:         136
        .size:           4
        .value_kind:     by_value
    .group_segment_fixed_size: 1024
    .kernarg_segment_align: 8
    .kernarg_segment_size: 140
    .language:       OpenCL C
    .language_version:
      - 2
      - 0
    .max_flat_workgroup_size: 256
    .name:           _ZN12_GLOBAL__N_135rocblas_gemm_batched_general_kernelIDF16_Li16ELi16ELi32ELi32ELi8ELi32ELi8ELi8ELi32ELc78ELc84EKPKDF16_S3_KPDF16_EEvlllT_PT11_llS8_llS6_PT12_llPT13_lli
    .private_segment_fixed_size: 0
    .sgpr_count:     48
    .sgpr_spill_count: 0
    .symbol:         _ZN12_GLOBAL__N_135rocblas_gemm_batched_general_kernelIDF16_Li16ELi16ELi32ELi32ELi8ELi32ELi8ELi8ELi32ELc78ELc84EKPKDF16_S3_KPDF16_EEvlllT_PT11_llS8_llS6_PT12_llPT13_lli.kd
    .uniform_work_group_size: 1
    .uses_dynamic_stack: false
    .vgpr_count:     30
    .vgpr_spill_count: 0
    .wavefront_size: 32
    .workgroup_processor_mode: 1
  - .args:
      - .offset:         0
        .size:           8
        .value_kind:     by_value
      - .offset:         8
        .size:           8
        .value_kind:     by_value
      - .offset:         16
        .size:           8
        .value_kind:     by_value
      - .offset:         24
        .size:           2
        .value_kind:     by_value
      - .address_space:  global
        .offset:         32
        .size:           8
        .value_kind:     global_buffer
      - .offset:         40
        .size:           8
        .value_kind:     by_value
      - .offset:         48
        .size:           8
        .value_kind:     by_value
      - .address_space:  global
        .offset:         56
        .size:           8
        .value_kind:     global_buffer
      - .offset:         64
        .size:           8
        .value_kind:     by_value
      - .offset:         72
        .size:           8
        .value_kind:     by_value
      - .offset:         80
        .size:           2
        .value_kind:     by_value
      - .address_space:  global
        .offset:         88
        .size:           8
        .value_kind:     global_buffer
      - .offset:         96
        .size:           8
        .value_kind:     by_value
      - .offset:         104
        .size:           8
        .value_kind:     by_value
      - .address_space:  global
        .offset:         112
        .size:           8
        .value_kind:     global_buffer
      - .offset:         120
        .size:           8
        .value_kind:     by_value
      - .offset:         128
        .size:           8
        .value_kind:     by_value
      - .offset:         136
        .size:           4
        .value_kind:     by_value
    .group_segment_fixed_size: 1024
    .kernarg_segment_align: 8
    .kernarg_segment_size: 140
    .language:       OpenCL C
    .language_version:
      - 2
      - 0
    .max_flat_workgroup_size: 256
    .name:           _ZN12_GLOBAL__N_135rocblas_gemm_batched_general_kernelIDF16_Li16ELi16ELi32ELi32ELi8ELi32ELi8ELi8ELi32ELc84ELc84EKPKDF16_S3_KPDF16_EEvlllT_PT11_llS8_llS6_PT12_llPT13_lli
    .private_segment_fixed_size: 0
    .sgpr_count:     46
    .sgpr_spill_count: 0
    .symbol:         _ZN12_GLOBAL__N_135rocblas_gemm_batched_general_kernelIDF16_Li16ELi16ELi32ELi32ELi8ELi32ELi8ELi8ELi32ELc84ELc84EKPKDF16_S3_KPDF16_EEvlllT_PT11_llS8_llS6_PT12_llPT13_lli.kd
    .uniform_work_group_size: 1
    .uses_dynamic_stack: false
    .vgpr_count:     30
    .vgpr_spill_count: 0
    .wavefront_size: 32
    .workgroup_processor_mode: 1
  - .args:
      - .offset:         0
        .size:           8
        .value_kind:     by_value
      - .offset:         8
        .size:           8
        .value_kind:     by_value
      - .offset:         16
        .size:           8
        .value_kind:     by_value
      - .offset:         24
        .size:           2
        .value_kind:     by_value
      - .address_space:  global
        .offset:         32
        .size:           8
        .value_kind:     global_buffer
      - .offset:         40
        .size:           8
        .value_kind:     by_value
      - .offset:         48
        .size:           8
        .value_kind:     by_value
      - .address_space:  global
        .offset:         56
        .size:           8
        .value_kind:     global_buffer
      - .offset:         64
        .size:           8
        .value_kind:     by_value
      - .offset:         72
        .size:           8
        .value_kind:     by_value
      - .offset:         80
        .size:           2
        .value_kind:     by_value
      - .address_space:  global
        .offset:         88
        .size:           8
        .value_kind:     global_buffer
      - .offset:         96
        .size:           8
        .value_kind:     by_value
      - .offset:         104
        .size:           8
        .value_kind:     by_value
      - .address_space:  global
        .offset:         112
        .size:           8
        .value_kind:     global_buffer
      - .offset:         120
        .size:           8
        .value_kind:     by_value
      - .offset:         128
        .size:           8
        .value_kind:     by_value
      - .offset:         136
        .size:           4
        .value_kind:     by_value
    .group_segment_fixed_size: 1024
    .kernarg_segment_align: 8
    .kernarg_segment_size: 140
    .language:       OpenCL C
    .language_version:
      - 2
      - 0
    .max_flat_workgroup_size: 256
    .name:           _ZN12_GLOBAL__N_135rocblas_gemm_batched_general_kernelIDF16_Li16ELi16ELi32ELi32ELi8ELi32ELi8ELi8ELi32ELc67ELc67EKPKDF16_S3_KPDF16_EEvlllT_PT11_llS8_llS6_PT12_llPT13_lli
    .private_segment_fixed_size: 0
    .sgpr_count:     46
    .sgpr_spill_count: 0
    .symbol:         _ZN12_GLOBAL__N_135rocblas_gemm_batched_general_kernelIDF16_Li16ELi16ELi32ELi32ELi8ELi32ELi8ELi8ELi32ELc67ELc67EKPKDF16_S3_KPDF16_EEvlllT_PT11_llS8_llS6_PT12_llPT13_lli.kd
    .uniform_work_group_size: 1
    .uses_dynamic_stack: false
    .vgpr_count:     30
    .vgpr_spill_count: 0
    .wavefront_size: 32
    .workgroup_processor_mode: 1
  - .args:
      - .offset:         0
        .size:           8
        .value_kind:     by_value
      - .offset:         8
        .size:           8
        .value_kind:     by_value
      - .offset:         16
        .size:           8
        .value_kind:     by_value
      - .offset:         24
        .size:           2
        .value_kind:     by_value
      - .address_space:  global
        .offset:         32
        .size:           8
        .value_kind:     global_buffer
      - .offset:         40
        .size:           8
        .value_kind:     by_value
      - .offset:         48
        .size:           8
        .value_kind:     by_value
      - .address_space:  global
        .offset:         56
        .size:           8
        .value_kind:     global_buffer
      - .offset:         64
        .size:           8
        .value_kind:     by_value
      - .offset:         72
        .size:           8
        .value_kind:     by_value
      - .offset:         80
        .size:           2
        .value_kind:     by_value
      - .address_space:  global
        .offset:         88
        .size:           8
        .value_kind:     global_buffer
      - .offset:         96
        .size:           8
        .value_kind:     by_value
      - .offset:         104
        .size:           8
        .value_kind:     by_value
      - .address_space:  global
        .offset:         112
        .size:           8
        .value_kind:     global_buffer
      - .offset:         120
        .size:           8
        .value_kind:     by_value
      - .offset:         128
        .size:           8
        .value_kind:     by_value
      - .offset:         136
        .size:           4
        .value_kind:     by_value
    .group_segment_fixed_size: 1024
    .kernarg_segment_align: 8
    .kernarg_segment_size: 140
    .language:       OpenCL C
    .language_version:
      - 2
      - 0
    .max_flat_workgroup_size: 256
    .name:           _ZN12_GLOBAL__N_135rocblas_gemm_batched_general_kernelIDF16_Li16ELi16ELi32ELi32ELi8ELi32ELi8ELi8ELi32ELc67ELc78EKPKDF16_S3_KPDF16_EEvlllT_PT11_llS8_llS6_PT12_llPT13_lli
    .private_segment_fixed_size: 0
    .sgpr_count:     42
    .sgpr_spill_count: 0
    .symbol:         _ZN12_GLOBAL__N_135rocblas_gemm_batched_general_kernelIDF16_Li16ELi16ELi32ELi32ELi8ELi32ELi8ELi8ELi32ELc67ELc78EKPKDF16_S3_KPDF16_EEvlllT_PT11_llS8_llS6_PT12_llPT13_lli.kd
    .uniform_work_group_size: 1
    .uses_dynamic_stack: false
    .vgpr_count:     30
    .vgpr_spill_count: 0
    .wavefront_size: 32
    .workgroup_processor_mode: 1
  - .args:
      - .offset:         0
        .size:           8
        .value_kind:     by_value
      - .offset:         8
        .size:           8
        .value_kind:     by_value
      - .offset:         16
        .size:           8
        .value_kind:     by_value
      - .offset:         24
        .size:           2
        .value_kind:     by_value
      - .address_space:  global
        .offset:         32
        .size:           8
        .value_kind:     global_buffer
      - .offset:         40
        .size:           8
        .value_kind:     by_value
      - .offset:         48
        .size:           8
        .value_kind:     by_value
      - .address_space:  global
        .offset:         56
        .size:           8
        .value_kind:     global_buffer
      - .offset:         64
        .size:           8
        .value_kind:     by_value
      - .offset:         72
        .size:           8
        .value_kind:     by_value
      - .offset:         80
        .size:           2
        .value_kind:     by_value
      - .address_space:  global
        .offset:         88
        .size:           8
        .value_kind:     global_buffer
      - .offset:         96
        .size:           8
        .value_kind:     by_value
      - .offset:         104
        .size:           8
        .value_kind:     by_value
      - .address_space:  global
        .offset:         112
        .size:           8
        .value_kind:     global_buffer
      - .offset:         120
        .size:           8
        .value_kind:     by_value
      - .offset:         128
        .size:           8
        .value_kind:     by_value
      - .offset:         136
        .size:           4
        .value_kind:     by_value
    .group_segment_fixed_size: 1024
    .kernarg_segment_align: 8
    .kernarg_segment_size: 140
    .language:       OpenCL C
    .language_version:
      - 2
      - 0
    .max_flat_workgroup_size: 256
    .name:           _ZN12_GLOBAL__N_135rocblas_gemm_batched_general_kernelIDF16_Li16ELi16ELi32ELi32ELi8ELi32ELi8ELi8ELi32ELc67ELc84EKPKDF16_S3_KPDF16_EEvlllT_PT11_llS8_llS6_PT12_llPT13_lli
    .private_segment_fixed_size: 0
    .sgpr_count:     46
    .sgpr_spill_count: 0
    .symbol:         _ZN12_GLOBAL__N_135rocblas_gemm_batched_general_kernelIDF16_Li16ELi16ELi32ELi32ELi8ELi32ELi8ELi8ELi32ELc67ELc84EKPKDF16_S3_KPDF16_EEvlllT_PT11_llS8_llS6_PT12_llPT13_lli.kd
    .uniform_work_group_size: 1
    .uses_dynamic_stack: false
    .vgpr_count:     30
    .vgpr_spill_count: 0
    .wavefront_size: 32
    .workgroup_processor_mode: 1
  - .args:
      - .offset:         0
        .size:           8
        .value_kind:     by_value
      - .offset:         8
        .size:           8
        .value_kind:     by_value
      - .offset:         16
        .size:           8
        .value_kind:     by_value
      - .offset:         24
        .size:           2
        .value_kind:     by_value
      - .address_space:  global
        .offset:         32
        .size:           8
        .value_kind:     global_buffer
      - .offset:         40
        .size:           8
        .value_kind:     by_value
      - .offset:         48
        .size:           8
        .value_kind:     by_value
      - .address_space:  global
        .offset:         56
        .size:           8
        .value_kind:     global_buffer
      - .offset:         64
        .size:           8
        .value_kind:     by_value
      - .offset:         72
        .size:           8
        .value_kind:     by_value
      - .offset:         80
        .size:           2
        .value_kind:     by_value
      - .address_space:  global
        .offset:         88
        .size:           8
        .value_kind:     global_buffer
      - .offset:         96
        .size:           8
        .value_kind:     by_value
      - .offset:         104
        .size:           8
        .value_kind:     by_value
      - .address_space:  global
        .offset:         112
        .size:           8
        .value_kind:     global_buffer
      - .offset:         120
        .size:           8
        .value_kind:     by_value
      - .offset:         128
        .size:           8
        .value_kind:     by_value
      - .offset:         136
        .size:           4
        .value_kind:     by_value
    .group_segment_fixed_size: 1024
    .kernarg_segment_align: 8
    .kernarg_segment_size: 140
    .language:       OpenCL C
    .language_version:
      - 2
      - 0
    .max_flat_workgroup_size: 256
    .name:           _ZN12_GLOBAL__N_135rocblas_gemm_batched_general_kernelIDF16_Li16ELi16ELi32ELi32ELi8ELi32ELi8ELi8ELi32ELc78ELc67EKPKDF16_S3_KPDF16_EEvlllT_PT11_llS8_llS6_PT12_llPT13_lli
    .private_segment_fixed_size: 0
    .sgpr_count:     48
    .sgpr_spill_count: 0
    .symbol:         _ZN12_GLOBAL__N_135rocblas_gemm_batched_general_kernelIDF16_Li16ELi16ELi32ELi32ELi8ELi32ELi8ELi8ELi32ELc78ELc67EKPKDF16_S3_KPDF16_EEvlllT_PT11_llS8_llS6_PT12_llPT13_lli.kd
    .uniform_work_group_size: 1
    .uses_dynamic_stack: false
    .vgpr_count:     30
    .vgpr_spill_count: 0
    .wavefront_size: 32
    .workgroup_processor_mode: 1
  - .args:
      - .offset:         0
        .size:           8
        .value_kind:     by_value
      - .offset:         8
        .size:           8
        .value_kind:     by_value
      - .offset:         16
        .size:           8
        .value_kind:     by_value
      - .offset:         24
        .size:           2
        .value_kind:     by_value
      - .address_space:  global
        .offset:         32
        .size:           8
        .value_kind:     global_buffer
      - .offset:         40
        .size:           8
        .value_kind:     by_value
      - .offset:         48
        .size:           8
        .value_kind:     by_value
      - .address_space:  global
        .offset:         56
        .size:           8
        .value_kind:     global_buffer
      - .offset:         64
        .size:           8
        .value_kind:     by_value
      - .offset:         72
        .size:           8
        .value_kind:     by_value
      - .offset:         80
        .size:           2
        .value_kind:     by_value
      - .address_space:  global
        .offset:         88
        .size:           8
        .value_kind:     global_buffer
      - .offset:         96
        .size:           8
        .value_kind:     by_value
      - .offset:         104
        .size:           8
        .value_kind:     by_value
      - .address_space:  global
        .offset:         112
        .size:           8
        .value_kind:     global_buffer
      - .offset:         120
        .size:           8
        .value_kind:     by_value
      - .offset:         128
        .size:           8
        .value_kind:     by_value
      - .offset:         136
        .size:           4
        .value_kind:     by_value
    .group_segment_fixed_size: 1024
    .kernarg_segment_align: 8
    .kernarg_segment_size: 140
    .language:       OpenCL C
    .language_version:
      - 2
      - 0
    .max_flat_workgroup_size: 256
    .name:           _ZN12_GLOBAL__N_135rocblas_gemm_batched_general_kernelIDF16_Li16ELi16ELi32ELi32ELi8ELi32ELi8ELi8ELi32ELc84ELc67EKPKDF16_S3_KPDF16_EEvlllT_PT11_llS8_llS6_PT12_llPT13_lli
    .private_segment_fixed_size: 0
    .sgpr_count:     46
    .sgpr_spill_count: 0
    .symbol:         _ZN12_GLOBAL__N_135rocblas_gemm_batched_general_kernelIDF16_Li16ELi16ELi32ELi32ELi8ELi32ELi8ELi8ELi32ELc84ELc67EKPKDF16_S3_KPDF16_EEvlllT_PT11_llS8_llS6_PT12_llPT13_lli.kd
    .uniform_work_group_size: 1
    .uses_dynamic_stack: false
    .vgpr_count:     30
    .vgpr_spill_count: 0
    .wavefront_size: 32
    .workgroup_processor_mode: 1
  - .args:
      - .offset:         0
        .size:           4
        .value_kind:     by_value
      - .offset:         4
        .size:           4
        .value_kind:     by_value
      - .offset:         8
        .size:           4
        .value_kind:     by_value
      - .address_space:  global
        .offset:         16
        .size:           8
        .value_kind:     global_buffer
      - .offset:         24
        .size:           8
        .value_kind:     by_value
      - .offset:         32
        .size:           8
        .value_kind:     by_value
      - .offset:         40
        .size:           8
        .value_kind:     by_value
      - .address_space:  global
        .offset:         48
        .size:           8
        .value_kind:     global_buffer
      - .offset:         56
        .size:           8
        .value_kind:     by_value
      - .offset:         64
        .size:           8
        .value_kind:     by_value
      - .offset:         72
        .size:           8
        .value_kind:     by_value
      - .offset:         80
        .size:           4
        .value_kind:     by_value
    .group_segment_fixed_size: 0
    .kernarg_segment_align: 8
    .kernarg_segment_size: 84
    .language:       OpenCL C
    .language_version:
      - 2
      - 0
    .max_flat_workgroup_size: 1024
    .name:           _ZN12_GLOBAL__N_120gemm_ex_scale_kernelILi32ELi32EfPKPKDF16_PKPDF16_EEviiT1_T2_lllT3_llli
    .private_segment_fixed_size: 0
    .sgpr_count:     22
    .sgpr_spill_count: 0
    .symbol:         _ZN12_GLOBAL__N_120gemm_ex_scale_kernelILi32ELi32EfPKPKDF16_PKPDF16_EEviiT1_T2_lllT3_llli.kd
    .uniform_work_group_size: 1
    .uses_dynamic_stack: false
    .vgpr_count:     8
    .vgpr_spill_count: 0
    .wavefront_size: 32
    .workgroup_processor_mode: 1
  - .args:
      - .offset:         0
        .size:           8
        .value_kind:     by_value
      - .offset:         8
        .size:           8
        .value_kind:     by_value
      - .offset:         16
        .size:           8
        .value_kind:     by_value
      - .offset:         24
        .size:           4
        .value_kind:     by_value
      - .address_space:  global
        .offset:         32
        .size:           8
        .value_kind:     global_buffer
      - .offset:         40
        .size:           8
        .value_kind:     by_value
      - .offset:         48
        .size:           8
        .value_kind:     by_value
      - .address_space:  global
        .offset:         56
        .size:           8
        .value_kind:     global_buffer
      - .offset:         64
        .size:           8
        .value_kind:     by_value
      - .offset:         72
        .size:           8
        .value_kind:     by_value
      - .offset:         80
        .size:           4
        .value_kind:     by_value
      - .address_space:  global
        .offset:         88
        .size:           8
        .value_kind:     global_buffer
      - .offset:         96
        .size:           8
        .value_kind:     by_value
      - .offset:         104
        .size:           8
        .value_kind:     by_value
      - .address_space:  global
        .offset:         112
        .size:           8
        .value_kind:     global_buffer
      - .offset:         120
        .size:           8
        .value_kind:     by_value
      - .offset:         128
        .size:           8
        .value_kind:     by_value
      - .offset:         136
        .size:           4
        .value_kind:     by_value
    .group_segment_fixed_size: 2048
    .kernarg_segment_align: 8
    .kernarg_segment_size: 140
    .language:       OpenCL C
    .language_version:
      - 2
      - 0
    .max_flat_workgroup_size: 256
    .name:           _ZN12_GLOBAL__N_127rocblas_gemm_batched_kernelIfLi16ELi16ELi64ELi64ELi4ELi64ELi4ELi4ELi64ELc78ELc78EKPKDF16_S3_KPDF16_EEvlllT_PT11_llS8_llS6_PT12_llPT13_lli
    .private_segment_fixed_size: 0
    .sgpr_count:     38
    .sgpr_spill_count: 0
    .symbol:         _ZN12_GLOBAL__N_127rocblas_gemm_batched_kernelIfLi16ELi16ELi64ELi64ELi4ELi64ELi4ELi4ELi64ELc78ELc78EKPKDF16_S3_KPDF16_EEvlllT_PT11_llS8_llS6_PT12_llPT13_lli.kd
    .uniform_work_group_size: 1
    .uses_dynamic_stack: false
    .vgpr_count:     58
    .vgpr_spill_count: 0
    .wavefront_size: 32
    .workgroup_processor_mode: 1
  - .args:
      - .offset:         0
        .size:           8
        .value_kind:     by_value
      - .offset:         8
        .size:           8
        .value_kind:     by_value
      - .offset:         16
        .size:           8
        .value_kind:     by_value
      - .offset:         24
        .size:           4
        .value_kind:     by_value
      - .address_space:  global
        .offset:         32
        .size:           8
        .value_kind:     global_buffer
      - .offset:         40
        .size:           8
        .value_kind:     by_value
      - .offset:         48
        .size:           8
        .value_kind:     by_value
      - .address_space:  global
        .offset:         56
        .size:           8
        .value_kind:     global_buffer
      - .offset:         64
        .size:           8
        .value_kind:     by_value
      - .offset:         72
        .size:           8
        .value_kind:     by_value
      - .offset:         80
        .size:           4
        .value_kind:     by_value
      - .address_space:  global
        .offset:         88
        .size:           8
        .value_kind:     global_buffer
      - .offset:         96
        .size:           8
        .value_kind:     by_value
      - .offset:         104
        .size:           8
        .value_kind:     by_value
      - .address_space:  global
        .offset:         112
        .size:           8
        .value_kind:     global_buffer
      - .offset:         120
        .size:           8
        .value_kind:     by_value
      - .offset:         128
        .size:           8
        .value_kind:     by_value
      - .offset:         136
        .size:           4
        .value_kind:     by_value
    .group_segment_fixed_size: 2048
    .kernarg_segment_align: 8
    .kernarg_segment_size: 140
    .language:       OpenCL C
    .language_version:
      - 2
      - 0
    .max_flat_workgroup_size: 256
    .name:           _ZN12_GLOBAL__N_127rocblas_gemm_batched_kernelIfLi16ELi16ELi64ELi64ELi4ELi64ELi4ELi4ELi64ELc84ELc78EKPKDF16_S3_KPDF16_EEvlllT_PT11_llS8_llS6_PT12_llPT13_lli
    .private_segment_fixed_size: 0
    .sgpr_count:     38
    .sgpr_spill_count: 0
    .symbol:         _ZN12_GLOBAL__N_127rocblas_gemm_batched_kernelIfLi16ELi16ELi64ELi64ELi4ELi64ELi4ELi4ELi64ELc84ELc78EKPKDF16_S3_KPDF16_EEvlllT_PT11_llS8_llS6_PT12_llPT13_lli.kd
    .uniform_work_group_size: 1
    .uses_dynamic_stack: false
    .vgpr_count:     58
    .vgpr_spill_count: 0
    .wavefront_size: 32
    .workgroup_processor_mode: 1
  - .args:
      - .offset:         0
        .size:           8
        .value_kind:     by_value
      - .offset:         8
        .size:           8
        .value_kind:     by_value
      - .offset:         16
        .size:           8
        .value_kind:     by_value
      - .offset:         24
        .size:           4
        .value_kind:     by_value
      - .address_space:  global
        .offset:         32
        .size:           8
        .value_kind:     global_buffer
      - .offset:         40
        .size:           8
        .value_kind:     by_value
      - .offset:         48
        .size:           8
        .value_kind:     by_value
      - .address_space:  global
        .offset:         56
        .size:           8
        .value_kind:     global_buffer
      - .offset:         64
        .size:           8
        .value_kind:     by_value
      - .offset:         72
        .size:           8
        .value_kind:     by_value
      - .offset:         80
        .size:           4
        .value_kind:     by_value
      - .address_space:  global
        .offset:         88
        .size:           8
        .value_kind:     global_buffer
      - .offset:         96
        .size:           8
        .value_kind:     by_value
      - .offset:         104
        .size:           8
        .value_kind:     by_value
      - .address_space:  global
        .offset:         112
        .size:           8
        .value_kind:     global_buffer
      - .offset:         120
        .size:           8
        .value_kind:     by_value
      - .offset:         128
        .size:           8
        .value_kind:     by_value
      - .offset:         136
        .size:           4
        .value_kind:     by_value
    .group_segment_fixed_size: 2048
    .kernarg_segment_align: 8
    .kernarg_segment_size: 140
    .language:       OpenCL C
    .language_version:
      - 2
      - 0
    .max_flat_workgroup_size: 256
    .name:           _ZN12_GLOBAL__N_127rocblas_gemm_batched_kernelIfLi16ELi16ELi64ELi64ELi4ELi64ELi4ELi4ELi64ELc78ELc84EKPKDF16_S3_KPDF16_EEvlllT_PT11_llS8_llS6_PT12_llPT13_lli
    .private_segment_fixed_size: 0
    .sgpr_count:     38
    .sgpr_spill_count: 0
    .symbol:         _ZN12_GLOBAL__N_127rocblas_gemm_batched_kernelIfLi16ELi16ELi64ELi64ELi4ELi64ELi4ELi4ELi64ELc78ELc84EKPKDF16_S3_KPDF16_EEvlllT_PT11_llS8_llS6_PT12_llPT13_lli.kd
    .uniform_work_group_size: 1
    .uses_dynamic_stack: false
    .vgpr_count:     58
    .vgpr_spill_count: 0
    .wavefront_size: 32
    .workgroup_processor_mode: 1
  - .args:
      - .offset:         0
        .size:           8
        .value_kind:     by_value
      - .offset:         8
        .size:           8
        .value_kind:     by_value
      - .offset:         16
        .size:           8
        .value_kind:     by_value
      - .offset:         24
        .size:           4
        .value_kind:     by_value
      - .address_space:  global
        .offset:         32
        .size:           8
        .value_kind:     global_buffer
      - .offset:         40
        .size:           8
        .value_kind:     by_value
      - .offset:         48
        .size:           8
        .value_kind:     by_value
      - .address_space:  global
        .offset:         56
        .size:           8
        .value_kind:     global_buffer
      - .offset:         64
        .size:           8
        .value_kind:     by_value
      - .offset:         72
        .size:           8
        .value_kind:     by_value
      - .offset:         80
        .size:           4
        .value_kind:     by_value
      - .address_space:  global
        .offset:         88
        .size:           8
        .value_kind:     global_buffer
      - .offset:         96
        .size:           8
        .value_kind:     by_value
      - .offset:         104
        .size:           8
        .value_kind:     by_value
      - .address_space:  global
        .offset:         112
        .size:           8
        .value_kind:     global_buffer
      - .offset:         120
        .size:           8
        .value_kind:     by_value
      - .offset:         128
        .size:           8
        .value_kind:     by_value
      - .offset:         136
        .size:           4
        .value_kind:     by_value
    .group_segment_fixed_size: 2048
    .kernarg_segment_align: 8
    .kernarg_segment_size: 140
    .language:       OpenCL C
    .language_version:
      - 2
      - 0
    .max_flat_workgroup_size: 256
    .name:           _ZN12_GLOBAL__N_127rocblas_gemm_batched_kernelIfLi16ELi16ELi64ELi64ELi4ELi64ELi4ELi4ELi64ELc84ELc84EKPKDF16_S3_KPDF16_EEvlllT_PT11_llS8_llS6_PT12_llPT13_lli
    .private_segment_fixed_size: 0
    .sgpr_count:     38
    .sgpr_spill_count: 0
    .symbol:         _ZN12_GLOBAL__N_127rocblas_gemm_batched_kernelIfLi16ELi16ELi64ELi64ELi4ELi64ELi4ELi4ELi64ELc84ELc84EKPKDF16_S3_KPDF16_EEvlllT_PT11_llS8_llS6_PT12_llPT13_lli.kd
    .uniform_work_group_size: 1
    .uses_dynamic_stack: false
    .vgpr_count:     58
    .vgpr_spill_count: 0
    .wavefront_size: 32
    .workgroup_processor_mode: 1
  - .args:
      - .offset:         0
        .size:           8
        .value_kind:     by_value
      - .offset:         8
        .size:           8
        .value_kind:     by_value
      - .offset:         16
        .size:           8
        .value_kind:     by_value
      - .offset:         24
        .size:           4
        .value_kind:     by_value
      - .address_space:  global
        .offset:         32
        .size:           8
        .value_kind:     global_buffer
      - .offset:         40
        .size:           8
        .value_kind:     by_value
      - .offset:         48
        .size:           8
        .value_kind:     by_value
      - .address_space:  global
        .offset:         56
        .size:           8
        .value_kind:     global_buffer
      - .offset:         64
        .size:           8
        .value_kind:     by_value
      - .offset:         72
        .size:           8
        .value_kind:     by_value
      - .offset:         80
        .size:           4
        .value_kind:     by_value
      - .address_space:  global
        .offset:         88
        .size:           8
        .value_kind:     global_buffer
      - .offset:         96
        .size:           8
        .value_kind:     by_value
      - .offset:         104
        .size:           8
        .value_kind:     by_value
      - .address_space:  global
        .offset:         112
        .size:           8
        .value_kind:     global_buffer
      - .offset:         120
        .size:           8
        .value_kind:     by_value
      - .offset:         128
        .size:           8
        .value_kind:     by_value
      - .offset:         136
        .size:           4
        .value_kind:     by_value
    .group_segment_fixed_size: 2048
    .kernarg_segment_align: 8
    .kernarg_segment_size: 140
    .language:       OpenCL C
    .language_version:
      - 2
      - 0
    .max_flat_workgroup_size: 256
    .name:           _ZN12_GLOBAL__N_127rocblas_gemm_batched_kernelIfLi16ELi16ELi64ELi64ELi4ELi64ELi4ELi4ELi64ELc67ELc67EKPKDF16_S3_KPDF16_EEvlllT_PT11_llS8_llS6_PT12_llPT13_lli
    .private_segment_fixed_size: 0
    .sgpr_count:     38
    .sgpr_spill_count: 0
    .symbol:         _ZN12_GLOBAL__N_127rocblas_gemm_batched_kernelIfLi16ELi16ELi64ELi64ELi4ELi64ELi4ELi4ELi64ELc67ELc67EKPKDF16_S3_KPDF16_EEvlllT_PT11_llS8_llS6_PT12_llPT13_lli.kd
    .uniform_work_group_size: 1
    .uses_dynamic_stack: false
    .vgpr_count:     58
    .vgpr_spill_count: 0
    .wavefront_size: 32
    .workgroup_processor_mode: 1
  - .args:
      - .offset:         0
        .size:           8
        .value_kind:     by_value
      - .offset:         8
        .size:           8
        .value_kind:     by_value
      - .offset:         16
        .size:           8
        .value_kind:     by_value
      - .offset:         24
        .size:           4
        .value_kind:     by_value
      - .address_space:  global
        .offset:         32
        .size:           8
        .value_kind:     global_buffer
      - .offset:         40
        .size:           8
        .value_kind:     by_value
      - .offset:         48
        .size:           8
        .value_kind:     by_value
      - .address_space:  global
        .offset:         56
        .size:           8
        .value_kind:     global_buffer
      - .offset:         64
        .size:           8
        .value_kind:     by_value
      - .offset:         72
        .size:           8
        .value_kind:     by_value
      - .offset:         80
        .size:           4
        .value_kind:     by_value
      - .address_space:  global
        .offset:         88
        .size:           8
        .value_kind:     global_buffer
      - .offset:         96
        .size:           8
        .value_kind:     by_value
      - .offset:         104
        .size:           8
        .value_kind:     by_value
      - .address_space:  global
        .offset:         112
        .size:           8
        .value_kind:     global_buffer
      - .offset:         120
        .size:           8
        .value_kind:     by_value
      - .offset:         128
        .size:           8
        .value_kind:     by_value
      - .offset:         136
        .size:           4
        .value_kind:     by_value
    .group_segment_fixed_size: 2048
    .kernarg_segment_align: 8
    .kernarg_segment_size: 140
    .language:       OpenCL C
    .language_version:
      - 2
      - 0
    .max_flat_workgroup_size: 256
    .name:           _ZN12_GLOBAL__N_127rocblas_gemm_batched_kernelIfLi16ELi16ELi64ELi64ELi4ELi64ELi4ELi4ELi64ELc67ELc78EKPKDF16_S3_KPDF16_EEvlllT_PT11_llS8_llS6_PT12_llPT13_lli
    .private_segment_fixed_size: 0
    .sgpr_count:     38
    .sgpr_spill_count: 0
    .symbol:         _ZN12_GLOBAL__N_127rocblas_gemm_batched_kernelIfLi16ELi16ELi64ELi64ELi4ELi64ELi4ELi4ELi64ELc67ELc78EKPKDF16_S3_KPDF16_EEvlllT_PT11_llS8_llS6_PT12_llPT13_lli.kd
    .uniform_work_group_size: 1
    .uses_dynamic_stack: false
    .vgpr_count:     58
    .vgpr_spill_count: 0
    .wavefront_size: 32
    .workgroup_processor_mode: 1
  - .args:
      - .offset:         0
        .size:           8
        .value_kind:     by_value
      - .offset:         8
        .size:           8
        .value_kind:     by_value
      - .offset:         16
        .size:           8
        .value_kind:     by_value
      - .offset:         24
        .size:           4
        .value_kind:     by_value
      - .address_space:  global
        .offset:         32
        .size:           8
        .value_kind:     global_buffer
      - .offset:         40
        .size:           8
        .value_kind:     by_value
      - .offset:         48
        .size:           8
        .value_kind:     by_value
      - .address_space:  global
        .offset:         56
        .size:           8
        .value_kind:     global_buffer
      - .offset:         64
        .size:           8
        .value_kind:     by_value
      - .offset:         72
        .size:           8
        .value_kind:     by_value
      - .offset:         80
        .size:           4
        .value_kind:     by_value
      - .address_space:  global
        .offset:         88
        .size:           8
        .value_kind:     global_buffer
      - .offset:         96
        .size:           8
        .value_kind:     by_value
      - .offset:         104
        .size:           8
        .value_kind:     by_value
      - .address_space:  global
        .offset:         112
        .size:           8
        .value_kind:     global_buffer
      - .offset:         120
        .size:           8
        .value_kind:     by_value
      - .offset:         128
        .size:           8
        .value_kind:     by_value
      - .offset:         136
        .size:           4
        .value_kind:     by_value
    .group_segment_fixed_size: 2048
    .kernarg_segment_align: 8
    .kernarg_segment_size: 140
    .language:       OpenCL C
    .language_version:
      - 2
      - 0
    .max_flat_workgroup_size: 256
    .name:           _ZN12_GLOBAL__N_127rocblas_gemm_batched_kernelIfLi16ELi16ELi64ELi64ELi4ELi64ELi4ELi4ELi64ELc67ELc84EKPKDF16_S3_KPDF16_EEvlllT_PT11_llS8_llS6_PT12_llPT13_lli
    .private_segment_fixed_size: 0
    .sgpr_count:     38
    .sgpr_spill_count: 0
    .symbol:         _ZN12_GLOBAL__N_127rocblas_gemm_batched_kernelIfLi16ELi16ELi64ELi64ELi4ELi64ELi4ELi4ELi64ELc67ELc84EKPKDF16_S3_KPDF16_EEvlllT_PT11_llS8_llS6_PT12_llPT13_lli.kd
    .uniform_work_group_size: 1
    .uses_dynamic_stack: false
    .vgpr_count:     58
    .vgpr_spill_count: 0
    .wavefront_size: 32
    .workgroup_processor_mode: 1
  - .args:
      - .offset:         0
        .size:           8
        .value_kind:     by_value
      - .offset:         8
        .size:           8
        .value_kind:     by_value
      - .offset:         16
        .size:           8
        .value_kind:     by_value
      - .offset:         24
        .size:           4
        .value_kind:     by_value
      - .address_space:  global
        .offset:         32
        .size:           8
        .value_kind:     global_buffer
      - .offset:         40
        .size:           8
        .value_kind:     by_value
      - .offset:         48
        .size:           8
        .value_kind:     by_value
      - .address_space:  global
        .offset:         56
        .size:           8
        .value_kind:     global_buffer
      - .offset:         64
        .size:           8
        .value_kind:     by_value
      - .offset:         72
        .size:           8
        .value_kind:     by_value
      - .offset:         80
        .size:           4
        .value_kind:     by_value
      - .address_space:  global
        .offset:         88
        .size:           8
        .value_kind:     global_buffer
      - .offset:         96
        .size:           8
        .value_kind:     by_value
      - .offset:         104
        .size:           8
        .value_kind:     by_value
      - .address_space:  global
        .offset:         112
        .size:           8
        .value_kind:     global_buffer
      - .offset:         120
        .size:           8
        .value_kind:     by_value
      - .offset:         128
        .size:           8
        .value_kind:     by_value
      - .offset:         136
        .size:           4
        .value_kind:     by_value
    .group_segment_fixed_size: 2048
    .kernarg_segment_align: 8
    .kernarg_segment_size: 140
    .language:       OpenCL C
    .language_version:
      - 2
      - 0
    .max_flat_workgroup_size: 256
    .name:           _ZN12_GLOBAL__N_127rocblas_gemm_batched_kernelIfLi16ELi16ELi64ELi64ELi4ELi64ELi4ELi4ELi64ELc78ELc67EKPKDF16_S3_KPDF16_EEvlllT_PT11_llS8_llS6_PT12_llPT13_lli
    .private_segment_fixed_size: 0
    .sgpr_count:     38
    .sgpr_spill_count: 0
    .symbol:         _ZN12_GLOBAL__N_127rocblas_gemm_batched_kernelIfLi16ELi16ELi64ELi64ELi4ELi64ELi4ELi4ELi64ELc78ELc67EKPKDF16_S3_KPDF16_EEvlllT_PT11_llS8_llS6_PT12_llPT13_lli.kd
    .uniform_work_group_size: 1
    .uses_dynamic_stack: false
    .vgpr_count:     58
    .vgpr_spill_count: 0
    .wavefront_size: 32
    .workgroup_processor_mode: 1
  - .args:
      - .offset:         0
        .size:           8
        .value_kind:     by_value
      - .offset:         8
        .size:           8
        .value_kind:     by_value
      - .offset:         16
        .size:           8
        .value_kind:     by_value
      - .offset:         24
        .size:           4
        .value_kind:     by_value
      - .address_space:  global
        .offset:         32
        .size:           8
        .value_kind:     global_buffer
      - .offset:         40
        .size:           8
        .value_kind:     by_value
      - .offset:         48
        .size:           8
        .value_kind:     by_value
      - .address_space:  global
        .offset:         56
        .size:           8
        .value_kind:     global_buffer
      - .offset:         64
        .size:           8
        .value_kind:     by_value
      - .offset:         72
        .size:           8
        .value_kind:     by_value
      - .offset:         80
        .size:           4
        .value_kind:     by_value
      - .address_space:  global
        .offset:         88
        .size:           8
        .value_kind:     global_buffer
      - .offset:         96
        .size:           8
        .value_kind:     by_value
      - .offset:         104
        .size:           8
        .value_kind:     by_value
      - .address_space:  global
        .offset:         112
        .size:           8
        .value_kind:     global_buffer
      - .offset:         120
        .size:           8
        .value_kind:     by_value
      - .offset:         128
        .size:           8
        .value_kind:     by_value
      - .offset:         136
        .size:           4
        .value_kind:     by_value
    .group_segment_fixed_size: 2048
    .kernarg_segment_align: 8
    .kernarg_segment_size: 140
    .language:       OpenCL C
    .language_version:
      - 2
      - 0
    .max_flat_workgroup_size: 256
    .name:           _ZN12_GLOBAL__N_127rocblas_gemm_batched_kernelIfLi16ELi16ELi64ELi64ELi4ELi64ELi4ELi4ELi64ELc84ELc67EKPKDF16_S3_KPDF16_EEvlllT_PT11_llS8_llS6_PT12_llPT13_lli
    .private_segment_fixed_size: 0
    .sgpr_count:     38
    .sgpr_spill_count: 0
    .symbol:         _ZN12_GLOBAL__N_127rocblas_gemm_batched_kernelIfLi16ELi16ELi64ELi64ELi4ELi64ELi4ELi4ELi64ELc84ELc67EKPKDF16_S3_KPDF16_EEvlllT_PT11_llS8_llS6_PT12_llPT13_lli.kd
    .uniform_work_group_size: 1
    .uses_dynamic_stack: false
    .vgpr_count:     58
    .vgpr_spill_count: 0
    .wavefront_size: 32
    .workgroup_processor_mode: 1
  - .args:
      - .offset:         0
        .size:           8
        .value_kind:     by_value
      - .offset:         8
        .size:           8
        .value_kind:     by_value
      - .offset:         16
        .size:           8
        .value_kind:     by_value
      - .offset:         24
        .size:           4
        .value_kind:     by_value
      - .address_space:  global
        .offset:         32
        .size:           8
        .value_kind:     global_buffer
      - .offset:         40
        .size:           8
        .value_kind:     by_value
      - .offset:         48
        .size:           8
        .value_kind:     by_value
      - .address_space:  global
        .offset:         56
        .size:           8
        .value_kind:     global_buffer
      - .offset:         64
        .size:           8
        .value_kind:     by_value
      - .offset:         72
        .size:           8
        .value_kind:     by_value
      - .offset:         80
        .size:           4
        .value_kind:     by_value
      - .address_space:  global
        .offset:         88
        .size:           8
        .value_kind:     global_buffer
      - .offset:         96
        .size:           8
        .value_kind:     by_value
      - .offset:         104
        .size:           8
        .value_kind:     by_value
      - .address_space:  global
        .offset:         112
        .size:           8
        .value_kind:     global_buffer
      - .offset:         120
        .size:           8
        .value_kind:     by_value
      - .offset:         128
        .size:           8
        .value_kind:     by_value
      - .offset:         136
        .size:           4
        .value_kind:     by_value
    .group_segment_fixed_size: 2048
    .kernarg_segment_align: 8
    .kernarg_segment_size: 140
    .language:       OpenCL C
    .language_version:
      - 2
      - 0
    .max_flat_workgroup_size: 256
    .name:           _ZN12_GLOBAL__N_127rocblas_gemm_batched_kernelIfLi16ELi16ELi32ELi32ELi8ELi32ELi8ELi8ELi32ELc78ELc78EKPKDF16_S3_KPDF16_EEvlllT_PT11_llS8_llS6_PT12_llPT13_lli
    .private_segment_fixed_size: 0
    .sgpr_count:     38
    .sgpr_spill_count: 0
    .symbol:         _ZN12_GLOBAL__N_127rocblas_gemm_batched_kernelIfLi16ELi16ELi32ELi32ELi8ELi32ELi8ELi8ELi32ELc78ELc78EKPKDF16_S3_KPDF16_EEvlllT_PT11_llS8_llS6_PT12_llPT13_lli.kd
    .uniform_work_group_size: 1
    .uses_dynamic_stack: false
    .vgpr_count:     46
    .vgpr_spill_count: 0
    .wavefront_size: 32
    .workgroup_processor_mode: 1
  - .args:
      - .offset:         0
        .size:           8
        .value_kind:     by_value
      - .offset:         8
        .size:           8
        .value_kind:     by_value
      - .offset:         16
        .size:           8
        .value_kind:     by_value
      - .offset:         24
        .size:           4
        .value_kind:     by_value
      - .address_space:  global
        .offset:         32
        .size:           8
        .value_kind:     global_buffer
      - .offset:         40
        .size:           8
        .value_kind:     by_value
      - .offset:         48
        .size:           8
        .value_kind:     by_value
      - .address_space:  global
        .offset:         56
        .size:           8
        .value_kind:     global_buffer
      - .offset:         64
        .size:           8
        .value_kind:     by_value
      - .offset:         72
        .size:           8
        .value_kind:     by_value
      - .offset:         80
        .size:           4
        .value_kind:     by_value
      - .address_space:  global
        .offset:         88
        .size:           8
        .value_kind:     global_buffer
      - .offset:         96
        .size:           8
        .value_kind:     by_value
      - .offset:         104
        .size:           8
        .value_kind:     by_value
      - .address_space:  global
        .offset:         112
        .size:           8
        .value_kind:     global_buffer
      - .offset:         120
        .size:           8
        .value_kind:     by_value
      - .offset:         128
        .size:           8
        .value_kind:     by_value
      - .offset:         136
        .size:           4
        .value_kind:     by_value
    .group_segment_fixed_size: 2048
    .kernarg_segment_align: 8
    .kernarg_segment_size: 140
    .language:       OpenCL C
    .language_version:
      - 2
      - 0
    .max_flat_workgroup_size: 256
    .name:           _ZN12_GLOBAL__N_127rocblas_gemm_batched_kernelIfLi16ELi16ELi32ELi32ELi8ELi32ELi8ELi8ELi32ELc84ELc78EKPKDF16_S3_KPDF16_EEvlllT_PT11_llS8_llS6_PT12_llPT13_lli
    .private_segment_fixed_size: 0
    .sgpr_count:     38
    .sgpr_spill_count: 0
    .symbol:         _ZN12_GLOBAL__N_127rocblas_gemm_batched_kernelIfLi16ELi16ELi32ELi32ELi8ELi32ELi8ELi8ELi32ELc84ELc78EKPKDF16_S3_KPDF16_EEvlllT_PT11_llS8_llS6_PT12_llPT13_lli.kd
    .uniform_work_group_size: 1
    .uses_dynamic_stack: false
    .vgpr_count:     46
    .vgpr_spill_count: 0
    .wavefront_size: 32
    .workgroup_processor_mode: 1
  - .args:
      - .offset:         0
        .size:           8
        .value_kind:     by_value
      - .offset:         8
        .size:           8
        .value_kind:     by_value
      - .offset:         16
        .size:           8
        .value_kind:     by_value
      - .offset:         24
        .size:           4
        .value_kind:     by_value
      - .address_space:  global
        .offset:         32
        .size:           8
        .value_kind:     global_buffer
      - .offset:         40
        .size:           8
        .value_kind:     by_value
      - .offset:         48
        .size:           8
        .value_kind:     by_value
      - .address_space:  global
        .offset:         56
        .size:           8
        .value_kind:     global_buffer
      - .offset:         64
        .size:           8
        .value_kind:     by_value
      - .offset:         72
        .size:           8
        .value_kind:     by_value
      - .offset:         80
        .size:           4
        .value_kind:     by_value
      - .address_space:  global
        .offset:         88
        .size:           8
        .value_kind:     global_buffer
      - .offset:         96
        .size:           8
        .value_kind:     by_value
      - .offset:         104
        .size:           8
        .value_kind:     by_value
      - .address_space:  global
        .offset:         112
        .size:           8
        .value_kind:     global_buffer
      - .offset:         120
        .size:           8
        .value_kind:     by_value
      - .offset:         128
        .size:           8
        .value_kind:     by_value
      - .offset:         136
        .size:           4
        .value_kind:     by_value
    .group_segment_fixed_size: 2048
    .kernarg_segment_align: 8
    .kernarg_segment_size: 140
    .language:       OpenCL C
    .language_version:
      - 2
      - 0
    .max_flat_workgroup_size: 256
    .name:           _ZN12_GLOBAL__N_127rocblas_gemm_batched_kernelIfLi16ELi16ELi32ELi32ELi8ELi32ELi8ELi8ELi32ELc78ELc84EKPKDF16_S3_KPDF16_EEvlllT_PT11_llS8_llS6_PT12_llPT13_lli
    .private_segment_fixed_size: 0
    .sgpr_count:     38
    .sgpr_spill_count: 0
    .symbol:         _ZN12_GLOBAL__N_127rocblas_gemm_batched_kernelIfLi16ELi16ELi32ELi32ELi8ELi32ELi8ELi8ELi32ELc78ELc84EKPKDF16_S3_KPDF16_EEvlllT_PT11_llS8_llS6_PT12_llPT13_lli.kd
    .uniform_work_group_size: 1
    .uses_dynamic_stack: false
    .vgpr_count:     46
    .vgpr_spill_count: 0
    .wavefront_size: 32
    .workgroup_processor_mode: 1
  - .args:
      - .offset:         0
        .size:           8
        .value_kind:     by_value
      - .offset:         8
        .size:           8
        .value_kind:     by_value
      - .offset:         16
        .size:           8
        .value_kind:     by_value
      - .offset:         24
        .size:           4
        .value_kind:     by_value
      - .address_space:  global
        .offset:         32
        .size:           8
        .value_kind:     global_buffer
      - .offset:         40
        .size:           8
        .value_kind:     by_value
      - .offset:         48
        .size:           8
        .value_kind:     by_value
      - .address_space:  global
        .offset:         56
        .size:           8
        .value_kind:     global_buffer
      - .offset:         64
        .size:           8
        .value_kind:     by_value
      - .offset:         72
        .size:           8
        .value_kind:     by_value
      - .offset:         80
        .size:           4
        .value_kind:     by_value
      - .address_space:  global
        .offset:         88
        .size:           8
        .value_kind:     global_buffer
      - .offset:         96
        .size:           8
        .value_kind:     by_value
      - .offset:         104
        .size:           8
        .value_kind:     by_value
      - .address_space:  global
        .offset:         112
        .size:           8
        .value_kind:     global_buffer
      - .offset:         120
        .size:           8
        .value_kind:     by_value
      - .offset:         128
        .size:           8
        .value_kind:     by_value
      - .offset:         136
        .size:           4
        .value_kind:     by_value
    .group_segment_fixed_size: 2048
    .kernarg_segment_align: 8
    .kernarg_segment_size: 140
    .language:       OpenCL C
    .language_version:
      - 2
      - 0
    .max_flat_workgroup_size: 256
    .name:           _ZN12_GLOBAL__N_127rocblas_gemm_batched_kernelIfLi16ELi16ELi32ELi32ELi8ELi32ELi8ELi8ELi32ELc84ELc84EKPKDF16_S3_KPDF16_EEvlllT_PT11_llS8_llS6_PT12_llPT13_lli
    .private_segment_fixed_size: 0
    .sgpr_count:     38
    .sgpr_spill_count: 0
    .symbol:         _ZN12_GLOBAL__N_127rocblas_gemm_batched_kernelIfLi16ELi16ELi32ELi32ELi8ELi32ELi8ELi8ELi32ELc84ELc84EKPKDF16_S3_KPDF16_EEvlllT_PT11_llS8_llS6_PT12_llPT13_lli.kd
    .uniform_work_group_size: 1
    .uses_dynamic_stack: false
    .vgpr_count:     46
    .vgpr_spill_count: 0
    .wavefront_size: 32
    .workgroup_processor_mode: 1
  - .args:
      - .offset:         0
        .size:           8
        .value_kind:     by_value
      - .offset:         8
        .size:           8
        .value_kind:     by_value
      - .offset:         16
        .size:           8
        .value_kind:     by_value
      - .offset:         24
        .size:           4
        .value_kind:     by_value
      - .address_space:  global
        .offset:         32
        .size:           8
        .value_kind:     global_buffer
      - .offset:         40
        .size:           8
        .value_kind:     by_value
      - .offset:         48
        .size:           8
        .value_kind:     by_value
      - .address_space:  global
        .offset:         56
        .size:           8
        .value_kind:     global_buffer
      - .offset:         64
        .size:           8
        .value_kind:     by_value
      - .offset:         72
        .size:           8
        .value_kind:     by_value
      - .offset:         80
        .size:           4
        .value_kind:     by_value
      - .address_space:  global
        .offset:         88
        .size:           8
        .value_kind:     global_buffer
      - .offset:         96
        .size:           8
        .value_kind:     by_value
      - .offset:         104
        .size:           8
        .value_kind:     by_value
      - .address_space:  global
        .offset:         112
        .size:           8
        .value_kind:     global_buffer
      - .offset:         120
        .size:           8
        .value_kind:     by_value
      - .offset:         128
        .size:           8
        .value_kind:     by_value
      - .offset:         136
        .size:           4
        .value_kind:     by_value
    .group_segment_fixed_size: 2048
    .kernarg_segment_align: 8
    .kernarg_segment_size: 140
    .language:       OpenCL C
    .language_version:
      - 2
      - 0
    .max_flat_workgroup_size: 256
    .name:           _ZN12_GLOBAL__N_127rocblas_gemm_batched_kernelIfLi16ELi16ELi32ELi32ELi8ELi32ELi8ELi8ELi32ELc67ELc67EKPKDF16_S3_KPDF16_EEvlllT_PT11_llS8_llS6_PT12_llPT13_lli
    .private_segment_fixed_size: 0
    .sgpr_count:     38
    .sgpr_spill_count: 0
    .symbol:         _ZN12_GLOBAL__N_127rocblas_gemm_batched_kernelIfLi16ELi16ELi32ELi32ELi8ELi32ELi8ELi8ELi32ELc67ELc67EKPKDF16_S3_KPDF16_EEvlllT_PT11_llS8_llS6_PT12_llPT13_lli.kd
    .uniform_work_group_size: 1
    .uses_dynamic_stack: false
    .vgpr_count:     46
    .vgpr_spill_count: 0
    .wavefront_size: 32
    .workgroup_processor_mode: 1
  - .args:
      - .offset:         0
        .size:           8
        .value_kind:     by_value
      - .offset:         8
        .size:           8
        .value_kind:     by_value
      - .offset:         16
        .size:           8
        .value_kind:     by_value
      - .offset:         24
        .size:           4
        .value_kind:     by_value
      - .address_space:  global
        .offset:         32
        .size:           8
        .value_kind:     global_buffer
      - .offset:         40
        .size:           8
        .value_kind:     by_value
      - .offset:         48
        .size:           8
        .value_kind:     by_value
      - .address_space:  global
        .offset:         56
        .size:           8
        .value_kind:     global_buffer
      - .offset:         64
        .size:           8
        .value_kind:     by_value
      - .offset:         72
        .size:           8
        .value_kind:     by_value
      - .offset:         80
        .size:           4
        .value_kind:     by_value
      - .address_space:  global
        .offset:         88
        .size:           8
        .value_kind:     global_buffer
      - .offset:         96
        .size:           8
        .value_kind:     by_value
      - .offset:         104
        .size:           8
        .value_kind:     by_value
      - .address_space:  global
        .offset:         112
        .size:           8
        .value_kind:     global_buffer
      - .offset:         120
        .size:           8
        .value_kind:     by_value
      - .offset:         128
        .size:           8
        .value_kind:     by_value
      - .offset:         136
        .size:           4
        .value_kind:     by_value
    .group_segment_fixed_size: 2048
    .kernarg_segment_align: 8
    .kernarg_segment_size: 140
    .language:       OpenCL C
    .language_version:
      - 2
      - 0
    .max_flat_workgroup_size: 256
    .name:           _ZN12_GLOBAL__N_127rocblas_gemm_batched_kernelIfLi16ELi16ELi32ELi32ELi8ELi32ELi8ELi8ELi32ELc67ELc78EKPKDF16_S3_KPDF16_EEvlllT_PT11_llS8_llS6_PT12_llPT13_lli
    .private_segment_fixed_size: 0
    .sgpr_count:     38
    .sgpr_spill_count: 0
    .symbol:         _ZN12_GLOBAL__N_127rocblas_gemm_batched_kernelIfLi16ELi16ELi32ELi32ELi8ELi32ELi8ELi8ELi32ELc67ELc78EKPKDF16_S3_KPDF16_EEvlllT_PT11_llS8_llS6_PT12_llPT13_lli.kd
    .uniform_work_group_size: 1
    .uses_dynamic_stack: false
    .vgpr_count:     46
    .vgpr_spill_count: 0
    .wavefront_size: 32
    .workgroup_processor_mode: 1
  - .args:
      - .offset:         0
        .size:           8
        .value_kind:     by_value
      - .offset:         8
        .size:           8
        .value_kind:     by_value
      - .offset:         16
        .size:           8
        .value_kind:     by_value
      - .offset:         24
        .size:           4
        .value_kind:     by_value
      - .address_space:  global
        .offset:         32
        .size:           8
        .value_kind:     global_buffer
      - .offset:         40
        .size:           8
        .value_kind:     by_value
      - .offset:         48
        .size:           8
        .value_kind:     by_value
      - .address_space:  global
        .offset:         56
        .size:           8
        .value_kind:     global_buffer
      - .offset:         64
        .size:           8
        .value_kind:     by_value
      - .offset:         72
        .size:           8
        .value_kind:     by_value
      - .offset:         80
        .size:           4
        .value_kind:     by_value
      - .address_space:  global
        .offset:         88
        .size:           8
        .value_kind:     global_buffer
      - .offset:         96
        .size:           8
        .value_kind:     by_value
      - .offset:         104
        .size:           8
        .value_kind:     by_value
      - .address_space:  global
        .offset:         112
        .size:           8
        .value_kind:     global_buffer
      - .offset:         120
        .size:           8
        .value_kind:     by_value
      - .offset:         128
        .size:           8
        .value_kind:     by_value
      - .offset:         136
        .size:           4
        .value_kind:     by_value
    .group_segment_fixed_size: 2048
    .kernarg_segment_align: 8
    .kernarg_segment_size: 140
    .language:       OpenCL C
    .language_version:
      - 2
      - 0
    .max_flat_workgroup_size: 256
    .name:           _ZN12_GLOBAL__N_127rocblas_gemm_batched_kernelIfLi16ELi16ELi32ELi32ELi8ELi32ELi8ELi8ELi32ELc67ELc84EKPKDF16_S3_KPDF16_EEvlllT_PT11_llS8_llS6_PT12_llPT13_lli
    .private_segment_fixed_size: 0
    .sgpr_count:     38
    .sgpr_spill_count: 0
    .symbol:         _ZN12_GLOBAL__N_127rocblas_gemm_batched_kernelIfLi16ELi16ELi32ELi32ELi8ELi32ELi8ELi8ELi32ELc67ELc84EKPKDF16_S3_KPDF16_EEvlllT_PT11_llS8_llS6_PT12_llPT13_lli.kd
    .uniform_work_group_size: 1
    .uses_dynamic_stack: false
    .vgpr_count:     46
    .vgpr_spill_count: 0
    .wavefront_size: 32
    .workgroup_processor_mode: 1
  - .args:
      - .offset:         0
        .size:           8
        .value_kind:     by_value
      - .offset:         8
        .size:           8
        .value_kind:     by_value
      - .offset:         16
        .size:           8
        .value_kind:     by_value
      - .offset:         24
        .size:           4
        .value_kind:     by_value
      - .address_space:  global
        .offset:         32
        .size:           8
        .value_kind:     global_buffer
      - .offset:         40
        .size:           8
        .value_kind:     by_value
      - .offset:         48
        .size:           8
        .value_kind:     by_value
      - .address_space:  global
        .offset:         56
        .size:           8
        .value_kind:     global_buffer
      - .offset:         64
        .size:           8
        .value_kind:     by_value
      - .offset:         72
        .size:           8
        .value_kind:     by_value
      - .offset:         80
        .size:           4
        .value_kind:     by_value
      - .address_space:  global
        .offset:         88
        .size:           8
        .value_kind:     global_buffer
      - .offset:         96
        .size:           8
        .value_kind:     by_value
      - .offset:         104
        .size:           8
        .value_kind:     by_value
      - .address_space:  global
        .offset:         112
        .size:           8
        .value_kind:     global_buffer
      - .offset:         120
        .size:           8
        .value_kind:     by_value
      - .offset:         128
        .size:           8
        .value_kind:     by_value
      - .offset:         136
        .size:           4
        .value_kind:     by_value
    .group_segment_fixed_size: 2048
    .kernarg_segment_align: 8
    .kernarg_segment_size: 140
    .language:       OpenCL C
    .language_version:
      - 2
      - 0
    .max_flat_workgroup_size: 256
    .name:           _ZN12_GLOBAL__N_127rocblas_gemm_batched_kernelIfLi16ELi16ELi32ELi32ELi8ELi32ELi8ELi8ELi32ELc78ELc67EKPKDF16_S3_KPDF16_EEvlllT_PT11_llS8_llS6_PT12_llPT13_lli
    .private_segment_fixed_size: 0
    .sgpr_count:     38
    .sgpr_spill_count: 0
    .symbol:         _ZN12_GLOBAL__N_127rocblas_gemm_batched_kernelIfLi16ELi16ELi32ELi32ELi8ELi32ELi8ELi8ELi32ELc78ELc67EKPKDF16_S3_KPDF16_EEvlllT_PT11_llS8_llS6_PT12_llPT13_lli.kd
    .uniform_work_group_size: 1
    .uses_dynamic_stack: false
    .vgpr_count:     46
    .vgpr_spill_count: 0
    .wavefront_size: 32
    .workgroup_processor_mode: 1
  - .args:
      - .offset:         0
        .size:           8
        .value_kind:     by_value
      - .offset:         8
        .size:           8
        .value_kind:     by_value
      - .offset:         16
        .size:           8
        .value_kind:     by_value
      - .offset:         24
        .size:           4
        .value_kind:     by_value
      - .address_space:  global
        .offset:         32
        .size:           8
        .value_kind:     global_buffer
      - .offset:         40
        .size:           8
        .value_kind:     by_value
      - .offset:         48
        .size:           8
        .value_kind:     by_value
      - .address_space:  global
        .offset:         56
        .size:           8
        .value_kind:     global_buffer
      - .offset:         64
        .size:           8
        .value_kind:     by_value
      - .offset:         72
        .size:           8
        .value_kind:     by_value
      - .offset:         80
        .size:           4
        .value_kind:     by_value
      - .address_space:  global
        .offset:         88
        .size:           8
        .value_kind:     global_buffer
      - .offset:         96
        .size:           8
        .value_kind:     by_value
      - .offset:         104
        .size:           8
        .value_kind:     by_value
      - .address_space:  global
        .offset:         112
        .size:           8
        .value_kind:     global_buffer
      - .offset:         120
        .size:           8
        .value_kind:     by_value
      - .offset:         128
        .size:           8
        .value_kind:     by_value
      - .offset:         136
        .size:           4
        .value_kind:     by_value
    .group_segment_fixed_size: 2048
    .kernarg_segment_align: 8
    .kernarg_segment_size: 140
    .language:       OpenCL C
    .language_version:
      - 2
      - 0
    .max_flat_workgroup_size: 256
    .name:           _ZN12_GLOBAL__N_127rocblas_gemm_batched_kernelIfLi16ELi16ELi32ELi32ELi8ELi32ELi8ELi8ELi32ELc84ELc67EKPKDF16_S3_KPDF16_EEvlllT_PT11_llS8_llS6_PT12_llPT13_lli
    .private_segment_fixed_size: 0
    .sgpr_count:     38
    .sgpr_spill_count: 0
    .symbol:         _ZN12_GLOBAL__N_127rocblas_gemm_batched_kernelIfLi16ELi16ELi32ELi32ELi8ELi32ELi8ELi8ELi32ELc84ELc67EKPKDF16_S3_KPDF16_EEvlllT_PT11_llS8_llS6_PT12_llPT13_lli.kd
    .uniform_work_group_size: 1
    .uses_dynamic_stack: false
    .vgpr_count:     46
    .vgpr_spill_count: 0
    .wavefront_size: 32
    .workgroup_processor_mode: 1
  - .args:
      - .offset:         0
        .size:           8
        .value_kind:     by_value
      - .offset:         8
        .size:           8
        .value_kind:     by_value
      - .offset:         16
        .size:           8
        .value_kind:     by_value
      - .offset:         24
        .size:           4
        .value_kind:     by_value
      - .address_space:  global
        .offset:         32
        .size:           8
        .value_kind:     global_buffer
      - .offset:         40
        .size:           8
        .value_kind:     by_value
      - .offset:         48
        .size:           8
        .value_kind:     by_value
      - .address_space:  global
        .offset:         56
        .size:           8
        .value_kind:     global_buffer
      - .offset:         64
        .size:           8
        .value_kind:     by_value
      - .offset:         72
        .size:           8
        .value_kind:     by_value
      - .offset:         80
        .size:           4
        .value_kind:     by_value
      - .address_space:  global
        .offset:         88
        .size:           8
        .value_kind:     global_buffer
      - .offset:         96
        .size:           8
        .value_kind:     by_value
      - .offset:         104
        .size:           8
        .value_kind:     by_value
      - .address_space:  global
        .offset:         112
        .size:           8
        .value_kind:     global_buffer
      - .offset:         120
        .size:           8
        .value_kind:     by_value
      - .offset:         128
        .size:           8
        .value_kind:     by_value
      - .offset:         136
        .size:           4
        .value_kind:     by_value
    .group_segment_fixed_size: 2048
    .kernarg_segment_align: 8
    .kernarg_segment_size: 140
    .language:       OpenCL C
    .language_version:
      - 2
      - 0
    .max_flat_workgroup_size: 256
    .name:           _ZN12_GLOBAL__N_135rocblas_gemm_batched_general_kernelIfLi16ELi16ELi32ELi32ELi8ELi32ELi8ELi8ELi32ELc78ELc78EKPKDF16_S3_KPDF16_EEvlllT_PT11_llS8_llS6_PT12_llPT13_lli
    .private_segment_fixed_size: 0
    .sgpr_count:     44
    .sgpr_spill_count: 0
    .symbol:         _ZN12_GLOBAL__N_135rocblas_gemm_batched_general_kernelIfLi16ELi16ELi32ELi32ELi8ELi32ELi8ELi8ELi32ELc78ELc78EKPKDF16_S3_KPDF16_EEvlllT_PT11_llS8_llS6_PT12_llPT13_lli.kd
    .uniform_work_group_size: 1
    .uses_dynamic_stack: false
    .vgpr_count:     44
    .vgpr_spill_count: 0
    .wavefront_size: 32
    .workgroup_processor_mode: 1
  - .args:
      - .offset:         0
        .size:           8
        .value_kind:     by_value
      - .offset:         8
        .size:           8
        .value_kind:     by_value
      - .offset:         16
        .size:           8
        .value_kind:     by_value
      - .offset:         24
        .size:           4
        .value_kind:     by_value
      - .address_space:  global
        .offset:         32
        .size:           8
        .value_kind:     global_buffer
      - .offset:         40
        .size:           8
        .value_kind:     by_value
      - .offset:         48
        .size:           8
        .value_kind:     by_value
      - .address_space:  global
        .offset:         56
        .size:           8
        .value_kind:     global_buffer
      - .offset:         64
        .size:           8
        .value_kind:     by_value
      - .offset:         72
        .size:           8
        .value_kind:     by_value
      - .offset:         80
        .size:           4
        .value_kind:     by_value
      - .address_space:  global
        .offset:         88
        .size:           8
        .value_kind:     global_buffer
      - .offset:         96
        .size:           8
        .value_kind:     by_value
      - .offset:         104
        .size:           8
        .value_kind:     by_value
      - .address_space:  global
        .offset:         112
        .size:           8
        .value_kind:     global_buffer
      - .offset:         120
        .size:           8
        .value_kind:     by_value
      - .offset:         128
        .size:           8
        .value_kind:     by_value
      - .offset:         136
        .size:           4
        .value_kind:     by_value
    .group_segment_fixed_size: 2048
    .kernarg_segment_align: 8
    .kernarg_segment_size: 140
    .language:       OpenCL C
    .language_version:
      - 2
      - 0
    .max_flat_workgroup_size: 256
    .name:           _ZN12_GLOBAL__N_135rocblas_gemm_batched_general_kernelIfLi16ELi16ELi32ELi32ELi8ELi32ELi8ELi8ELi32ELc84ELc78EKPKDF16_S3_KPDF16_EEvlllT_PT11_llS8_llS6_PT12_llPT13_lli
    .private_segment_fixed_size: 0
    .sgpr_count:     42
    .sgpr_spill_count: 0
    .symbol:         _ZN12_GLOBAL__N_135rocblas_gemm_batched_general_kernelIfLi16ELi16ELi32ELi32ELi8ELi32ELi8ELi8ELi32ELc84ELc78EKPKDF16_S3_KPDF16_EEvlllT_PT11_llS8_llS6_PT12_llPT13_lli.kd
    .uniform_work_group_size: 1
    .uses_dynamic_stack: false
    .vgpr_count:     44
    .vgpr_spill_count: 0
    .wavefront_size: 32
    .workgroup_processor_mode: 1
  - .args:
      - .offset:         0
        .size:           8
        .value_kind:     by_value
      - .offset:         8
        .size:           8
        .value_kind:     by_value
      - .offset:         16
        .size:           8
        .value_kind:     by_value
      - .offset:         24
        .size:           4
        .value_kind:     by_value
      - .address_space:  global
        .offset:         32
        .size:           8
        .value_kind:     global_buffer
      - .offset:         40
        .size:           8
        .value_kind:     by_value
      - .offset:         48
        .size:           8
        .value_kind:     by_value
      - .address_space:  global
        .offset:         56
        .size:           8
        .value_kind:     global_buffer
      - .offset:         64
        .size:           8
        .value_kind:     by_value
      - .offset:         72
        .size:           8
        .value_kind:     by_value
      - .offset:         80
        .size:           4
        .value_kind:     by_value
      - .address_space:  global
        .offset:         88
        .size:           8
        .value_kind:     global_buffer
      - .offset:         96
        .size:           8
        .value_kind:     by_value
      - .offset:         104
        .size:           8
        .value_kind:     by_value
      - .address_space:  global
        .offset:         112
        .size:           8
        .value_kind:     global_buffer
      - .offset:         120
        .size:           8
        .value_kind:     by_value
      - .offset:         128
        .size:           8
        .value_kind:     by_value
      - .offset:         136
        .size:           4
        .value_kind:     by_value
    .group_segment_fixed_size: 2048
    .kernarg_segment_align: 8
    .kernarg_segment_size: 140
    .language:       OpenCL C
    .language_version:
      - 2
      - 0
    .max_flat_workgroup_size: 256
    .name:           _ZN12_GLOBAL__N_135rocblas_gemm_batched_general_kernelIfLi16ELi16ELi32ELi32ELi8ELi32ELi8ELi8ELi32ELc78ELc84EKPKDF16_S3_KPDF16_EEvlllT_PT11_llS8_llS6_PT12_llPT13_lli
    .private_segment_fixed_size: 0
    .sgpr_count:     48
    .sgpr_spill_count: 0
    .symbol:         _ZN12_GLOBAL__N_135rocblas_gemm_batched_general_kernelIfLi16ELi16ELi32ELi32ELi8ELi32ELi8ELi8ELi32ELc78ELc84EKPKDF16_S3_KPDF16_EEvlllT_PT11_llS8_llS6_PT12_llPT13_lli.kd
    .uniform_work_group_size: 1
    .uses_dynamic_stack: false
    .vgpr_count:     44
    .vgpr_spill_count: 0
    .wavefront_size: 32
    .workgroup_processor_mode: 1
  - .args:
      - .offset:         0
        .size:           8
        .value_kind:     by_value
      - .offset:         8
        .size:           8
        .value_kind:     by_value
      - .offset:         16
        .size:           8
        .value_kind:     by_value
      - .offset:         24
        .size:           4
        .value_kind:     by_value
      - .address_space:  global
        .offset:         32
        .size:           8
        .value_kind:     global_buffer
      - .offset:         40
        .size:           8
        .value_kind:     by_value
      - .offset:         48
        .size:           8
        .value_kind:     by_value
      - .address_space:  global
        .offset:         56
        .size:           8
        .value_kind:     global_buffer
      - .offset:         64
        .size:           8
        .value_kind:     by_value
      - .offset:         72
        .size:           8
        .value_kind:     by_value
      - .offset:         80
        .size:           4
        .value_kind:     by_value
      - .address_space:  global
        .offset:         88
        .size:           8
        .value_kind:     global_buffer
      - .offset:         96
        .size:           8
        .value_kind:     by_value
      - .offset:         104
        .size:           8
        .value_kind:     by_value
      - .address_space:  global
        .offset:         112
        .size:           8
        .value_kind:     global_buffer
      - .offset:         120
        .size:           8
        .value_kind:     by_value
      - .offset:         128
        .size:           8
        .value_kind:     by_value
      - .offset:         136
        .size:           4
        .value_kind:     by_value
    .group_segment_fixed_size: 2048
    .kernarg_segment_align: 8
    .kernarg_segment_size: 140
    .language:       OpenCL C
    .language_version:
      - 2
      - 0
    .max_flat_workgroup_size: 256
    .name:           _ZN12_GLOBAL__N_135rocblas_gemm_batched_general_kernelIfLi16ELi16ELi32ELi32ELi8ELi32ELi8ELi8ELi32ELc84ELc84EKPKDF16_S3_KPDF16_EEvlllT_PT11_llS8_llS6_PT12_llPT13_lli
    .private_segment_fixed_size: 0
    .sgpr_count:     46
    .sgpr_spill_count: 0
    .symbol:         _ZN12_GLOBAL__N_135rocblas_gemm_batched_general_kernelIfLi16ELi16ELi32ELi32ELi8ELi32ELi8ELi8ELi32ELc84ELc84EKPKDF16_S3_KPDF16_EEvlllT_PT11_llS8_llS6_PT12_llPT13_lli.kd
    .uniform_work_group_size: 1
    .uses_dynamic_stack: false
    .vgpr_count:     44
    .vgpr_spill_count: 0
    .wavefront_size: 32
    .workgroup_processor_mode: 1
  - .args:
      - .offset:         0
        .size:           8
        .value_kind:     by_value
      - .offset:         8
        .size:           8
        .value_kind:     by_value
      - .offset:         16
        .size:           8
        .value_kind:     by_value
      - .offset:         24
        .size:           4
        .value_kind:     by_value
      - .address_space:  global
        .offset:         32
        .size:           8
        .value_kind:     global_buffer
      - .offset:         40
        .size:           8
        .value_kind:     by_value
      - .offset:         48
        .size:           8
        .value_kind:     by_value
      - .address_space:  global
        .offset:         56
        .size:           8
        .value_kind:     global_buffer
      - .offset:         64
        .size:           8
        .value_kind:     by_value
      - .offset:         72
        .size:           8
        .value_kind:     by_value
      - .offset:         80
        .size:           4
        .value_kind:     by_value
      - .address_space:  global
        .offset:         88
        .size:           8
        .value_kind:     global_buffer
      - .offset:         96
        .size:           8
        .value_kind:     by_value
      - .offset:         104
        .size:           8
        .value_kind:     by_value
      - .address_space:  global
        .offset:         112
        .size:           8
        .value_kind:     global_buffer
      - .offset:         120
        .size:           8
        .value_kind:     by_value
      - .offset:         128
        .size:           8
        .value_kind:     by_value
      - .offset:         136
        .size:           4
        .value_kind:     by_value
    .group_segment_fixed_size: 2048
    .kernarg_segment_align: 8
    .kernarg_segment_size: 140
    .language:       OpenCL C
    .language_version:
      - 2
      - 0
    .max_flat_workgroup_size: 256
    .name:           _ZN12_GLOBAL__N_135rocblas_gemm_batched_general_kernelIfLi16ELi16ELi32ELi32ELi8ELi32ELi8ELi8ELi32ELc67ELc67EKPKDF16_S3_KPDF16_EEvlllT_PT11_llS8_llS6_PT12_llPT13_lli
    .private_segment_fixed_size: 0
    .sgpr_count:     46
    .sgpr_spill_count: 0
    .symbol:         _ZN12_GLOBAL__N_135rocblas_gemm_batched_general_kernelIfLi16ELi16ELi32ELi32ELi8ELi32ELi8ELi8ELi32ELc67ELc67EKPKDF16_S3_KPDF16_EEvlllT_PT11_llS8_llS6_PT12_llPT13_lli.kd
    .uniform_work_group_size: 1
    .uses_dynamic_stack: false
    .vgpr_count:     44
    .vgpr_spill_count: 0
    .wavefront_size: 32
    .workgroup_processor_mode: 1
  - .args:
      - .offset:         0
        .size:           8
        .value_kind:     by_value
      - .offset:         8
        .size:           8
        .value_kind:     by_value
      - .offset:         16
        .size:           8
        .value_kind:     by_value
      - .offset:         24
        .size:           4
        .value_kind:     by_value
      - .address_space:  global
        .offset:         32
        .size:           8
        .value_kind:     global_buffer
      - .offset:         40
        .size:           8
        .value_kind:     by_value
      - .offset:         48
        .size:           8
        .value_kind:     by_value
      - .address_space:  global
        .offset:         56
        .size:           8
        .value_kind:     global_buffer
      - .offset:         64
        .size:           8
        .value_kind:     by_value
      - .offset:         72
        .size:           8
        .value_kind:     by_value
      - .offset:         80
        .size:           4
        .value_kind:     by_value
      - .address_space:  global
        .offset:         88
        .size:           8
        .value_kind:     global_buffer
      - .offset:         96
        .size:           8
        .value_kind:     by_value
      - .offset:         104
        .size:           8
        .value_kind:     by_value
      - .address_space:  global
        .offset:         112
        .size:           8
        .value_kind:     global_buffer
      - .offset:         120
        .size:           8
        .value_kind:     by_value
      - .offset:         128
        .size:           8
        .value_kind:     by_value
      - .offset:         136
        .size:           4
        .value_kind:     by_value
    .group_segment_fixed_size: 2048
    .kernarg_segment_align: 8
    .kernarg_segment_size: 140
    .language:       OpenCL C
    .language_version:
      - 2
      - 0
    .max_flat_workgroup_size: 256
    .name:           _ZN12_GLOBAL__N_135rocblas_gemm_batched_general_kernelIfLi16ELi16ELi32ELi32ELi8ELi32ELi8ELi8ELi32ELc67ELc78EKPKDF16_S3_KPDF16_EEvlllT_PT11_llS8_llS6_PT12_llPT13_lli
    .private_segment_fixed_size: 0
    .sgpr_count:     42
    .sgpr_spill_count: 0
    .symbol:         _ZN12_GLOBAL__N_135rocblas_gemm_batched_general_kernelIfLi16ELi16ELi32ELi32ELi8ELi32ELi8ELi8ELi32ELc67ELc78EKPKDF16_S3_KPDF16_EEvlllT_PT11_llS8_llS6_PT12_llPT13_lli.kd
    .uniform_work_group_size: 1
    .uses_dynamic_stack: false
    .vgpr_count:     44
    .vgpr_spill_count: 0
    .wavefront_size: 32
    .workgroup_processor_mode: 1
  - .args:
      - .offset:         0
        .size:           8
        .value_kind:     by_value
      - .offset:         8
        .size:           8
        .value_kind:     by_value
      - .offset:         16
        .size:           8
        .value_kind:     by_value
      - .offset:         24
        .size:           4
        .value_kind:     by_value
      - .address_space:  global
        .offset:         32
        .size:           8
        .value_kind:     global_buffer
      - .offset:         40
        .size:           8
        .value_kind:     by_value
      - .offset:         48
        .size:           8
        .value_kind:     by_value
      - .address_space:  global
        .offset:         56
        .size:           8
        .value_kind:     global_buffer
      - .offset:         64
        .size:           8
        .value_kind:     by_value
      - .offset:         72
        .size:           8
        .value_kind:     by_value
      - .offset:         80
        .size:           4
        .value_kind:     by_value
      - .address_space:  global
        .offset:         88
        .size:           8
        .value_kind:     global_buffer
      - .offset:         96
        .size:           8
        .value_kind:     by_value
      - .offset:         104
        .size:           8
        .value_kind:     by_value
      - .address_space:  global
        .offset:         112
        .size:           8
        .value_kind:     global_buffer
      - .offset:         120
        .size:           8
        .value_kind:     by_value
      - .offset:         128
        .size:           8
        .value_kind:     by_value
      - .offset:         136
        .size:           4
        .value_kind:     by_value
    .group_segment_fixed_size: 2048
    .kernarg_segment_align: 8
    .kernarg_segment_size: 140
    .language:       OpenCL C
    .language_version:
      - 2
      - 0
    .max_flat_workgroup_size: 256
    .name:           _ZN12_GLOBAL__N_135rocblas_gemm_batched_general_kernelIfLi16ELi16ELi32ELi32ELi8ELi32ELi8ELi8ELi32ELc67ELc84EKPKDF16_S3_KPDF16_EEvlllT_PT11_llS8_llS6_PT12_llPT13_lli
    .private_segment_fixed_size: 0
    .sgpr_count:     46
    .sgpr_spill_count: 0
    .symbol:         _ZN12_GLOBAL__N_135rocblas_gemm_batched_general_kernelIfLi16ELi16ELi32ELi32ELi8ELi32ELi8ELi8ELi32ELc67ELc84EKPKDF16_S3_KPDF16_EEvlllT_PT11_llS8_llS6_PT12_llPT13_lli.kd
    .uniform_work_group_size: 1
    .uses_dynamic_stack: false
    .vgpr_count:     44
    .vgpr_spill_count: 0
    .wavefront_size: 32
    .workgroup_processor_mode: 1
  - .args:
      - .offset:         0
        .size:           8
        .value_kind:     by_value
      - .offset:         8
        .size:           8
        .value_kind:     by_value
      - .offset:         16
        .size:           8
        .value_kind:     by_value
      - .offset:         24
        .size:           4
        .value_kind:     by_value
      - .address_space:  global
        .offset:         32
        .size:           8
        .value_kind:     global_buffer
      - .offset:         40
        .size:           8
        .value_kind:     by_value
      - .offset:         48
        .size:           8
        .value_kind:     by_value
      - .address_space:  global
        .offset:         56
        .size:           8
        .value_kind:     global_buffer
      - .offset:         64
        .size:           8
        .value_kind:     by_value
      - .offset:         72
        .size:           8
        .value_kind:     by_value
      - .offset:         80
        .size:           4
        .value_kind:     by_value
      - .address_space:  global
        .offset:         88
        .size:           8
        .value_kind:     global_buffer
      - .offset:         96
        .size:           8
        .value_kind:     by_value
      - .offset:         104
        .size:           8
        .value_kind:     by_value
      - .address_space:  global
        .offset:         112
        .size:           8
        .value_kind:     global_buffer
      - .offset:         120
        .size:           8
        .value_kind:     by_value
      - .offset:         128
        .size:           8
        .value_kind:     by_value
      - .offset:         136
        .size:           4
        .value_kind:     by_value
    .group_segment_fixed_size: 2048
    .kernarg_segment_align: 8
    .kernarg_segment_size: 140
    .language:       OpenCL C
    .language_version:
      - 2
      - 0
    .max_flat_workgroup_size: 256
    .name:           _ZN12_GLOBAL__N_135rocblas_gemm_batched_general_kernelIfLi16ELi16ELi32ELi32ELi8ELi32ELi8ELi8ELi32ELc78ELc67EKPKDF16_S3_KPDF16_EEvlllT_PT11_llS8_llS6_PT12_llPT13_lli
    .private_segment_fixed_size: 0
    .sgpr_count:     48
    .sgpr_spill_count: 0
    .symbol:         _ZN12_GLOBAL__N_135rocblas_gemm_batched_general_kernelIfLi16ELi16ELi32ELi32ELi8ELi32ELi8ELi8ELi32ELc78ELc67EKPKDF16_S3_KPDF16_EEvlllT_PT11_llS8_llS6_PT12_llPT13_lli.kd
    .uniform_work_group_size: 1
    .uses_dynamic_stack: false
    .vgpr_count:     44
    .vgpr_spill_count: 0
    .wavefront_size: 32
    .workgroup_processor_mode: 1
  - .args:
      - .offset:         0
        .size:           8
        .value_kind:     by_value
      - .offset:         8
        .size:           8
        .value_kind:     by_value
      - .offset:         16
        .size:           8
        .value_kind:     by_value
      - .offset:         24
        .size:           4
        .value_kind:     by_value
      - .address_space:  global
        .offset:         32
        .size:           8
        .value_kind:     global_buffer
      - .offset:         40
        .size:           8
        .value_kind:     by_value
      - .offset:         48
        .size:           8
        .value_kind:     by_value
      - .address_space:  global
        .offset:         56
        .size:           8
        .value_kind:     global_buffer
      - .offset:         64
        .size:           8
        .value_kind:     by_value
      - .offset:         72
        .size:           8
        .value_kind:     by_value
      - .offset:         80
        .size:           4
        .value_kind:     by_value
      - .address_space:  global
        .offset:         88
        .size:           8
        .value_kind:     global_buffer
      - .offset:         96
        .size:           8
        .value_kind:     by_value
      - .offset:         104
        .size:           8
        .value_kind:     by_value
      - .address_space:  global
        .offset:         112
        .size:           8
        .value_kind:     global_buffer
      - .offset:         120
        .size:           8
        .value_kind:     by_value
      - .offset:         128
        .size:           8
        .value_kind:     by_value
      - .offset:         136
        .size:           4
        .value_kind:     by_value
    .group_segment_fixed_size: 2048
    .kernarg_segment_align: 8
    .kernarg_segment_size: 140
    .language:       OpenCL C
    .language_version:
      - 2
      - 0
    .max_flat_workgroup_size: 256
    .name:           _ZN12_GLOBAL__N_135rocblas_gemm_batched_general_kernelIfLi16ELi16ELi32ELi32ELi8ELi32ELi8ELi8ELi32ELc84ELc67EKPKDF16_S3_KPDF16_EEvlllT_PT11_llS8_llS6_PT12_llPT13_lli
    .private_segment_fixed_size: 0
    .sgpr_count:     46
    .sgpr_spill_count: 0
    .symbol:         _ZN12_GLOBAL__N_135rocblas_gemm_batched_general_kernelIfLi16ELi16ELi32ELi32ELi8ELi32ELi8ELi8ELi32ELc84ELc67EKPKDF16_S3_KPDF16_EEvlllT_PT11_llS8_llS6_PT12_llPT13_lli.kd
    .uniform_work_group_size: 1
    .uses_dynamic_stack: false
    .vgpr_count:     44
    .vgpr_spill_count: 0
    .wavefront_size: 32
    .workgroup_processor_mode: 1
  - .args:
      - .offset:         0
        .size:           8
        .value_kind:     by_value
      - .offset:         8
        .size:           8
        .value_kind:     by_value
      - .offset:         16
        .size:           8
        .value_kind:     by_value
      - .offset:         24
        .size:           4
        .value_kind:     by_value
      - .address_space:  global
        .offset:         32
        .size:           8
        .value_kind:     global_buffer
      - .offset:         40
        .size:           8
        .value_kind:     by_value
      - .offset:         48
        .size:           8
        .value_kind:     by_value
      - .address_space:  global
        .offset:         56
        .size:           8
        .value_kind:     global_buffer
      - .offset:         64
        .size:           8
        .value_kind:     by_value
      - .offset:         72
        .size:           8
        .value_kind:     by_value
      - .offset:         80
        .size:           4
        .value_kind:     by_value
      - .address_space:  global
        .offset:         88
        .size:           8
        .value_kind:     global_buffer
      - .offset:         96
        .size:           8
        .value_kind:     by_value
      - .offset:         104
        .size:           8
        .value_kind:     by_value
      - .address_space:  global
        .offset:         112
        .size:           8
        .value_kind:     global_buffer
      - .offset:         120
        .size:           8
        .value_kind:     by_value
      - .offset:         128
        .size:           8
        .value_kind:     by_value
      - .offset:         136
        .size:           4
        .value_kind:     by_value
    .group_segment_fixed_size: 2048
    .kernarg_segment_align: 8
    .kernarg_segment_size: 140
    .language:       OpenCL C
    .language_version:
      - 2
      - 0
    .max_flat_workgroup_size: 256
    .name:           _ZN12_GLOBAL__N_127rocblas_gemm_batched_kernelIfLi16ELi16ELi64ELi64ELi4ELi64ELi4ELi4ELi64ELc78ELc78EKPKDF16_KPKfKPfEEvlllT_PT11_llSB_llS9_PT12_llPT13_lli
    .private_segment_fixed_size: 0
    .sgpr_count:     38
    .sgpr_spill_count: 0
    .symbol:         _ZN12_GLOBAL__N_127rocblas_gemm_batched_kernelIfLi16ELi16ELi64ELi64ELi4ELi64ELi4ELi4ELi64ELc78ELc78EKPKDF16_KPKfKPfEEvlllT_PT11_llSB_llS9_PT12_llPT13_lli.kd
    .uniform_work_group_size: 1
    .uses_dynamic_stack: false
    .vgpr_count:     58
    .vgpr_spill_count: 0
    .wavefront_size: 32
    .workgroup_processor_mode: 1
  - .args:
      - .offset:         0
        .size:           8
        .value_kind:     by_value
      - .offset:         8
        .size:           8
        .value_kind:     by_value
      - .offset:         16
        .size:           8
        .value_kind:     by_value
      - .offset:         24
        .size:           4
        .value_kind:     by_value
      - .address_space:  global
        .offset:         32
        .size:           8
        .value_kind:     global_buffer
      - .offset:         40
        .size:           8
        .value_kind:     by_value
      - .offset:         48
        .size:           8
        .value_kind:     by_value
      - .address_space:  global
        .offset:         56
        .size:           8
        .value_kind:     global_buffer
      - .offset:         64
        .size:           8
        .value_kind:     by_value
      - .offset:         72
        .size:           8
        .value_kind:     by_value
      - .offset:         80
        .size:           4
        .value_kind:     by_value
      - .address_space:  global
        .offset:         88
        .size:           8
        .value_kind:     global_buffer
      - .offset:         96
        .size:           8
        .value_kind:     by_value
      - .offset:         104
        .size:           8
        .value_kind:     by_value
      - .address_space:  global
        .offset:         112
        .size:           8
        .value_kind:     global_buffer
      - .offset:         120
        .size:           8
        .value_kind:     by_value
      - .offset:         128
        .size:           8
        .value_kind:     by_value
      - .offset:         136
        .size:           4
        .value_kind:     by_value
    .group_segment_fixed_size: 2048
    .kernarg_segment_align: 8
    .kernarg_segment_size: 140
    .language:       OpenCL C
    .language_version:
      - 2
      - 0
    .max_flat_workgroup_size: 256
    .name:           _ZN12_GLOBAL__N_127rocblas_gemm_batched_kernelIfLi16ELi16ELi64ELi64ELi4ELi64ELi4ELi4ELi64ELc84ELc78EKPKDF16_KPKfKPfEEvlllT_PT11_llSB_llS9_PT12_llPT13_lli
    .private_segment_fixed_size: 0
    .sgpr_count:     38
    .sgpr_spill_count: 0
    .symbol:         _ZN12_GLOBAL__N_127rocblas_gemm_batched_kernelIfLi16ELi16ELi64ELi64ELi4ELi64ELi4ELi4ELi64ELc84ELc78EKPKDF16_KPKfKPfEEvlllT_PT11_llSB_llS9_PT12_llPT13_lli.kd
    .uniform_work_group_size: 1
    .uses_dynamic_stack: false
    .vgpr_count:     58
    .vgpr_spill_count: 0
    .wavefront_size: 32
    .workgroup_processor_mode: 1
  - .args:
      - .offset:         0
        .size:           8
        .value_kind:     by_value
      - .offset:         8
        .size:           8
        .value_kind:     by_value
      - .offset:         16
        .size:           8
        .value_kind:     by_value
      - .offset:         24
        .size:           4
        .value_kind:     by_value
      - .address_space:  global
        .offset:         32
        .size:           8
        .value_kind:     global_buffer
      - .offset:         40
        .size:           8
        .value_kind:     by_value
      - .offset:         48
        .size:           8
        .value_kind:     by_value
      - .address_space:  global
        .offset:         56
        .size:           8
        .value_kind:     global_buffer
      - .offset:         64
        .size:           8
        .value_kind:     by_value
      - .offset:         72
        .size:           8
        .value_kind:     by_value
      - .offset:         80
        .size:           4
        .value_kind:     by_value
      - .address_space:  global
        .offset:         88
        .size:           8
        .value_kind:     global_buffer
      - .offset:         96
        .size:           8
        .value_kind:     by_value
      - .offset:         104
        .size:           8
        .value_kind:     by_value
      - .address_space:  global
        .offset:         112
        .size:           8
        .value_kind:     global_buffer
      - .offset:         120
        .size:           8
        .value_kind:     by_value
      - .offset:         128
        .size:           8
        .value_kind:     by_value
      - .offset:         136
        .size:           4
        .value_kind:     by_value
    .group_segment_fixed_size: 2048
    .kernarg_segment_align: 8
    .kernarg_segment_size: 140
    .language:       OpenCL C
    .language_version:
      - 2
      - 0
    .max_flat_workgroup_size: 256
    .name:           _ZN12_GLOBAL__N_127rocblas_gemm_batched_kernelIfLi16ELi16ELi64ELi64ELi4ELi64ELi4ELi4ELi64ELc78ELc84EKPKDF16_KPKfKPfEEvlllT_PT11_llSB_llS9_PT12_llPT13_lli
    .private_segment_fixed_size: 0
    .sgpr_count:     38
    .sgpr_spill_count: 0
    .symbol:         _ZN12_GLOBAL__N_127rocblas_gemm_batched_kernelIfLi16ELi16ELi64ELi64ELi4ELi64ELi4ELi4ELi64ELc78ELc84EKPKDF16_KPKfKPfEEvlllT_PT11_llSB_llS9_PT12_llPT13_lli.kd
    .uniform_work_group_size: 1
    .uses_dynamic_stack: false
    .vgpr_count:     58
    .vgpr_spill_count: 0
    .wavefront_size: 32
    .workgroup_processor_mode: 1
  - .args:
      - .offset:         0
        .size:           8
        .value_kind:     by_value
      - .offset:         8
        .size:           8
        .value_kind:     by_value
      - .offset:         16
        .size:           8
        .value_kind:     by_value
      - .offset:         24
        .size:           4
        .value_kind:     by_value
      - .address_space:  global
        .offset:         32
        .size:           8
        .value_kind:     global_buffer
      - .offset:         40
        .size:           8
        .value_kind:     by_value
      - .offset:         48
        .size:           8
        .value_kind:     by_value
      - .address_space:  global
        .offset:         56
        .size:           8
        .value_kind:     global_buffer
      - .offset:         64
        .size:           8
        .value_kind:     by_value
      - .offset:         72
        .size:           8
        .value_kind:     by_value
      - .offset:         80
        .size:           4
        .value_kind:     by_value
      - .address_space:  global
        .offset:         88
        .size:           8
        .value_kind:     global_buffer
      - .offset:         96
        .size:           8
        .value_kind:     by_value
      - .offset:         104
        .size:           8
        .value_kind:     by_value
      - .address_space:  global
        .offset:         112
        .size:           8
        .value_kind:     global_buffer
      - .offset:         120
        .size:           8
        .value_kind:     by_value
      - .offset:         128
        .size:           8
        .value_kind:     by_value
      - .offset:         136
        .size:           4
        .value_kind:     by_value
    .group_segment_fixed_size: 2048
    .kernarg_segment_align: 8
    .kernarg_segment_size: 140
    .language:       OpenCL C
    .language_version:
      - 2
      - 0
    .max_flat_workgroup_size: 256
    .name:           _ZN12_GLOBAL__N_127rocblas_gemm_batched_kernelIfLi16ELi16ELi64ELi64ELi4ELi64ELi4ELi4ELi64ELc84ELc84EKPKDF16_KPKfKPfEEvlllT_PT11_llSB_llS9_PT12_llPT13_lli
    .private_segment_fixed_size: 0
    .sgpr_count:     38
    .sgpr_spill_count: 0
    .symbol:         _ZN12_GLOBAL__N_127rocblas_gemm_batched_kernelIfLi16ELi16ELi64ELi64ELi4ELi64ELi4ELi4ELi64ELc84ELc84EKPKDF16_KPKfKPfEEvlllT_PT11_llSB_llS9_PT12_llPT13_lli.kd
    .uniform_work_group_size: 1
    .uses_dynamic_stack: false
    .vgpr_count:     58
    .vgpr_spill_count: 0
    .wavefront_size: 32
    .workgroup_processor_mode: 1
  - .args:
      - .offset:         0
        .size:           8
        .value_kind:     by_value
      - .offset:         8
        .size:           8
        .value_kind:     by_value
      - .offset:         16
        .size:           8
        .value_kind:     by_value
      - .offset:         24
        .size:           4
        .value_kind:     by_value
      - .address_space:  global
        .offset:         32
        .size:           8
        .value_kind:     global_buffer
      - .offset:         40
        .size:           8
        .value_kind:     by_value
      - .offset:         48
        .size:           8
        .value_kind:     by_value
      - .address_space:  global
        .offset:         56
        .size:           8
        .value_kind:     global_buffer
      - .offset:         64
        .size:           8
        .value_kind:     by_value
      - .offset:         72
        .size:           8
        .value_kind:     by_value
      - .offset:         80
        .size:           4
        .value_kind:     by_value
      - .address_space:  global
        .offset:         88
        .size:           8
        .value_kind:     global_buffer
      - .offset:         96
        .size:           8
        .value_kind:     by_value
      - .offset:         104
        .size:           8
        .value_kind:     by_value
      - .address_space:  global
        .offset:         112
        .size:           8
        .value_kind:     global_buffer
      - .offset:         120
        .size:           8
        .value_kind:     by_value
      - .offset:         128
        .size:           8
        .value_kind:     by_value
      - .offset:         136
        .size:           4
        .value_kind:     by_value
    .group_segment_fixed_size: 2048
    .kernarg_segment_align: 8
    .kernarg_segment_size: 140
    .language:       OpenCL C
    .language_version:
      - 2
      - 0
    .max_flat_workgroup_size: 256
    .name:           _ZN12_GLOBAL__N_127rocblas_gemm_batched_kernelIfLi16ELi16ELi64ELi64ELi4ELi64ELi4ELi4ELi64ELc67ELc67EKPKDF16_KPKfKPfEEvlllT_PT11_llSB_llS9_PT12_llPT13_lli
    .private_segment_fixed_size: 0
    .sgpr_count:     38
    .sgpr_spill_count: 0
    .symbol:         _ZN12_GLOBAL__N_127rocblas_gemm_batched_kernelIfLi16ELi16ELi64ELi64ELi4ELi64ELi4ELi4ELi64ELc67ELc67EKPKDF16_KPKfKPfEEvlllT_PT11_llSB_llS9_PT12_llPT13_lli.kd
    .uniform_work_group_size: 1
    .uses_dynamic_stack: false
    .vgpr_count:     58
    .vgpr_spill_count: 0
    .wavefront_size: 32
    .workgroup_processor_mode: 1
  - .args:
      - .offset:         0
        .size:           8
        .value_kind:     by_value
      - .offset:         8
        .size:           8
        .value_kind:     by_value
      - .offset:         16
        .size:           8
        .value_kind:     by_value
      - .offset:         24
        .size:           4
        .value_kind:     by_value
      - .address_space:  global
        .offset:         32
        .size:           8
        .value_kind:     global_buffer
      - .offset:         40
        .size:           8
        .value_kind:     by_value
      - .offset:         48
        .size:           8
        .value_kind:     by_value
      - .address_space:  global
        .offset:         56
        .size:           8
        .value_kind:     global_buffer
      - .offset:         64
        .size:           8
        .value_kind:     by_value
      - .offset:         72
        .size:           8
        .value_kind:     by_value
      - .offset:         80
        .size:           4
        .value_kind:     by_value
      - .address_space:  global
        .offset:         88
        .size:           8
        .value_kind:     global_buffer
      - .offset:         96
        .size:           8
        .value_kind:     by_value
      - .offset:         104
        .size:           8
        .value_kind:     by_value
      - .address_space:  global
        .offset:         112
        .size:           8
        .value_kind:     global_buffer
      - .offset:         120
        .size:           8
        .value_kind:     by_value
      - .offset:         128
        .size:           8
        .value_kind:     by_value
      - .offset:         136
        .size:           4
        .value_kind:     by_value
    .group_segment_fixed_size: 2048
    .kernarg_segment_align: 8
    .kernarg_segment_size: 140
    .language:       OpenCL C
    .language_version:
      - 2
      - 0
    .max_flat_workgroup_size: 256
    .name:           _ZN12_GLOBAL__N_127rocblas_gemm_batched_kernelIfLi16ELi16ELi64ELi64ELi4ELi64ELi4ELi4ELi64ELc67ELc78EKPKDF16_KPKfKPfEEvlllT_PT11_llSB_llS9_PT12_llPT13_lli
    .private_segment_fixed_size: 0
    .sgpr_count:     38
    .sgpr_spill_count: 0
    .symbol:         _ZN12_GLOBAL__N_127rocblas_gemm_batched_kernelIfLi16ELi16ELi64ELi64ELi4ELi64ELi4ELi4ELi64ELc67ELc78EKPKDF16_KPKfKPfEEvlllT_PT11_llSB_llS9_PT12_llPT13_lli.kd
    .uniform_work_group_size: 1
    .uses_dynamic_stack: false
    .vgpr_count:     58
    .vgpr_spill_count: 0
    .wavefront_size: 32
    .workgroup_processor_mode: 1
  - .args:
      - .offset:         0
        .size:           8
        .value_kind:     by_value
      - .offset:         8
        .size:           8
        .value_kind:     by_value
      - .offset:         16
        .size:           8
        .value_kind:     by_value
      - .offset:         24
        .size:           4
        .value_kind:     by_value
      - .address_space:  global
        .offset:         32
        .size:           8
        .value_kind:     global_buffer
      - .offset:         40
        .size:           8
        .value_kind:     by_value
      - .offset:         48
        .size:           8
        .value_kind:     by_value
      - .address_space:  global
        .offset:         56
        .size:           8
        .value_kind:     global_buffer
      - .offset:         64
        .size:           8
        .value_kind:     by_value
      - .offset:         72
        .size:           8
        .value_kind:     by_value
      - .offset:         80
        .size:           4
        .value_kind:     by_value
      - .address_space:  global
        .offset:         88
        .size:           8
        .value_kind:     global_buffer
      - .offset:         96
        .size:           8
        .value_kind:     by_value
      - .offset:         104
        .size:           8
        .value_kind:     by_value
      - .address_space:  global
        .offset:         112
        .size:           8
        .value_kind:     global_buffer
      - .offset:         120
        .size:           8
        .value_kind:     by_value
      - .offset:         128
        .size:           8
        .value_kind:     by_value
      - .offset:         136
        .size:           4
        .value_kind:     by_value
    .group_segment_fixed_size: 2048
    .kernarg_segment_align: 8
    .kernarg_segment_size: 140
    .language:       OpenCL C
    .language_version:
      - 2
      - 0
    .max_flat_workgroup_size: 256
    .name:           _ZN12_GLOBAL__N_127rocblas_gemm_batched_kernelIfLi16ELi16ELi64ELi64ELi4ELi64ELi4ELi4ELi64ELc67ELc84EKPKDF16_KPKfKPfEEvlllT_PT11_llSB_llS9_PT12_llPT13_lli
    .private_segment_fixed_size: 0
    .sgpr_count:     38
    .sgpr_spill_count: 0
    .symbol:         _ZN12_GLOBAL__N_127rocblas_gemm_batched_kernelIfLi16ELi16ELi64ELi64ELi4ELi64ELi4ELi4ELi64ELc67ELc84EKPKDF16_KPKfKPfEEvlllT_PT11_llSB_llS9_PT12_llPT13_lli.kd
    .uniform_work_group_size: 1
    .uses_dynamic_stack: false
    .vgpr_count:     58
    .vgpr_spill_count: 0
    .wavefront_size: 32
    .workgroup_processor_mode: 1
  - .args:
      - .offset:         0
        .size:           8
        .value_kind:     by_value
      - .offset:         8
        .size:           8
        .value_kind:     by_value
      - .offset:         16
        .size:           8
        .value_kind:     by_value
      - .offset:         24
        .size:           4
        .value_kind:     by_value
      - .address_space:  global
        .offset:         32
        .size:           8
        .value_kind:     global_buffer
      - .offset:         40
        .size:           8
        .value_kind:     by_value
      - .offset:         48
        .size:           8
        .value_kind:     by_value
      - .address_space:  global
        .offset:         56
        .size:           8
        .value_kind:     global_buffer
      - .offset:         64
        .size:           8
        .value_kind:     by_value
      - .offset:         72
        .size:           8
        .value_kind:     by_value
      - .offset:         80
        .size:           4
        .value_kind:     by_value
      - .address_space:  global
        .offset:         88
        .size:           8
        .value_kind:     global_buffer
      - .offset:         96
        .size:           8
        .value_kind:     by_value
      - .offset:         104
        .size:           8
        .value_kind:     by_value
      - .address_space:  global
        .offset:         112
        .size:           8
        .value_kind:     global_buffer
      - .offset:         120
        .size:           8
        .value_kind:     by_value
      - .offset:         128
        .size:           8
        .value_kind:     by_value
      - .offset:         136
        .size:           4
        .value_kind:     by_value
    .group_segment_fixed_size: 2048
    .kernarg_segment_align: 8
    .kernarg_segment_size: 140
    .language:       OpenCL C
    .language_version:
      - 2
      - 0
    .max_flat_workgroup_size: 256
    .name:           _ZN12_GLOBAL__N_127rocblas_gemm_batched_kernelIfLi16ELi16ELi64ELi64ELi4ELi64ELi4ELi4ELi64ELc78ELc67EKPKDF16_KPKfKPfEEvlllT_PT11_llSB_llS9_PT12_llPT13_lli
    .private_segment_fixed_size: 0
    .sgpr_count:     38
    .sgpr_spill_count: 0
    .symbol:         _ZN12_GLOBAL__N_127rocblas_gemm_batched_kernelIfLi16ELi16ELi64ELi64ELi4ELi64ELi4ELi4ELi64ELc78ELc67EKPKDF16_KPKfKPfEEvlllT_PT11_llSB_llS9_PT12_llPT13_lli.kd
    .uniform_work_group_size: 1
    .uses_dynamic_stack: false
    .vgpr_count:     58
    .vgpr_spill_count: 0
    .wavefront_size: 32
    .workgroup_processor_mode: 1
  - .args:
      - .offset:         0
        .size:           8
        .value_kind:     by_value
      - .offset:         8
        .size:           8
        .value_kind:     by_value
      - .offset:         16
        .size:           8
        .value_kind:     by_value
      - .offset:         24
        .size:           4
        .value_kind:     by_value
      - .address_space:  global
        .offset:         32
        .size:           8
        .value_kind:     global_buffer
      - .offset:         40
        .size:           8
        .value_kind:     by_value
      - .offset:         48
        .size:           8
        .value_kind:     by_value
      - .address_space:  global
        .offset:         56
        .size:           8
        .value_kind:     global_buffer
      - .offset:         64
        .size:           8
        .value_kind:     by_value
      - .offset:         72
        .size:           8
        .value_kind:     by_value
      - .offset:         80
        .size:           4
        .value_kind:     by_value
      - .address_space:  global
        .offset:         88
        .size:           8
        .value_kind:     global_buffer
      - .offset:         96
        .size:           8
        .value_kind:     by_value
      - .offset:         104
        .size:           8
        .value_kind:     by_value
      - .address_space:  global
        .offset:         112
        .size:           8
        .value_kind:     global_buffer
      - .offset:         120
        .size:           8
        .value_kind:     by_value
      - .offset:         128
        .size:           8
        .value_kind:     by_value
      - .offset:         136
        .size:           4
        .value_kind:     by_value
    .group_segment_fixed_size: 2048
    .kernarg_segment_align: 8
    .kernarg_segment_size: 140
    .language:       OpenCL C
    .language_version:
      - 2
      - 0
    .max_flat_workgroup_size: 256
    .name:           _ZN12_GLOBAL__N_127rocblas_gemm_batched_kernelIfLi16ELi16ELi64ELi64ELi4ELi64ELi4ELi4ELi64ELc84ELc67EKPKDF16_KPKfKPfEEvlllT_PT11_llSB_llS9_PT12_llPT13_lli
    .private_segment_fixed_size: 0
    .sgpr_count:     38
    .sgpr_spill_count: 0
    .symbol:         _ZN12_GLOBAL__N_127rocblas_gemm_batched_kernelIfLi16ELi16ELi64ELi64ELi4ELi64ELi4ELi4ELi64ELc84ELc67EKPKDF16_KPKfKPfEEvlllT_PT11_llSB_llS9_PT12_llPT13_lli.kd
    .uniform_work_group_size: 1
    .uses_dynamic_stack: false
    .vgpr_count:     58
    .vgpr_spill_count: 0
    .wavefront_size: 32
    .workgroup_processor_mode: 1
  - .args:
      - .offset:         0
        .size:           8
        .value_kind:     by_value
      - .offset:         8
        .size:           8
        .value_kind:     by_value
      - .offset:         16
        .size:           8
        .value_kind:     by_value
      - .offset:         24
        .size:           4
        .value_kind:     by_value
      - .address_space:  global
        .offset:         32
        .size:           8
        .value_kind:     global_buffer
      - .offset:         40
        .size:           8
        .value_kind:     by_value
      - .offset:         48
        .size:           8
        .value_kind:     by_value
      - .address_space:  global
        .offset:         56
        .size:           8
        .value_kind:     global_buffer
      - .offset:         64
        .size:           8
        .value_kind:     by_value
      - .offset:         72
        .size:           8
        .value_kind:     by_value
      - .offset:         80
        .size:           4
        .value_kind:     by_value
      - .address_space:  global
        .offset:         88
        .size:           8
        .value_kind:     global_buffer
      - .offset:         96
        .size:           8
        .value_kind:     by_value
      - .offset:         104
        .size:           8
        .value_kind:     by_value
      - .address_space:  global
        .offset:         112
        .size:           8
        .value_kind:     global_buffer
      - .offset:         120
        .size:           8
        .value_kind:     by_value
      - .offset:         128
        .size:           8
        .value_kind:     by_value
      - .offset:         136
        .size:           4
        .value_kind:     by_value
    .group_segment_fixed_size: 2048
    .kernarg_segment_align: 8
    .kernarg_segment_size: 140
    .language:       OpenCL C
    .language_version:
      - 2
      - 0
    .max_flat_workgroup_size: 256
    .name:           _ZN12_GLOBAL__N_127rocblas_gemm_batched_kernelIfLi16ELi16ELi32ELi32ELi8ELi32ELi8ELi8ELi32ELc78ELc78EKPKDF16_KPKfKPfEEvlllT_PT11_llSB_llS9_PT12_llPT13_lli
    .private_segment_fixed_size: 0
    .sgpr_count:     38
    .sgpr_spill_count: 0
    .symbol:         _ZN12_GLOBAL__N_127rocblas_gemm_batched_kernelIfLi16ELi16ELi32ELi32ELi8ELi32ELi8ELi8ELi32ELc78ELc78EKPKDF16_KPKfKPfEEvlllT_PT11_llSB_llS9_PT12_llPT13_lli.kd
    .uniform_work_group_size: 1
    .uses_dynamic_stack: false
    .vgpr_count:     46
    .vgpr_spill_count: 0
    .wavefront_size: 32
    .workgroup_processor_mode: 1
  - .args:
      - .offset:         0
        .size:           8
        .value_kind:     by_value
      - .offset:         8
        .size:           8
        .value_kind:     by_value
      - .offset:         16
        .size:           8
        .value_kind:     by_value
      - .offset:         24
        .size:           4
        .value_kind:     by_value
      - .address_space:  global
        .offset:         32
        .size:           8
        .value_kind:     global_buffer
      - .offset:         40
        .size:           8
        .value_kind:     by_value
      - .offset:         48
        .size:           8
        .value_kind:     by_value
      - .address_space:  global
        .offset:         56
        .size:           8
        .value_kind:     global_buffer
      - .offset:         64
        .size:           8
        .value_kind:     by_value
      - .offset:         72
        .size:           8
        .value_kind:     by_value
      - .offset:         80
        .size:           4
        .value_kind:     by_value
      - .address_space:  global
        .offset:         88
        .size:           8
        .value_kind:     global_buffer
      - .offset:         96
        .size:           8
        .value_kind:     by_value
      - .offset:         104
        .size:           8
        .value_kind:     by_value
      - .address_space:  global
        .offset:         112
        .size:           8
        .value_kind:     global_buffer
      - .offset:         120
        .size:           8
        .value_kind:     by_value
      - .offset:         128
        .size:           8
        .value_kind:     by_value
      - .offset:         136
        .size:           4
        .value_kind:     by_value
    .group_segment_fixed_size: 2048
    .kernarg_segment_align: 8
    .kernarg_segment_size: 140
    .language:       OpenCL C
    .language_version:
      - 2
      - 0
    .max_flat_workgroup_size: 256
    .name:           _ZN12_GLOBAL__N_127rocblas_gemm_batched_kernelIfLi16ELi16ELi32ELi32ELi8ELi32ELi8ELi8ELi32ELc84ELc78EKPKDF16_KPKfKPfEEvlllT_PT11_llSB_llS9_PT12_llPT13_lli
    .private_segment_fixed_size: 0
    .sgpr_count:     38
    .sgpr_spill_count: 0
    .symbol:         _ZN12_GLOBAL__N_127rocblas_gemm_batched_kernelIfLi16ELi16ELi32ELi32ELi8ELi32ELi8ELi8ELi32ELc84ELc78EKPKDF16_KPKfKPfEEvlllT_PT11_llSB_llS9_PT12_llPT13_lli.kd
    .uniform_work_group_size: 1
    .uses_dynamic_stack: false
    .vgpr_count:     46
    .vgpr_spill_count: 0
    .wavefront_size: 32
    .workgroup_processor_mode: 1
  - .args:
      - .offset:         0
        .size:           8
        .value_kind:     by_value
      - .offset:         8
        .size:           8
        .value_kind:     by_value
      - .offset:         16
        .size:           8
        .value_kind:     by_value
      - .offset:         24
        .size:           4
        .value_kind:     by_value
      - .address_space:  global
        .offset:         32
        .size:           8
        .value_kind:     global_buffer
      - .offset:         40
        .size:           8
        .value_kind:     by_value
      - .offset:         48
        .size:           8
        .value_kind:     by_value
      - .address_space:  global
        .offset:         56
        .size:           8
        .value_kind:     global_buffer
      - .offset:         64
        .size:           8
        .value_kind:     by_value
      - .offset:         72
        .size:           8
        .value_kind:     by_value
      - .offset:         80
        .size:           4
        .value_kind:     by_value
      - .address_space:  global
        .offset:         88
        .size:           8
        .value_kind:     global_buffer
      - .offset:         96
        .size:           8
        .value_kind:     by_value
      - .offset:         104
        .size:           8
        .value_kind:     by_value
      - .address_space:  global
        .offset:         112
        .size:           8
        .value_kind:     global_buffer
      - .offset:         120
        .size:           8
        .value_kind:     by_value
      - .offset:         128
        .size:           8
        .value_kind:     by_value
      - .offset:         136
        .size:           4
        .value_kind:     by_value
    .group_segment_fixed_size: 2048
    .kernarg_segment_align: 8
    .kernarg_segment_size: 140
    .language:       OpenCL C
    .language_version:
      - 2
      - 0
    .max_flat_workgroup_size: 256
    .name:           _ZN12_GLOBAL__N_127rocblas_gemm_batched_kernelIfLi16ELi16ELi32ELi32ELi8ELi32ELi8ELi8ELi32ELc78ELc84EKPKDF16_KPKfKPfEEvlllT_PT11_llSB_llS9_PT12_llPT13_lli
    .private_segment_fixed_size: 0
    .sgpr_count:     38
    .sgpr_spill_count: 0
    .symbol:         _ZN12_GLOBAL__N_127rocblas_gemm_batched_kernelIfLi16ELi16ELi32ELi32ELi8ELi32ELi8ELi8ELi32ELc78ELc84EKPKDF16_KPKfKPfEEvlllT_PT11_llSB_llS9_PT12_llPT13_lli.kd
    .uniform_work_group_size: 1
    .uses_dynamic_stack: false
    .vgpr_count:     46
    .vgpr_spill_count: 0
    .wavefront_size: 32
    .workgroup_processor_mode: 1
  - .args:
      - .offset:         0
        .size:           8
        .value_kind:     by_value
      - .offset:         8
        .size:           8
        .value_kind:     by_value
      - .offset:         16
        .size:           8
        .value_kind:     by_value
      - .offset:         24
        .size:           4
        .value_kind:     by_value
      - .address_space:  global
        .offset:         32
        .size:           8
        .value_kind:     global_buffer
      - .offset:         40
        .size:           8
        .value_kind:     by_value
      - .offset:         48
        .size:           8
        .value_kind:     by_value
      - .address_space:  global
        .offset:         56
        .size:           8
        .value_kind:     global_buffer
      - .offset:         64
        .size:           8
        .value_kind:     by_value
      - .offset:         72
        .size:           8
        .value_kind:     by_value
      - .offset:         80
        .size:           4
        .value_kind:     by_value
      - .address_space:  global
        .offset:         88
        .size:           8
        .value_kind:     global_buffer
      - .offset:         96
        .size:           8
        .value_kind:     by_value
      - .offset:         104
        .size:           8
        .value_kind:     by_value
      - .address_space:  global
        .offset:         112
        .size:           8
        .value_kind:     global_buffer
      - .offset:         120
        .size:           8
        .value_kind:     by_value
      - .offset:         128
        .size:           8
        .value_kind:     by_value
      - .offset:         136
        .size:           4
        .value_kind:     by_value
    .group_segment_fixed_size: 2048
    .kernarg_segment_align: 8
    .kernarg_segment_size: 140
    .language:       OpenCL C
    .language_version:
      - 2
      - 0
    .max_flat_workgroup_size: 256
    .name:           _ZN12_GLOBAL__N_127rocblas_gemm_batched_kernelIfLi16ELi16ELi32ELi32ELi8ELi32ELi8ELi8ELi32ELc84ELc84EKPKDF16_KPKfKPfEEvlllT_PT11_llSB_llS9_PT12_llPT13_lli
    .private_segment_fixed_size: 0
    .sgpr_count:     38
    .sgpr_spill_count: 0
    .symbol:         _ZN12_GLOBAL__N_127rocblas_gemm_batched_kernelIfLi16ELi16ELi32ELi32ELi8ELi32ELi8ELi8ELi32ELc84ELc84EKPKDF16_KPKfKPfEEvlllT_PT11_llSB_llS9_PT12_llPT13_lli.kd
    .uniform_work_group_size: 1
    .uses_dynamic_stack: false
    .vgpr_count:     46
    .vgpr_spill_count: 0
    .wavefront_size: 32
    .workgroup_processor_mode: 1
  - .args:
      - .offset:         0
        .size:           8
        .value_kind:     by_value
      - .offset:         8
        .size:           8
        .value_kind:     by_value
      - .offset:         16
        .size:           8
        .value_kind:     by_value
      - .offset:         24
        .size:           4
        .value_kind:     by_value
      - .address_space:  global
        .offset:         32
        .size:           8
        .value_kind:     global_buffer
      - .offset:         40
        .size:           8
        .value_kind:     by_value
      - .offset:         48
        .size:           8
        .value_kind:     by_value
      - .address_space:  global
        .offset:         56
        .size:           8
        .value_kind:     global_buffer
      - .offset:         64
        .size:           8
        .value_kind:     by_value
      - .offset:         72
        .size:           8
        .value_kind:     by_value
      - .offset:         80
        .size:           4
        .value_kind:     by_value
      - .address_space:  global
        .offset:         88
        .size:           8
        .value_kind:     global_buffer
      - .offset:         96
        .size:           8
        .value_kind:     by_value
      - .offset:         104
        .size:           8
        .value_kind:     by_value
      - .address_space:  global
        .offset:         112
        .size:           8
        .value_kind:     global_buffer
      - .offset:         120
        .size:           8
        .value_kind:     by_value
      - .offset:         128
        .size:           8
        .value_kind:     by_value
      - .offset:         136
        .size:           4
        .value_kind:     by_value
    .group_segment_fixed_size: 2048
    .kernarg_segment_align: 8
    .kernarg_segment_size: 140
    .language:       OpenCL C
    .language_version:
      - 2
      - 0
    .max_flat_workgroup_size: 256
    .name:           _ZN12_GLOBAL__N_127rocblas_gemm_batched_kernelIfLi16ELi16ELi32ELi32ELi8ELi32ELi8ELi8ELi32ELc67ELc67EKPKDF16_KPKfKPfEEvlllT_PT11_llSB_llS9_PT12_llPT13_lli
    .private_segment_fixed_size: 0
    .sgpr_count:     38
    .sgpr_spill_count: 0
    .symbol:         _ZN12_GLOBAL__N_127rocblas_gemm_batched_kernelIfLi16ELi16ELi32ELi32ELi8ELi32ELi8ELi8ELi32ELc67ELc67EKPKDF16_KPKfKPfEEvlllT_PT11_llSB_llS9_PT12_llPT13_lli.kd
    .uniform_work_group_size: 1
    .uses_dynamic_stack: false
    .vgpr_count:     46
    .vgpr_spill_count: 0
    .wavefront_size: 32
    .workgroup_processor_mode: 1
  - .args:
      - .offset:         0
        .size:           8
        .value_kind:     by_value
      - .offset:         8
        .size:           8
        .value_kind:     by_value
      - .offset:         16
        .size:           8
        .value_kind:     by_value
      - .offset:         24
        .size:           4
        .value_kind:     by_value
      - .address_space:  global
        .offset:         32
        .size:           8
        .value_kind:     global_buffer
      - .offset:         40
        .size:           8
        .value_kind:     by_value
      - .offset:         48
        .size:           8
        .value_kind:     by_value
      - .address_space:  global
        .offset:         56
        .size:           8
        .value_kind:     global_buffer
      - .offset:         64
        .size:           8
        .value_kind:     by_value
      - .offset:         72
        .size:           8
        .value_kind:     by_value
      - .offset:         80
        .size:           4
        .value_kind:     by_value
      - .address_space:  global
        .offset:         88
        .size:           8
        .value_kind:     global_buffer
      - .offset:         96
        .size:           8
        .value_kind:     by_value
      - .offset:         104
        .size:           8
        .value_kind:     by_value
      - .address_space:  global
        .offset:         112
        .size:           8
        .value_kind:     global_buffer
      - .offset:         120
        .size:           8
        .value_kind:     by_value
      - .offset:         128
        .size:           8
        .value_kind:     by_value
      - .offset:         136
        .size:           4
        .value_kind:     by_value
    .group_segment_fixed_size: 2048
    .kernarg_segment_align: 8
    .kernarg_segment_size: 140
    .language:       OpenCL C
    .language_version:
      - 2
      - 0
    .max_flat_workgroup_size: 256
    .name:           _ZN12_GLOBAL__N_127rocblas_gemm_batched_kernelIfLi16ELi16ELi32ELi32ELi8ELi32ELi8ELi8ELi32ELc67ELc78EKPKDF16_KPKfKPfEEvlllT_PT11_llSB_llS9_PT12_llPT13_lli
    .private_segment_fixed_size: 0
    .sgpr_count:     38
    .sgpr_spill_count: 0
    .symbol:         _ZN12_GLOBAL__N_127rocblas_gemm_batched_kernelIfLi16ELi16ELi32ELi32ELi8ELi32ELi8ELi8ELi32ELc67ELc78EKPKDF16_KPKfKPfEEvlllT_PT11_llSB_llS9_PT12_llPT13_lli.kd
    .uniform_work_group_size: 1
    .uses_dynamic_stack: false
    .vgpr_count:     46
    .vgpr_spill_count: 0
    .wavefront_size: 32
    .workgroup_processor_mode: 1
  - .args:
      - .offset:         0
        .size:           8
        .value_kind:     by_value
      - .offset:         8
        .size:           8
        .value_kind:     by_value
      - .offset:         16
        .size:           8
        .value_kind:     by_value
      - .offset:         24
        .size:           4
        .value_kind:     by_value
      - .address_space:  global
        .offset:         32
        .size:           8
        .value_kind:     global_buffer
      - .offset:         40
        .size:           8
        .value_kind:     by_value
      - .offset:         48
        .size:           8
        .value_kind:     by_value
      - .address_space:  global
        .offset:         56
        .size:           8
        .value_kind:     global_buffer
      - .offset:         64
        .size:           8
        .value_kind:     by_value
      - .offset:         72
        .size:           8
        .value_kind:     by_value
      - .offset:         80
        .size:           4
        .value_kind:     by_value
      - .address_space:  global
        .offset:         88
        .size:           8
        .value_kind:     global_buffer
      - .offset:         96
        .size:           8
        .value_kind:     by_value
      - .offset:         104
        .size:           8
        .value_kind:     by_value
      - .address_space:  global
        .offset:         112
        .size:           8
        .value_kind:     global_buffer
      - .offset:         120
        .size:           8
        .value_kind:     by_value
      - .offset:         128
        .size:           8
        .value_kind:     by_value
      - .offset:         136
        .size:           4
        .value_kind:     by_value
    .group_segment_fixed_size: 2048
    .kernarg_segment_align: 8
    .kernarg_segment_size: 140
    .language:       OpenCL C
    .language_version:
      - 2
      - 0
    .max_flat_workgroup_size: 256
    .name:           _ZN12_GLOBAL__N_127rocblas_gemm_batched_kernelIfLi16ELi16ELi32ELi32ELi8ELi32ELi8ELi8ELi32ELc67ELc84EKPKDF16_KPKfKPfEEvlllT_PT11_llSB_llS9_PT12_llPT13_lli
    .private_segment_fixed_size: 0
    .sgpr_count:     38
    .sgpr_spill_count: 0
    .symbol:         _ZN12_GLOBAL__N_127rocblas_gemm_batched_kernelIfLi16ELi16ELi32ELi32ELi8ELi32ELi8ELi8ELi32ELc67ELc84EKPKDF16_KPKfKPfEEvlllT_PT11_llSB_llS9_PT12_llPT13_lli.kd
    .uniform_work_group_size: 1
    .uses_dynamic_stack: false
    .vgpr_count:     46
    .vgpr_spill_count: 0
    .wavefront_size: 32
    .workgroup_processor_mode: 1
  - .args:
      - .offset:         0
        .size:           8
        .value_kind:     by_value
      - .offset:         8
        .size:           8
        .value_kind:     by_value
      - .offset:         16
        .size:           8
        .value_kind:     by_value
      - .offset:         24
        .size:           4
        .value_kind:     by_value
      - .address_space:  global
        .offset:         32
        .size:           8
        .value_kind:     global_buffer
      - .offset:         40
        .size:           8
        .value_kind:     by_value
      - .offset:         48
        .size:           8
        .value_kind:     by_value
      - .address_space:  global
        .offset:         56
        .size:           8
        .value_kind:     global_buffer
      - .offset:         64
        .size:           8
        .value_kind:     by_value
      - .offset:         72
        .size:           8
        .value_kind:     by_value
      - .offset:         80
        .size:           4
        .value_kind:     by_value
      - .address_space:  global
        .offset:         88
        .size:           8
        .value_kind:     global_buffer
      - .offset:         96
        .size:           8
        .value_kind:     by_value
      - .offset:         104
        .size:           8
        .value_kind:     by_value
      - .address_space:  global
        .offset:         112
        .size:           8
        .value_kind:     global_buffer
      - .offset:         120
        .size:           8
        .value_kind:     by_value
      - .offset:         128
        .size:           8
        .value_kind:     by_value
      - .offset:         136
        .size:           4
        .value_kind:     by_value
    .group_segment_fixed_size: 2048
    .kernarg_segment_align: 8
    .kernarg_segment_size: 140
    .language:       OpenCL C
    .language_version:
      - 2
      - 0
    .max_flat_workgroup_size: 256
    .name:           _ZN12_GLOBAL__N_127rocblas_gemm_batched_kernelIfLi16ELi16ELi32ELi32ELi8ELi32ELi8ELi8ELi32ELc78ELc67EKPKDF16_KPKfKPfEEvlllT_PT11_llSB_llS9_PT12_llPT13_lli
    .private_segment_fixed_size: 0
    .sgpr_count:     38
    .sgpr_spill_count: 0
    .symbol:         _ZN12_GLOBAL__N_127rocblas_gemm_batched_kernelIfLi16ELi16ELi32ELi32ELi8ELi32ELi8ELi8ELi32ELc78ELc67EKPKDF16_KPKfKPfEEvlllT_PT11_llSB_llS9_PT12_llPT13_lli.kd
    .uniform_work_group_size: 1
    .uses_dynamic_stack: false
    .vgpr_count:     46
    .vgpr_spill_count: 0
    .wavefront_size: 32
    .workgroup_processor_mode: 1
  - .args:
      - .offset:         0
        .size:           8
        .value_kind:     by_value
      - .offset:         8
        .size:           8
        .value_kind:     by_value
      - .offset:         16
        .size:           8
        .value_kind:     by_value
      - .offset:         24
        .size:           4
        .value_kind:     by_value
      - .address_space:  global
        .offset:         32
        .size:           8
        .value_kind:     global_buffer
      - .offset:         40
        .size:           8
        .value_kind:     by_value
      - .offset:         48
        .size:           8
        .value_kind:     by_value
      - .address_space:  global
        .offset:         56
        .size:           8
        .value_kind:     global_buffer
      - .offset:         64
        .size:           8
        .value_kind:     by_value
      - .offset:         72
        .size:           8
        .value_kind:     by_value
      - .offset:         80
        .size:           4
        .value_kind:     by_value
      - .address_space:  global
        .offset:         88
        .size:           8
        .value_kind:     global_buffer
      - .offset:         96
        .size:           8
        .value_kind:     by_value
      - .offset:         104
        .size:           8
        .value_kind:     by_value
      - .address_space:  global
        .offset:         112
        .size:           8
        .value_kind:     global_buffer
      - .offset:         120
        .size:           8
        .value_kind:     by_value
      - .offset:         128
        .size:           8
        .value_kind:     by_value
      - .offset:         136
        .size:           4
        .value_kind:     by_value
    .group_segment_fixed_size: 2048
    .kernarg_segment_align: 8
    .kernarg_segment_size: 140
    .language:       OpenCL C
    .language_version:
      - 2
      - 0
    .max_flat_workgroup_size: 256
    .name:           _ZN12_GLOBAL__N_127rocblas_gemm_batched_kernelIfLi16ELi16ELi32ELi32ELi8ELi32ELi8ELi8ELi32ELc84ELc67EKPKDF16_KPKfKPfEEvlllT_PT11_llSB_llS9_PT12_llPT13_lli
    .private_segment_fixed_size: 0
    .sgpr_count:     38
    .sgpr_spill_count: 0
    .symbol:         _ZN12_GLOBAL__N_127rocblas_gemm_batched_kernelIfLi16ELi16ELi32ELi32ELi8ELi32ELi8ELi8ELi32ELc84ELc67EKPKDF16_KPKfKPfEEvlllT_PT11_llSB_llS9_PT12_llPT13_lli.kd
    .uniform_work_group_size: 1
    .uses_dynamic_stack: false
    .vgpr_count:     46
    .vgpr_spill_count: 0
    .wavefront_size: 32
    .workgroup_processor_mode: 1
  - .args:
      - .offset:         0
        .size:           8
        .value_kind:     by_value
      - .offset:         8
        .size:           8
        .value_kind:     by_value
      - .offset:         16
        .size:           8
        .value_kind:     by_value
      - .offset:         24
        .size:           4
        .value_kind:     by_value
      - .address_space:  global
        .offset:         32
        .size:           8
        .value_kind:     global_buffer
      - .offset:         40
        .size:           8
        .value_kind:     by_value
      - .offset:         48
        .size:           8
        .value_kind:     by_value
      - .address_space:  global
        .offset:         56
        .size:           8
        .value_kind:     global_buffer
      - .offset:         64
        .size:           8
        .value_kind:     by_value
      - .offset:         72
        .size:           8
        .value_kind:     by_value
      - .offset:         80
        .size:           4
        .value_kind:     by_value
      - .address_space:  global
        .offset:         88
        .size:           8
        .value_kind:     global_buffer
      - .offset:         96
        .size:           8
        .value_kind:     by_value
      - .offset:         104
        .size:           8
        .value_kind:     by_value
      - .address_space:  global
        .offset:         112
        .size:           8
        .value_kind:     global_buffer
      - .offset:         120
        .size:           8
        .value_kind:     by_value
      - .offset:         128
        .size:           8
        .value_kind:     by_value
      - .offset:         136
        .size:           4
        .value_kind:     by_value
    .group_segment_fixed_size: 2048
    .kernarg_segment_align: 8
    .kernarg_segment_size: 140
    .language:       OpenCL C
    .language_version:
      - 2
      - 0
    .max_flat_workgroup_size: 256
    .name:           _ZN12_GLOBAL__N_135rocblas_gemm_batched_general_kernelIfLi16ELi16ELi32ELi32ELi8ELi32ELi8ELi8ELi32ELc78ELc78EKPKDF16_KPKfKPfEEvlllT_PT11_llSB_llS9_PT12_llPT13_lli
    .private_segment_fixed_size: 0
    .sgpr_count:     44
    .sgpr_spill_count: 0
    .symbol:         _ZN12_GLOBAL__N_135rocblas_gemm_batched_general_kernelIfLi16ELi16ELi32ELi32ELi8ELi32ELi8ELi8ELi32ELc78ELc78EKPKDF16_KPKfKPfEEvlllT_PT11_llSB_llS9_PT12_llPT13_lli.kd
    .uniform_work_group_size: 1
    .uses_dynamic_stack: false
    .vgpr_count:     44
    .vgpr_spill_count: 0
    .wavefront_size: 32
    .workgroup_processor_mode: 1
  - .args:
      - .offset:         0
        .size:           8
        .value_kind:     by_value
      - .offset:         8
        .size:           8
        .value_kind:     by_value
      - .offset:         16
        .size:           8
        .value_kind:     by_value
      - .offset:         24
        .size:           4
        .value_kind:     by_value
      - .address_space:  global
        .offset:         32
        .size:           8
        .value_kind:     global_buffer
      - .offset:         40
        .size:           8
        .value_kind:     by_value
      - .offset:         48
        .size:           8
        .value_kind:     by_value
      - .address_space:  global
        .offset:         56
        .size:           8
        .value_kind:     global_buffer
      - .offset:         64
        .size:           8
        .value_kind:     by_value
      - .offset:         72
        .size:           8
        .value_kind:     by_value
      - .offset:         80
        .size:           4
        .value_kind:     by_value
      - .address_space:  global
        .offset:         88
        .size:           8
        .value_kind:     global_buffer
      - .offset:         96
        .size:           8
        .value_kind:     by_value
      - .offset:         104
        .size:           8
        .value_kind:     by_value
      - .address_space:  global
        .offset:         112
        .size:           8
        .value_kind:     global_buffer
      - .offset:         120
        .size:           8
        .value_kind:     by_value
      - .offset:         128
        .size:           8
        .value_kind:     by_value
      - .offset:         136
        .size:           4
        .value_kind:     by_value
    .group_segment_fixed_size: 2048
    .kernarg_segment_align: 8
    .kernarg_segment_size: 140
    .language:       OpenCL C
    .language_version:
      - 2
      - 0
    .max_flat_workgroup_size: 256
    .name:           _ZN12_GLOBAL__N_135rocblas_gemm_batched_general_kernelIfLi16ELi16ELi32ELi32ELi8ELi32ELi8ELi8ELi32ELc84ELc78EKPKDF16_KPKfKPfEEvlllT_PT11_llSB_llS9_PT12_llPT13_lli
    .private_segment_fixed_size: 0
    .sgpr_count:     42
    .sgpr_spill_count: 0
    .symbol:         _ZN12_GLOBAL__N_135rocblas_gemm_batched_general_kernelIfLi16ELi16ELi32ELi32ELi8ELi32ELi8ELi8ELi32ELc84ELc78EKPKDF16_KPKfKPfEEvlllT_PT11_llSB_llS9_PT12_llPT13_lli.kd
    .uniform_work_group_size: 1
    .uses_dynamic_stack: false
    .vgpr_count:     44
    .vgpr_spill_count: 0
    .wavefront_size: 32
    .workgroup_processor_mode: 1
  - .args:
      - .offset:         0
        .size:           8
        .value_kind:     by_value
      - .offset:         8
        .size:           8
        .value_kind:     by_value
      - .offset:         16
        .size:           8
        .value_kind:     by_value
      - .offset:         24
        .size:           4
        .value_kind:     by_value
      - .address_space:  global
        .offset:         32
        .size:           8
        .value_kind:     global_buffer
      - .offset:         40
        .size:           8
        .value_kind:     by_value
      - .offset:         48
        .size:           8
        .value_kind:     by_value
      - .address_space:  global
        .offset:         56
        .size:           8
        .value_kind:     global_buffer
      - .offset:         64
        .size:           8
        .value_kind:     by_value
      - .offset:         72
        .size:           8
        .value_kind:     by_value
      - .offset:         80
        .size:           4
        .value_kind:     by_value
      - .address_space:  global
        .offset:         88
        .size:           8
        .value_kind:     global_buffer
      - .offset:         96
        .size:           8
        .value_kind:     by_value
      - .offset:         104
        .size:           8
        .value_kind:     by_value
      - .address_space:  global
        .offset:         112
        .size:           8
        .value_kind:     global_buffer
      - .offset:         120
        .size:           8
        .value_kind:     by_value
      - .offset:         128
        .size:           8
        .value_kind:     by_value
      - .offset:         136
        .size:           4
        .value_kind:     by_value
    .group_segment_fixed_size: 2048
    .kernarg_segment_align: 8
    .kernarg_segment_size: 140
    .language:       OpenCL C
    .language_version:
      - 2
      - 0
    .max_flat_workgroup_size: 256
    .name:           _ZN12_GLOBAL__N_135rocblas_gemm_batched_general_kernelIfLi16ELi16ELi32ELi32ELi8ELi32ELi8ELi8ELi32ELc78ELc84EKPKDF16_KPKfKPfEEvlllT_PT11_llSB_llS9_PT12_llPT13_lli
    .private_segment_fixed_size: 0
    .sgpr_count:     48
    .sgpr_spill_count: 0
    .symbol:         _ZN12_GLOBAL__N_135rocblas_gemm_batched_general_kernelIfLi16ELi16ELi32ELi32ELi8ELi32ELi8ELi8ELi32ELc78ELc84EKPKDF16_KPKfKPfEEvlllT_PT11_llSB_llS9_PT12_llPT13_lli.kd
    .uniform_work_group_size: 1
    .uses_dynamic_stack: false
    .vgpr_count:     44
    .vgpr_spill_count: 0
    .wavefront_size: 32
    .workgroup_processor_mode: 1
  - .args:
      - .offset:         0
        .size:           8
        .value_kind:     by_value
      - .offset:         8
        .size:           8
        .value_kind:     by_value
      - .offset:         16
        .size:           8
        .value_kind:     by_value
      - .offset:         24
        .size:           4
        .value_kind:     by_value
      - .address_space:  global
        .offset:         32
        .size:           8
        .value_kind:     global_buffer
      - .offset:         40
        .size:           8
        .value_kind:     by_value
      - .offset:         48
        .size:           8
        .value_kind:     by_value
      - .address_space:  global
        .offset:         56
        .size:           8
        .value_kind:     global_buffer
      - .offset:         64
        .size:           8
        .value_kind:     by_value
      - .offset:         72
        .size:           8
        .value_kind:     by_value
      - .offset:         80
        .size:           4
        .value_kind:     by_value
      - .address_space:  global
        .offset:         88
        .size:           8
        .value_kind:     global_buffer
      - .offset:         96
        .size:           8
        .value_kind:     by_value
      - .offset:         104
        .size:           8
        .value_kind:     by_value
      - .address_space:  global
        .offset:         112
        .size:           8
        .value_kind:     global_buffer
      - .offset:         120
        .size:           8
        .value_kind:     by_value
      - .offset:         128
        .size:           8
        .value_kind:     by_value
      - .offset:         136
        .size:           4
        .value_kind:     by_value
    .group_segment_fixed_size: 2048
    .kernarg_segment_align: 8
    .kernarg_segment_size: 140
    .language:       OpenCL C
    .language_version:
      - 2
      - 0
    .max_flat_workgroup_size: 256
    .name:           _ZN12_GLOBAL__N_135rocblas_gemm_batched_general_kernelIfLi16ELi16ELi32ELi32ELi8ELi32ELi8ELi8ELi32ELc84ELc84EKPKDF16_KPKfKPfEEvlllT_PT11_llSB_llS9_PT12_llPT13_lli
    .private_segment_fixed_size: 0
    .sgpr_count:     46
    .sgpr_spill_count: 0
    .symbol:         _ZN12_GLOBAL__N_135rocblas_gemm_batched_general_kernelIfLi16ELi16ELi32ELi32ELi8ELi32ELi8ELi8ELi32ELc84ELc84EKPKDF16_KPKfKPfEEvlllT_PT11_llSB_llS9_PT12_llPT13_lli.kd
    .uniform_work_group_size: 1
    .uses_dynamic_stack: false
    .vgpr_count:     44
    .vgpr_spill_count: 0
    .wavefront_size: 32
    .workgroup_processor_mode: 1
  - .args:
      - .offset:         0
        .size:           8
        .value_kind:     by_value
      - .offset:         8
        .size:           8
        .value_kind:     by_value
      - .offset:         16
        .size:           8
        .value_kind:     by_value
      - .offset:         24
        .size:           4
        .value_kind:     by_value
      - .address_space:  global
        .offset:         32
        .size:           8
        .value_kind:     global_buffer
      - .offset:         40
        .size:           8
        .value_kind:     by_value
      - .offset:         48
        .size:           8
        .value_kind:     by_value
      - .address_space:  global
        .offset:         56
        .size:           8
        .value_kind:     global_buffer
      - .offset:         64
        .size:           8
        .value_kind:     by_value
      - .offset:         72
        .size:           8
        .value_kind:     by_value
      - .offset:         80
        .size:           4
        .value_kind:     by_value
      - .address_space:  global
        .offset:         88
        .size:           8
        .value_kind:     global_buffer
      - .offset:         96
        .size:           8
        .value_kind:     by_value
      - .offset:         104
        .size:           8
        .value_kind:     by_value
      - .address_space:  global
        .offset:         112
        .size:           8
        .value_kind:     global_buffer
      - .offset:         120
        .size:           8
        .value_kind:     by_value
      - .offset:         128
        .size:           8
        .value_kind:     by_value
      - .offset:         136
        .size:           4
        .value_kind:     by_value
    .group_segment_fixed_size: 2048
    .kernarg_segment_align: 8
    .kernarg_segment_size: 140
    .language:       OpenCL C
    .language_version:
      - 2
      - 0
    .max_flat_workgroup_size: 256
    .name:           _ZN12_GLOBAL__N_135rocblas_gemm_batched_general_kernelIfLi16ELi16ELi32ELi32ELi8ELi32ELi8ELi8ELi32ELc67ELc67EKPKDF16_KPKfKPfEEvlllT_PT11_llSB_llS9_PT12_llPT13_lli
    .private_segment_fixed_size: 0
    .sgpr_count:     46
    .sgpr_spill_count: 0
    .symbol:         _ZN12_GLOBAL__N_135rocblas_gemm_batched_general_kernelIfLi16ELi16ELi32ELi32ELi8ELi32ELi8ELi8ELi32ELc67ELc67EKPKDF16_KPKfKPfEEvlllT_PT11_llSB_llS9_PT12_llPT13_lli.kd
    .uniform_work_group_size: 1
    .uses_dynamic_stack: false
    .vgpr_count:     44
    .vgpr_spill_count: 0
    .wavefront_size: 32
    .workgroup_processor_mode: 1
  - .args:
      - .offset:         0
        .size:           8
        .value_kind:     by_value
      - .offset:         8
        .size:           8
        .value_kind:     by_value
      - .offset:         16
        .size:           8
        .value_kind:     by_value
      - .offset:         24
        .size:           4
        .value_kind:     by_value
      - .address_space:  global
        .offset:         32
        .size:           8
        .value_kind:     global_buffer
      - .offset:         40
        .size:           8
        .value_kind:     by_value
      - .offset:         48
        .size:           8
        .value_kind:     by_value
      - .address_space:  global
        .offset:         56
        .size:           8
        .value_kind:     global_buffer
      - .offset:         64
        .size:           8
        .value_kind:     by_value
      - .offset:         72
        .size:           8
        .value_kind:     by_value
      - .offset:         80
        .size:           4
        .value_kind:     by_value
      - .address_space:  global
        .offset:         88
        .size:           8
        .value_kind:     global_buffer
      - .offset:         96
        .size:           8
        .value_kind:     by_value
      - .offset:         104
        .size:           8
        .value_kind:     by_value
      - .address_space:  global
        .offset:         112
        .size:           8
        .value_kind:     global_buffer
      - .offset:         120
        .size:           8
        .value_kind:     by_value
      - .offset:         128
        .size:           8
        .value_kind:     by_value
      - .offset:         136
        .size:           4
        .value_kind:     by_value
    .group_segment_fixed_size: 2048
    .kernarg_segment_align: 8
    .kernarg_segment_size: 140
    .language:       OpenCL C
    .language_version:
      - 2
      - 0
    .max_flat_workgroup_size: 256
    .name:           _ZN12_GLOBAL__N_135rocblas_gemm_batched_general_kernelIfLi16ELi16ELi32ELi32ELi8ELi32ELi8ELi8ELi32ELc67ELc78EKPKDF16_KPKfKPfEEvlllT_PT11_llSB_llS9_PT12_llPT13_lli
    .private_segment_fixed_size: 0
    .sgpr_count:     42
    .sgpr_spill_count: 0
    .symbol:         _ZN12_GLOBAL__N_135rocblas_gemm_batched_general_kernelIfLi16ELi16ELi32ELi32ELi8ELi32ELi8ELi8ELi32ELc67ELc78EKPKDF16_KPKfKPfEEvlllT_PT11_llSB_llS9_PT12_llPT13_lli.kd
    .uniform_work_group_size: 1
    .uses_dynamic_stack: false
    .vgpr_count:     44
    .vgpr_spill_count: 0
    .wavefront_size: 32
    .workgroup_processor_mode: 1
  - .args:
      - .offset:         0
        .size:           8
        .value_kind:     by_value
      - .offset:         8
        .size:           8
        .value_kind:     by_value
      - .offset:         16
        .size:           8
        .value_kind:     by_value
      - .offset:         24
        .size:           4
        .value_kind:     by_value
      - .address_space:  global
        .offset:         32
        .size:           8
        .value_kind:     global_buffer
      - .offset:         40
        .size:           8
        .value_kind:     by_value
      - .offset:         48
        .size:           8
        .value_kind:     by_value
      - .address_space:  global
        .offset:         56
        .size:           8
        .value_kind:     global_buffer
      - .offset:         64
        .size:           8
        .value_kind:     by_value
      - .offset:         72
        .size:           8
        .value_kind:     by_value
      - .offset:         80
        .size:           4
        .value_kind:     by_value
      - .address_space:  global
        .offset:         88
        .size:           8
        .value_kind:     global_buffer
      - .offset:         96
        .size:           8
        .value_kind:     by_value
      - .offset:         104
        .size:           8
        .value_kind:     by_value
      - .address_space:  global
        .offset:         112
        .size:           8
        .value_kind:     global_buffer
      - .offset:         120
        .size:           8
        .value_kind:     by_value
      - .offset:         128
        .size:           8
        .value_kind:     by_value
      - .offset:         136
        .size:           4
        .value_kind:     by_value
    .group_segment_fixed_size: 2048
    .kernarg_segment_align: 8
    .kernarg_segment_size: 140
    .language:       OpenCL C
    .language_version:
      - 2
      - 0
    .max_flat_workgroup_size: 256
    .name:           _ZN12_GLOBAL__N_135rocblas_gemm_batched_general_kernelIfLi16ELi16ELi32ELi32ELi8ELi32ELi8ELi8ELi32ELc67ELc84EKPKDF16_KPKfKPfEEvlllT_PT11_llSB_llS9_PT12_llPT13_lli
    .private_segment_fixed_size: 0
    .sgpr_count:     46
    .sgpr_spill_count: 0
    .symbol:         _ZN12_GLOBAL__N_135rocblas_gemm_batched_general_kernelIfLi16ELi16ELi32ELi32ELi8ELi32ELi8ELi8ELi32ELc67ELc84EKPKDF16_KPKfKPfEEvlllT_PT11_llSB_llS9_PT12_llPT13_lli.kd
    .uniform_work_group_size: 1
    .uses_dynamic_stack: false
    .vgpr_count:     44
    .vgpr_spill_count: 0
    .wavefront_size: 32
    .workgroup_processor_mode: 1
  - .args:
      - .offset:         0
        .size:           8
        .value_kind:     by_value
      - .offset:         8
        .size:           8
        .value_kind:     by_value
      - .offset:         16
        .size:           8
        .value_kind:     by_value
      - .offset:         24
        .size:           4
        .value_kind:     by_value
      - .address_space:  global
        .offset:         32
        .size:           8
        .value_kind:     global_buffer
      - .offset:         40
        .size:           8
        .value_kind:     by_value
      - .offset:         48
        .size:           8
        .value_kind:     by_value
      - .address_space:  global
        .offset:         56
        .size:           8
        .value_kind:     global_buffer
      - .offset:         64
        .size:           8
        .value_kind:     by_value
      - .offset:         72
        .size:           8
        .value_kind:     by_value
      - .offset:         80
        .size:           4
        .value_kind:     by_value
      - .address_space:  global
        .offset:         88
        .size:           8
        .value_kind:     global_buffer
      - .offset:         96
        .size:           8
        .value_kind:     by_value
      - .offset:         104
        .size:           8
        .value_kind:     by_value
      - .address_space:  global
        .offset:         112
        .size:           8
        .value_kind:     global_buffer
      - .offset:         120
        .size:           8
        .value_kind:     by_value
      - .offset:         128
        .size:           8
        .value_kind:     by_value
      - .offset:         136
        .size:           4
        .value_kind:     by_value
    .group_segment_fixed_size: 2048
    .kernarg_segment_align: 8
    .kernarg_segment_size: 140
    .language:       OpenCL C
    .language_version:
      - 2
      - 0
    .max_flat_workgroup_size: 256
    .name:           _ZN12_GLOBAL__N_135rocblas_gemm_batched_general_kernelIfLi16ELi16ELi32ELi32ELi8ELi32ELi8ELi8ELi32ELc78ELc67EKPKDF16_KPKfKPfEEvlllT_PT11_llSB_llS9_PT12_llPT13_lli
    .private_segment_fixed_size: 0
    .sgpr_count:     48
    .sgpr_spill_count: 0
    .symbol:         _ZN12_GLOBAL__N_135rocblas_gemm_batched_general_kernelIfLi16ELi16ELi32ELi32ELi8ELi32ELi8ELi8ELi32ELc78ELc67EKPKDF16_KPKfKPfEEvlllT_PT11_llSB_llS9_PT12_llPT13_lli.kd
    .uniform_work_group_size: 1
    .uses_dynamic_stack: false
    .vgpr_count:     44
    .vgpr_spill_count: 0
    .wavefront_size: 32
    .workgroup_processor_mode: 1
  - .args:
      - .offset:         0
        .size:           8
        .value_kind:     by_value
      - .offset:         8
        .size:           8
        .value_kind:     by_value
      - .offset:         16
        .size:           8
        .value_kind:     by_value
      - .offset:         24
        .size:           4
        .value_kind:     by_value
      - .address_space:  global
        .offset:         32
        .size:           8
        .value_kind:     global_buffer
      - .offset:         40
        .size:           8
        .value_kind:     by_value
      - .offset:         48
        .size:           8
        .value_kind:     by_value
      - .address_space:  global
        .offset:         56
        .size:           8
        .value_kind:     global_buffer
      - .offset:         64
        .size:           8
        .value_kind:     by_value
      - .offset:         72
        .size:           8
        .value_kind:     by_value
      - .offset:         80
        .size:           4
        .value_kind:     by_value
      - .address_space:  global
        .offset:         88
        .size:           8
        .value_kind:     global_buffer
      - .offset:         96
        .size:           8
        .value_kind:     by_value
      - .offset:         104
        .size:           8
        .value_kind:     by_value
      - .address_space:  global
        .offset:         112
        .size:           8
        .value_kind:     global_buffer
      - .offset:         120
        .size:           8
        .value_kind:     by_value
      - .offset:         128
        .size:           8
        .value_kind:     by_value
      - .offset:         136
        .size:           4
        .value_kind:     by_value
    .group_segment_fixed_size: 2048
    .kernarg_segment_align: 8
    .kernarg_segment_size: 140
    .language:       OpenCL C
    .language_version:
      - 2
      - 0
    .max_flat_workgroup_size: 256
    .name:           _ZN12_GLOBAL__N_135rocblas_gemm_batched_general_kernelIfLi16ELi16ELi32ELi32ELi8ELi32ELi8ELi8ELi32ELc84ELc67EKPKDF16_KPKfKPfEEvlllT_PT11_llSB_llS9_PT12_llPT13_lli
    .private_segment_fixed_size: 0
    .sgpr_count:     46
    .sgpr_spill_count: 0
    .symbol:         _ZN12_GLOBAL__N_135rocblas_gemm_batched_general_kernelIfLi16ELi16ELi32ELi32ELi8ELi32ELi8ELi8ELi32ELc84ELc67EKPKDF16_KPKfKPfEEvlllT_PT11_llSB_llS9_PT12_llPT13_lli.kd
    .uniform_work_group_size: 1
    .uses_dynamic_stack: false
    .vgpr_count:     44
    .vgpr_spill_count: 0
    .wavefront_size: 32
    .workgroup_processor_mode: 1
  - .args:
      - .offset:         0
        .size:           4
        .value_kind:     by_value
      - .offset:         4
        .size:           4
        .value_kind:     by_value
      - .offset:         8
        .size:           4
        .value_kind:     by_value
      - .address_space:  global
        .offset:         16
        .size:           8
        .value_kind:     global_buffer
      - .offset:         24
        .size:           8
        .value_kind:     by_value
      - .offset:         32
        .size:           8
        .value_kind:     by_value
      - .offset:         40
        .size:           8
        .value_kind:     by_value
      - .address_space:  global
        .offset:         48
        .size:           8
        .value_kind:     global_buffer
      - .offset:         56
        .size:           8
        .value_kind:     by_value
      - .offset:         64
        .size:           8
        .value_kind:     by_value
      - .offset:         72
        .size:           8
        .value_kind:     by_value
      - .offset:         80
        .size:           4
        .value_kind:     by_value
    .group_segment_fixed_size: 0
    .kernarg_segment_align: 8
    .kernarg_segment_size: 84
    .language:       OpenCL C
    .language_version:
      - 2
      - 0
    .max_flat_workgroup_size: 1024
    .name:           _ZN12_GLOBAL__N_120gemm_ex_scale_kernelILi32ELi32EfPKPK16rocblas_bfloat16PKPS1_EEviiT1_T2_lllT3_llli
    .private_segment_fixed_size: 0
    .sgpr_count:     22
    .sgpr_spill_count: 0
    .symbol:         _ZN12_GLOBAL__N_120gemm_ex_scale_kernelILi32ELi32EfPKPK16rocblas_bfloat16PKPS1_EEviiT1_T2_lllT3_llli.kd
    .uniform_work_group_size: 1
    .uses_dynamic_stack: false
    .vgpr_count:     7
    .vgpr_spill_count: 0
    .wavefront_size: 32
    .workgroup_processor_mode: 1
  - .args:
      - .offset:         0
        .size:           8
        .value_kind:     by_value
      - .offset:         8
        .size:           8
        .value_kind:     by_value
      - .offset:         16
        .size:           8
        .value_kind:     by_value
      - .offset:         24
        .size:           4
        .value_kind:     by_value
      - .address_space:  global
        .offset:         32
        .size:           8
        .value_kind:     global_buffer
      - .offset:         40
        .size:           8
        .value_kind:     by_value
      - .offset:         48
        .size:           8
        .value_kind:     by_value
      - .address_space:  global
        .offset:         56
        .size:           8
        .value_kind:     global_buffer
      - .offset:         64
        .size:           8
        .value_kind:     by_value
      - .offset:         72
        .size:           8
        .value_kind:     by_value
      - .offset:         80
        .size:           4
        .value_kind:     by_value
      - .address_space:  global
        .offset:         88
        .size:           8
        .value_kind:     global_buffer
      - .offset:         96
        .size:           8
        .value_kind:     by_value
      - .offset:         104
        .size:           8
        .value_kind:     by_value
      - .address_space:  global
        .offset:         112
        .size:           8
        .value_kind:     global_buffer
      - .offset:         120
        .size:           8
        .value_kind:     by_value
      - .offset:         128
        .size:           8
        .value_kind:     by_value
      - .offset:         136
        .size:           4
        .value_kind:     by_value
    .group_segment_fixed_size: 2048
    .kernarg_segment_align: 8
    .kernarg_segment_size: 140
    .language:       OpenCL C
    .language_version:
      - 2
      - 0
    .max_flat_workgroup_size: 256
    .name:           _ZN12_GLOBAL__N_127rocblas_gemm_batched_kernelIfLi16ELi16ELi64ELi64ELi4ELi64ELi4ELi4ELi64ELc78ELc78EKPK16rocblas_bfloat16S4_KPS1_EEvlllT_PT11_llS9_llS7_PT12_llPT13_lli
    .private_segment_fixed_size: 0
    .sgpr_count:     38
    .sgpr_spill_count: 0
    .symbol:         _ZN12_GLOBAL__N_127rocblas_gemm_batched_kernelIfLi16ELi16ELi64ELi64ELi4ELi64ELi4ELi4ELi64ELc78ELc78EKPK16rocblas_bfloat16S4_KPS1_EEvlllT_PT11_llS9_llS7_PT12_llPT13_lli.kd
    .uniform_work_group_size: 1
    .uses_dynamic_stack: false
    .vgpr_count:     58
    .vgpr_spill_count: 0
    .wavefront_size: 32
    .workgroup_processor_mode: 1
  - .args:
      - .offset:         0
        .size:           8
        .value_kind:     by_value
      - .offset:         8
        .size:           8
        .value_kind:     by_value
      - .offset:         16
        .size:           8
        .value_kind:     by_value
      - .offset:         24
        .size:           4
        .value_kind:     by_value
      - .address_space:  global
        .offset:         32
        .size:           8
        .value_kind:     global_buffer
      - .offset:         40
        .size:           8
        .value_kind:     by_value
      - .offset:         48
        .size:           8
        .value_kind:     by_value
      - .address_space:  global
        .offset:         56
        .size:           8
        .value_kind:     global_buffer
      - .offset:         64
        .size:           8
        .value_kind:     by_value
      - .offset:         72
        .size:           8
        .value_kind:     by_value
      - .offset:         80
        .size:           4
        .value_kind:     by_value
      - .address_space:  global
        .offset:         88
        .size:           8
        .value_kind:     global_buffer
      - .offset:         96
        .size:           8
        .value_kind:     by_value
      - .offset:         104
        .size:           8
        .value_kind:     by_value
      - .address_space:  global
        .offset:         112
        .size:           8
        .value_kind:     global_buffer
      - .offset:         120
        .size:           8
        .value_kind:     by_value
      - .offset:         128
        .size:           8
        .value_kind:     by_value
      - .offset:         136
        .size:           4
        .value_kind:     by_value
    .group_segment_fixed_size: 2048
    .kernarg_segment_align: 8
    .kernarg_segment_size: 140
    .language:       OpenCL C
    .language_version:
      - 2
      - 0
    .max_flat_workgroup_size: 256
    .name:           _ZN12_GLOBAL__N_127rocblas_gemm_batched_kernelIfLi16ELi16ELi64ELi64ELi4ELi64ELi4ELi4ELi64ELc84ELc78EKPK16rocblas_bfloat16S4_KPS1_EEvlllT_PT11_llS9_llS7_PT12_llPT13_lli
    .private_segment_fixed_size: 0
    .sgpr_count:     38
    .sgpr_spill_count: 0
    .symbol:         _ZN12_GLOBAL__N_127rocblas_gemm_batched_kernelIfLi16ELi16ELi64ELi64ELi4ELi64ELi4ELi4ELi64ELc84ELc78EKPK16rocblas_bfloat16S4_KPS1_EEvlllT_PT11_llS9_llS7_PT12_llPT13_lli.kd
    .uniform_work_group_size: 1
    .uses_dynamic_stack: false
    .vgpr_count:     58
    .vgpr_spill_count: 0
    .wavefront_size: 32
    .workgroup_processor_mode: 1
  - .args:
      - .offset:         0
        .size:           8
        .value_kind:     by_value
      - .offset:         8
        .size:           8
        .value_kind:     by_value
      - .offset:         16
        .size:           8
        .value_kind:     by_value
      - .offset:         24
        .size:           4
        .value_kind:     by_value
      - .address_space:  global
        .offset:         32
        .size:           8
        .value_kind:     global_buffer
      - .offset:         40
        .size:           8
        .value_kind:     by_value
      - .offset:         48
        .size:           8
        .value_kind:     by_value
      - .address_space:  global
        .offset:         56
        .size:           8
        .value_kind:     global_buffer
      - .offset:         64
        .size:           8
        .value_kind:     by_value
      - .offset:         72
        .size:           8
        .value_kind:     by_value
      - .offset:         80
        .size:           4
        .value_kind:     by_value
      - .address_space:  global
        .offset:         88
        .size:           8
        .value_kind:     global_buffer
      - .offset:         96
        .size:           8
        .value_kind:     by_value
      - .offset:         104
        .size:           8
        .value_kind:     by_value
      - .address_space:  global
        .offset:         112
        .size:           8
        .value_kind:     global_buffer
      - .offset:         120
        .size:           8
        .value_kind:     by_value
      - .offset:         128
        .size:           8
        .value_kind:     by_value
      - .offset:         136
        .size:           4
        .value_kind:     by_value
    .group_segment_fixed_size: 2048
    .kernarg_segment_align: 8
    .kernarg_segment_size: 140
    .language:       OpenCL C
    .language_version:
      - 2
      - 0
    .max_flat_workgroup_size: 256
    .name:           _ZN12_GLOBAL__N_127rocblas_gemm_batched_kernelIfLi16ELi16ELi64ELi64ELi4ELi64ELi4ELi4ELi64ELc78ELc84EKPK16rocblas_bfloat16S4_KPS1_EEvlllT_PT11_llS9_llS7_PT12_llPT13_lli
    .private_segment_fixed_size: 0
    .sgpr_count:     38
    .sgpr_spill_count: 0
    .symbol:         _ZN12_GLOBAL__N_127rocblas_gemm_batched_kernelIfLi16ELi16ELi64ELi64ELi4ELi64ELi4ELi4ELi64ELc78ELc84EKPK16rocblas_bfloat16S4_KPS1_EEvlllT_PT11_llS9_llS7_PT12_llPT13_lli.kd
    .uniform_work_group_size: 1
    .uses_dynamic_stack: false
    .vgpr_count:     58
    .vgpr_spill_count: 0
    .wavefront_size: 32
    .workgroup_processor_mode: 1
  - .args:
      - .offset:         0
        .size:           8
        .value_kind:     by_value
      - .offset:         8
        .size:           8
        .value_kind:     by_value
      - .offset:         16
        .size:           8
        .value_kind:     by_value
      - .offset:         24
        .size:           4
        .value_kind:     by_value
      - .address_space:  global
        .offset:         32
        .size:           8
        .value_kind:     global_buffer
      - .offset:         40
        .size:           8
        .value_kind:     by_value
      - .offset:         48
        .size:           8
        .value_kind:     by_value
      - .address_space:  global
        .offset:         56
        .size:           8
        .value_kind:     global_buffer
      - .offset:         64
        .size:           8
        .value_kind:     by_value
      - .offset:         72
        .size:           8
        .value_kind:     by_value
      - .offset:         80
        .size:           4
        .value_kind:     by_value
      - .address_space:  global
        .offset:         88
        .size:           8
        .value_kind:     global_buffer
      - .offset:         96
        .size:           8
        .value_kind:     by_value
      - .offset:         104
        .size:           8
        .value_kind:     by_value
      - .address_space:  global
        .offset:         112
        .size:           8
        .value_kind:     global_buffer
      - .offset:         120
        .size:           8
        .value_kind:     by_value
      - .offset:         128
        .size:           8
        .value_kind:     by_value
      - .offset:         136
        .size:           4
        .value_kind:     by_value
    .group_segment_fixed_size: 2048
    .kernarg_segment_align: 8
    .kernarg_segment_size: 140
    .language:       OpenCL C
    .language_version:
      - 2
      - 0
    .max_flat_workgroup_size: 256
    .name:           _ZN12_GLOBAL__N_127rocblas_gemm_batched_kernelIfLi16ELi16ELi64ELi64ELi4ELi64ELi4ELi4ELi64ELc84ELc84EKPK16rocblas_bfloat16S4_KPS1_EEvlllT_PT11_llS9_llS7_PT12_llPT13_lli
    .private_segment_fixed_size: 0
    .sgpr_count:     38
    .sgpr_spill_count: 0
    .symbol:         _ZN12_GLOBAL__N_127rocblas_gemm_batched_kernelIfLi16ELi16ELi64ELi64ELi4ELi64ELi4ELi4ELi64ELc84ELc84EKPK16rocblas_bfloat16S4_KPS1_EEvlllT_PT11_llS9_llS7_PT12_llPT13_lli.kd
    .uniform_work_group_size: 1
    .uses_dynamic_stack: false
    .vgpr_count:     58
    .vgpr_spill_count: 0
    .wavefront_size: 32
    .workgroup_processor_mode: 1
  - .args:
      - .offset:         0
        .size:           8
        .value_kind:     by_value
      - .offset:         8
        .size:           8
        .value_kind:     by_value
      - .offset:         16
        .size:           8
        .value_kind:     by_value
      - .offset:         24
        .size:           4
        .value_kind:     by_value
      - .address_space:  global
        .offset:         32
        .size:           8
        .value_kind:     global_buffer
      - .offset:         40
        .size:           8
        .value_kind:     by_value
      - .offset:         48
        .size:           8
        .value_kind:     by_value
      - .address_space:  global
        .offset:         56
        .size:           8
        .value_kind:     global_buffer
      - .offset:         64
        .size:           8
        .value_kind:     by_value
      - .offset:         72
        .size:           8
        .value_kind:     by_value
      - .offset:         80
        .size:           4
        .value_kind:     by_value
      - .address_space:  global
        .offset:         88
        .size:           8
        .value_kind:     global_buffer
      - .offset:         96
        .size:           8
        .value_kind:     by_value
      - .offset:         104
        .size:           8
        .value_kind:     by_value
      - .address_space:  global
        .offset:         112
        .size:           8
        .value_kind:     global_buffer
      - .offset:         120
        .size:           8
        .value_kind:     by_value
      - .offset:         128
        .size:           8
        .value_kind:     by_value
      - .offset:         136
        .size:           4
        .value_kind:     by_value
    .group_segment_fixed_size: 2048
    .kernarg_segment_align: 8
    .kernarg_segment_size: 140
    .language:       OpenCL C
    .language_version:
      - 2
      - 0
    .max_flat_workgroup_size: 256
    .name:           _ZN12_GLOBAL__N_127rocblas_gemm_batched_kernelIfLi16ELi16ELi64ELi64ELi4ELi64ELi4ELi4ELi64ELc67ELc67EKPK16rocblas_bfloat16S4_KPS1_EEvlllT_PT11_llS9_llS7_PT12_llPT13_lli
    .private_segment_fixed_size: 0
    .sgpr_count:     38
    .sgpr_spill_count: 0
    .symbol:         _ZN12_GLOBAL__N_127rocblas_gemm_batched_kernelIfLi16ELi16ELi64ELi64ELi4ELi64ELi4ELi4ELi64ELc67ELc67EKPK16rocblas_bfloat16S4_KPS1_EEvlllT_PT11_llS9_llS7_PT12_llPT13_lli.kd
    .uniform_work_group_size: 1
    .uses_dynamic_stack: false
    .vgpr_count:     58
    .vgpr_spill_count: 0
    .wavefront_size: 32
    .workgroup_processor_mode: 1
  - .args:
      - .offset:         0
        .size:           8
        .value_kind:     by_value
      - .offset:         8
        .size:           8
        .value_kind:     by_value
      - .offset:         16
        .size:           8
        .value_kind:     by_value
      - .offset:         24
        .size:           4
        .value_kind:     by_value
      - .address_space:  global
        .offset:         32
        .size:           8
        .value_kind:     global_buffer
      - .offset:         40
        .size:           8
        .value_kind:     by_value
      - .offset:         48
        .size:           8
        .value_kind:     by_value
      - .address_space:  global
        .offset:         56
        .size:           8
        .value_kind:     global_buffer
      - .offset:         64
        .size:           8
        .value_kind:     by_value
      - .offset:         72
        .size:           8
        .value_kind:     by_value
      - .offset:         80
        .size:           4
        .value_kind:     by_value
      - .address_space:  global
        .offset:         88
        .size:           8
        .value_kind:     global_buffer
      - .offset:         96
        .size:           8
        .value_kind:     by_value
      - .offset:         104
        .size:           8
        .value_kind:     by_value
      - .address_space:  global
        .offset:         112
        .size:           8
        .value_kind:     global_buffer
      - .offset:         120
        .size:           8
        .value_kind:     by_value
      - .offset:         128
        .size:           8
        .value_kind:     by_value
      - .offset:         136
        .size:           4
        .value_kind:     by_value
    .group_segment_fixed_size: 2048
    .kernarg_segment_align: 8
    .kernarg_segment_size: 140
    .language:       OpenCL C
    .language_version:
      - 2
      - 0
    .max_flat_workgroup_size: 256
    .name:           _ZN12_GLOBAL__N_127rocblas_gemm_batched_kernelIfLi16ELi16ELi64ELi64ELi4ELi64ELi4ELi4ELi64ELc67ELc78EKPK16rocblas_bfloat16S4_KPS1_EEvlllT_PT11_llS9_llS7_PT12_llPT13_lli
    .private_segment_fixed_size: 0
    .sgpr_count:     38
    .sgpr_spill_count: 0
    .symbol:         _ZN12_GLOBAL__N_127rocblas_gemm_batched_kernelIfLi16ELi16ELi64ELi64ELi4ELi64ELi4ELi4ELi64ELc67ELc78EKPK16rocblas_bfloat16S4_KPS1_EEvlllT_PT11_llS9_llS7_PT12_llPT13_lli.kd
    .uniform_work_group_size: 1
    .uses_dynamic_stack: false
    .vgpr_count:     58
    .vgpr_spill_count: 0
    .wavefront_size: 32
    .workgroup_processor_mode: 1
  - .args:
      - .offset:         0
        .size:           8
        .value_kind:     by_value
      - .offset:         8
        .size:           8
        .value_kind:     by_value
      - .offset:         16
        .size:           8
        .value_kind:     by_value
      - .offset:         24
        .size:           4
        .value_kind:     by_value
      - .address_space:  global
        .offset:         32
        .size:           8
        .value_kind:     global_buffer
      - .offset:         40
        .size:           8
        .value_kind:     by_value
      - .offset:         48
        .size:           8
        .value_kind:     by_value
      - .address_space:  global
        .offset:         56
        .size:           8
        .value_kind:     global_buffer
      - .offset:         64
        .size:           8
        .value_kind:     by_value
      - .offset:         72
        .size:           8
        .value_kind:     by_value
      - .offset:         80
        .size:           4
        .value_kind:     by_value
      - .address_space:  global
        .offset:         88
        .size:           8
        .value_kind:     global_buffer
      - .offset:         96
        .size:           8
        .value_kind:     by_value
      - .offset:         104
        .size:           8
        .value_kind:     by_value
      - .address_space:  global
        .offset:         112
        .size:           8
        .value_kind:     global_buffer
      - .offset:         120
        .size:           8
        .value_kind:     by_value
      - .offset:         128
        .size:           8
        .value_kind:     by_value
      - .offset:         136
        .size:           4
        .value_kind:     by_value
    .group_segment_fixed_size: 2048
    .kernarg_segment_align: 8
    .kernarg_segment_size: 140
    .language:       OpenCL C
    .language_version:
      - 2
      - 0
    .max_flat_workgroup_size: 256
    .name:           _ZN12_GLOBAL__N_127rocblas_gemm_batched_kernelIfLi16ELi16ELi64ELi64ELi4ELi64ELi4ELi4ELi64ELc67ELc84EKPK16rocblas_bfloat16S4_KPS1_EEvlllT_PT11_llS9_llS7_PT12_llPT13_lli
    .private_segment_fixed_size: 0
    .sgpr_count:     38
    .sgpr_spill_count: 0
    .symbol:         _ZN12_GLOBAL__N_127rocblas_gemm_batched_kernelIfLi16ELi16ELi64ELi64ELi4ELi64ELi4ELi4ELi64ELc67ELc84EKPK16rocblas_bfloat16S4_KPS1_EEvlllT_PT11_llS9_llS7_PT12_llPT13_lli.kd
    .uniform_work_group_size: 1
    .uses_dynamic_stack: false
    .vgpr_count:     58
    .vgpr_spill_count: 0
    .wavefront_size: 32
    .workgroup_processor_mode: 1
  - .args:
      - .offset:         0
        .size:           8
        .value_kind:     by_value
      - .offset:         8
        .size:           8
        .value_kind:     by_value
      - .offset:         16
        .size:           8
        .value_kind:     by_value
      - .offset:         24
        .size:           4
        .value_kind:     by_value
      - .address_space:  global
        .offset:         32
        .size:           8
        .value_kind:     global_buffer
      - .offset:         40
        .size:           8
        .value_kind:     by_value
      - .offset:         48
        .size:           8
        .value_kind:     by_value
      - .address_space:  global
        .offset:         56
        .size:           8
        .value_kind:     global_buffer
      - .offset:         64
        .size:           8
        .value_kind:     by_value
      - .offset:         72
        .size:           8
        .value_kind:     by_value
      - .offset:         80
        .size:           4
        .value_kind:     by_value
      - .address_space:  global
        .offset:         88
        .size:           8
        .value_kind:     global_buffer
      - .offset:         96
        .size:           8
        .value_kind:     by_value
      - .offset:         104
        .size:           8
        .value_kind:     by_value
      - .address_space:  global
        .offset:         112
        .size:           8
        .value_kind:     global_buffer
      - .offset:         120
        .size:           8
        .value_kind:     by_value
      - .offset:         128
        .size:           8
        .value_kind:     by_value
      - .offset:         136
        .size:           4
        .value_kind:     by_value
    .group_segment_fixed_size: 2048
    .kernarg_segment_align: 8
    .kernarg_segment_size: 140
    .language:       OpenCL C
    .language_version:
      - 2
      - 0
    .max_flat_workgroup_size: 256
    .name:           _ZN12_GLOBAL__N_127rocblas_gemm_batched_kernelIfLi16ELi16ELi64ELi64ELi4ELi64ELi4ELi4ELi64ELc78ELc67EKPK16rocblas_bfloat16S4_KPS1_EEvlllT_PT11_llS9_llS7_PT12_llPT13_lli
    .private_segment_fixed_size: 0
    .sgpr_count:     38
    .sgpr_spill_count: 0
    .symbol:         _ZN12_GLOBAL__N_127rocblas_gemm_batched_kernelIfLi16ELi16ELi64ELi64ELi4ELi64ELi4ELi4ELi64ELc78ELc67EKPK16rocblas_bfloat16S4_KPS1_EEvlllT_PT11_llS9_llS7_PT12_llPT13_lli.kd
    .uniform_work_group_size: 1
    .uses_dynamic_stack: false
    .vgpr_count:     58
    .vgpr_spill_count: 0
    .wavefront_size: 32
    .workgroup_processor_mode: 1
  - .args:
      - .offset:         0
        .size:           8
        .value_kind:     by_value
      - .offset:         8
        .size:           8
        .value_kind:     by_value
      - .offset:         16
        .size:           8
        .value_kind:     by_value
      - .offset:         24
        .size:           4
        .value_kind:     by_value
      - .address_space:  global
        .offset:         32
        .size:           8
        .value_kind:     global_buffer
      - .offset:         40
        .size:           8
        .value_kind:     by_value
      - .offset:         48
        .size:           8
        .value_kind:     by_value
      - .address_space:  global
        .offset:         56
        .size:           8
        .value_kind:     global_buffer
      - .offset:         64
        .size:           8
        .value_kind:     by_value
      - .offset:         72
        .size:           8
        .value_kind:     by_value
      - .offset:         80
        .size:           4
        .value_kind:     by_value
      - .address_space:  global
        .offset:         88
        .size:           8
        .value_kind:     global_buffer
      - .offset:         96
        .size:           8
        .value_kind:     by_value
      - .offset:         104
        .size:           8
        .value_kind:     by_value
      - .address_space:  global
        .offset:         112
        .size:           8
        .value_kind:     global_buffer
      - .offset:         120
        .size:           8
        .value_kind:     by_value
      - .offset:         128
        .size:           8
        .value_kind:     by_value
      - .offset:         136
        .size:           4
        .value_kind:     by_value
    .group_segment_fixed_size: 2048
    .kernarg_segment_align: 8
    .kernarg_segment_size: 140
    .language:       OpenCL C
    .language_version:
      - 2
      - 0
    .max_flat_workgroup_size: 256
    .name:           _ZN12_GLOBAL__N_127rocblas_gemm_batched_kernelIfLi16ELi16ELi64ELi64ELi4ELi64ELi4ELi4ELi64ELc84ELc67EKPK16rocblas_bfloat16S4_KPS1_EEvlllT_PT11_llS9_llS7_PT12_llPT13_lli
    .private_segment_fixed_size: 0
    .sgpr_count:     38
    .sgpr_spill_count: 0
    .symbol:         _ZN12_GLOBAL__N_127rocblas_gemm_batched_kernelIfLi16ELi16ELi64ELi64ELi4ELi64ELi4ELi4ELi64ELc84ELc67EKPK16rocblas_bfloat16S4_KPS1_EEvlllT_PT11_llS9_llS7_PT12_llPT13_lli.kd
    .uniform_work_group_size: 1
    .uses_dynamic_stack: false
    .vgpr_count:     58
    .vgpr_spill_count: 0
    .wavefront_size: 32
    .workgroup_processor_mode: 1
  - .args:
      - .offset:         0
        .size:           8
        .value_kind:     by_value
      - .offset:         8
        .size:           8
        .value_kind:     by_value
      - .offset:         16
        .size:           8
        .value_kind:     by_value
      - .offset:         24
        .size:           4
        .value_kind:     by_value
      - .address_space:  global
        .offset:         32
        .size:           8
        .value_kind:     global_buffer
      - .offset:         40
        .size:           8
        .value_kind:     by_value
      - .offset:         48
        .size:           8
        .value_kind:     by_value
      - .address_space:  global
        .offset:         56
        .size:           8
        .value_kind:     global_buffer
      - .offset:         64
        .size:           8
        .value_kind:     by_value
      - .offset:         72
        .size:           8
        .value_kind:     by_value
      - .offset:         80
        .size:           4
        .value_kind:     by_value
      - .address_space:  global
        .offset:         88
        .size:           8
        .value_kind:     global_buffer
      - .offset:         96
        .size:           8
        .value_kind:     by_value
      - .offset:         104
        .size:           8
        .value_kind:     by_value
      - .address_space:  global
        .offset:         112
        .size:           8
        .value_kind:     global_buffer
      - .offset:         120
        .size:           8
        .value_kind:     by_value
      - .offset:         128
        .size:           8
        .value_kind:     by_value
      - .offset:         136
        .size:           4
        .value_kind:     by_value
    .group_segment_fixed_size: 2048
    .kernarg_segment_align: 8
    .kernarg_segment_size: 140
    .language:       OpenCL C
    .language_version:
      - 2
      - 0
    .max_flat_workgroup_size: 256
    .name:           _ZN12_GLOBAL__N_127rocblas_gemm_batched_kernelIfLi16ELi16ELi32ELi32ELi8ELi32ELi8ELi8ELi32ELc78ELc78EKPK16rocblas_bfloat16S4_KPS1_EEvlllT_PT11_llS9_llS7_PT12_llPT13_lli
    .private_segment_fixed_size: 0
    .sgpr_count:     38
    .sgpr_spill_count: 0
    .symbol:         _ZN12_GLOBAL__N_127rocblas_gemm_batched_kernelIfLi16ELi16ELi32ELi32ELi8ELi32ELi8ELi8ELi32ELc78ELc78EKPK16rocblas_bfloat16S4_KPS1_EEvlllT_PT11_llS9_llS7_PT12_llPT13_lli.kd
    .uniform_work_group_size: 1
    .uses_dynamic_stack: false
    .vgpr_count:     46
    .vgpr_spill_count: 0
    .wavefront_size: 32
    .workgroup_processor_mode: 1
  - .args:
      - .offset:         0
        .size:           8
        .value_kind:     by_value
      - .offset:         8
        .size:           8
        .value_kind:     by_value
      - .offset:         16
        .size:           8
        .value_kind:     by_value
      - .offset:         24
        .size:           4
        .value_kind:     by_value
      - .address_space:  global
        .offset:         32
        .size:           8
        .value_kind:     global_buffer
      - .offset:         40
        .size:           8
        .value_kind:     by_value
      - .offset:         48
        .size:           8
        .value_kind:     by_value
      - .address_space:  global
        .offset:         56
        .size:           8
        .value_kind:     global_buffer
      - .offset:         64
        .size:           8
        .value_kind:     by_value
      - .offset:         72
        .size:           8
        .value_kind:     by_value
      - .offset:         80
        .size:           4
        .value_kind:     by_value
      - .address_space:  global
        .offset:         88
        .size:           8
        .value_kind:     global_buffer
      - .offset:         96
        .size:           8
        .value_kind:     by_value
      - .offset:         104
        .size:           8
        .value_kind:     by_value
      - .address_space:  global
        .offset:         112
        .size:           8
        .value_kind:     global_buffer
      - .offset:         120
        .size:           8
        .value_kind:     by_value
      - .offset:         128
        .size:           8
        .value_kind:     by_value
      - .offset:         136
        .size:           4
        .value_kind:     by_value
    .group_segment_fixed_size: 2048
    .kernarg_segment_align: 8
    .kernarg_segment_size: 140
    .language:       OpenCL C
    .language_version:
      - 2
      - 0
    .max_flat_workgroup_size: 256
    .name:           _ZN12_GLOBAL__N_127rocblas_gemm_batched_kernelIfLi16ELi16ELi32ELi32ELi8ELi32ELi8ELi8ELi32ELc84ELc78EKPK16rocblas_bfloat16S4_KPS1_EEvlllT_PT11_llS9_llS7_PT12_llPT13_lli
    .private_segment_fixed_size: 0
    .sgpr_count:     38
    .sgpr_spill_count: 0
    .symbol:         _ZN12_GLOBAL__N_127rocblas_gemm_batched_kernelIfLi16ELi16ELi32ELi32ELi8ELi32ELi8ELi8ELi32ELc84ELc78EKPK16rocblas_bfloat16S4_KPS1_EEvlllT_PT11_llS9_llS7_PT12_llPT13_lli.kd
    .uniform_work_group_size: 1
    .uses_dynamic_stack: false
    .vgpr_count:     46
    .vgpr_spill_count: 0
    .wavefront_size: 32
    .workgroup_processor_mode: 1
  - .args:
      - .offset:         0
        .size:           8
        .value_kind:     by_value
      - .offset:         8
        .size:           8
        .value_kind:     by_value
      - .offset:         16
        .size:           8
        .value_kind:     by_value
      - .offset:         24
        .size:           4
        .value_kind:     by_value
      - .address_space:  global
        .offset:         32
        .size:           8
        .value_kind:     global_buffer
      - .offset:         40
        .size:           8
        .value_kind:     by_value
      - .offset:         48
        .size:           8
        .value_kind:     by_value
      - .address_space:  global
        .offset:         56
        .size:           8
        .value_kind:     global_buffer
      - .offset:         64
        .size:           8
        .value_kind:     by_value
      - .offset:         72
        .size:           8
        .value_kind:     by_value
      - .offset:         80
        .size:           4
        .value_kind:     by_value
      - .address_space:  global
        .offset:         88
        .size:           8
        .value_kind:     global_buffer
      - .offset:         96
        .size:           8
        .value_kind:     by_value
      - .offset:         104
        .size:           8
        .value_kind:     by_value
      - .address_space:  global
        .offset:         112
        .size:           8
        .value_kind:     global_buffer
      - .offset:         120
        .size:           8
        .value_kind:     by_value
      - .offset:         128
        .size:           8
        .value_kind:     by_value
      - .offset:         136
        .size:           4
        .value_kind:     by_value
    .group_segment_fixed_size: 2048
    .kernarg_segment_align: 8
    .kernarg_segment_size: 140
    .language:       OpenCL C
    .language_version:
      - 2
      - 0
    .max_flat_workgroup_size: 256
    .name:           _ZN12_GLOBAL__N_127rocblas_gemm_batched_kernelIfLi16ELi16ELi32ELi32ELi8ELi32ELi8ELi8ELi32ELc78ELc84EKPK16rocblas_bfloat16S4_KPS1_EEvlllT_PT11_llS9_llS7_PT12_llPT13_lli
    .private_segment_fixed_size: 0
    .sgpr_count:     38
    .sgpr_spill_count: 0
    .symbol:         _ZN12_GLOBAL__N_127rocblas_gemm_batched_kernelIfLi16ELi16ELi32ELi32ELi8ELi32ELi8ELi8ELi32ELc78ELc84EKPK16rocblas_bfloat16S4_KPS1_EEvlllT_PT11_llS9_llS7_PT12_llPT13_lli.kd
    .uniform_work_group_size: 1
    .uses_dynamic_stack: false
    .vgpr_count:     46
    .vgpr_spill_count: 0
    .wavefront_size: 32
    .workgroup_processor_mode: 1
  - .args:
      - .offset:         0
        .size:           8
        .value_kind:     by_value
      - .offset:         8
        .size:           8
        .value_kind:     by_value
      - .offset:         16
        .size:           8
        .value_kind:     by_value
      - .offset:         24
        .size:           4
        .value_kind:     by_value
      - .address_space:  global
        .offset:         32
        .size:           8
        .value_kind:     global_buffer
      - .offset:         40
        .size:           8
        .value_kind:     by_value
      - .offset:         48
        .size:           8
        .value_kind:     by_value
      - .address_space:  global
        .offset:         56
        .size:           8
        .value_kind:     global_buffer
      - .offset:         64
        .size:           8
        .value_kind:     by_value
      - .offset:         72
        .size:           8
        .value_kind:     by_value
      - .offset:         80
        .size:           4
        .value_kind:     by_value
      - .address_space:  global
        .offset:         88
        .size:           8
        .value_kind:     global_buffer
      - .offset:         96
        .size:           8
        .value_kind:     by_value
      - .offset:         104
        .size:           8
        .value_kind:     by_value
      - .address_space:  global
        .offset:         112
        .size:           8
        .value_kind:     global_buffer
      - .offset:         120
        .size:           8
        .value_kind:     by_value
      - .offset:         128
        .size:           8
        .value_kind:     by_value
      - .offset:         136
        .size:           4
        .value_kind:     by_value
    .group_segment_fixed_size: 2048
    .kernarg_segment_align: 8
    .kernarg_segment_size: 140
    .language:       OpenCL C
    .language_version:
      - 2
      - 0
    .max_flat_workgroup_size: 256
    .name:           _ZN12_GLOBAL__N_127rocblas_gemm_batched_kernelIfLi16ELi16ELi32ELi32ELi8ELi32ELi8ELi8ELi32ELc84ELc84EKPK16rocblas_bfloat16S4_KPS1_EEvlllT_PT11_llS9_llS7_PT12_llPT13_lli
    .private_segment_fixed_size: 0
    .sgpr_count:     38
    .sgpr_spill_count: 0
    .symbol:         _ZN12_GLOBAL__N_127rocblas_gemm_batched_kernelIfLi16ELi16ELi32ELi32ELi8ELi32ELi8ELi8ELi32ELc84ELc84EKPK16rocblas_bfloat16S4_KPS1_EEvlllT_PT11_llS9_llS7_PT12_llPT13_lli.kd
    .uniform_work_group_size: 1
    .uses_dynamic_stack: false
    .vgpr_count:     46
    .vgpr_spill_count: 0
    .wavefront_size: 32
    .workgroup_processor_mode: 1
  - .args:
      - .offset:         0
        .size:           8
        .value_kind:     by_value
      - .offset:         8
        .size:           8
        .value_kind:     by_value
      - .offset:         16
        .size:           8
        .value_kind:     by_value
      - .offset:         24
        .size:           4
        .value_kind:     by_value
      - .address_space:  global
        .offset:         32
        .size:           8
        .value_kind:     global_buffer
      - .offset:         40
        .size:           8
        .value_kind:     by_value
      - .offset:         48
        .size:           8
        .value_kind:     by_value
      - .address_space:  global
        .offset:         56
        .size:           8
        .value_kind:     global_buffer
      - .offset:         64
        .size:           8
        .value_kind:     by_value
      - .offset:         72
        .size:           8
        .value_kind:     by_value
      - .offset:         80
        .size:           4
        .value_kind:     by_value
      - .address_space:  global
        .offset:         88
        .size:           8
        .value_kind:     global_buffer
      - .offset:         96
        .size:           8
        .value_kind:     by_value
      - .offset:         104
        .size:           8
        .value_kind:     by_value
      - .address_space:  global
        .offset:         112
        .size:           8
        .value_kind:     global_buffer
      - .offset:         120
        .size:           8
        .value_kind:     by_value
      - .offset:         128
        .size:           8
        .value_kind:     by_value
      - .offset:         136
        .size:           4
        .value_kind:     by_value
    .group_segment_fixed_size: 2048
    .kernarg_segment_align: 8
    .kernarg_segment_size: 140
    .language:       OpenCL C
    .language_version:
      - 2
      - 0
    .max_flat_workgroup_size: 256
    .name:           _ZN12_GLOBAL__N_127rocblas_gemm_batched_kernelIfLi16ELi16ELi32ELi32ELi8ELi32ELi8ELi8ELi32ELc67ELc67EKPK16rocblas_bfloat16S4_KPS1_EEvlllT_PT11_llS9_llS7_PT12_llPT13_lli
    .private_segment_fixed_size: 0
    .sgpr_count:     38
    .sgpr_spill_count: 0
    .symbol:         _ZN12_GLOBAL__N_127rocblas_gemm_batched_kernelIfLi16ELi16ELi32ELi32ELi8ELi32ELi8ELi8ELi32ELc67ELc67EKPK16rocblas_bfloat16S4_KPS1_EEvlllT_PT11_llS9_llS7_PT12_llPT13_lli.kd
    .uniform_work_group_size: 1
    .uses_dynamic_stack: false
    .vgpr_count:     46
    .vgpr_spill_count: 0
    .wavefront_size: 32
    .workgroup_processor_mode: 1
  - .args:
      - .offset:         0
        .size:           8
        .value_kind:     by_value
      - .offset:         8
        .size:           8
        .value_kind:     by_value
      - .offset:         16
        .size:           8
        .value_kind:     by_value
      - .offset:         24
        .size:           4
        .value_kind:     by_value
      - .address_space:  global
        .offset:         32
        .size:           8
        .value_kind:     global_buffer
      - .offset:         40
        .size:           8
        .value_kind:     by_value
      - .offset:         48
        .size:           8
        .value_kind:     by_value
      - .address_space:  global
        .offset:         56
        .size:           8
        .value_kind:     global_buffer
      - .offset:         64
        .size:           8
        .value_kind:     by_value
      - .offset:         72
        .size:           8
        .value_kind:     by_value
      - .offset:         80
        .size:           4
        .value_kind:     by_value
      - .address_space:  global
        .offset:         88
        .size:           8
        .value_kind:     global_buffer
      - .offset:         96
        .size:           8
        .value_kind:     by_value
      - .offset:         104
        .size:           8
        .value_kind:     by_value
      - .address_space:  global
        .offset:         112
        .size:           8
        .value_kind:     global_buffer
      - .offset:         120
        .size:           8
        .value_kind:     by_value
      - .offset:         128
        .size:           8
        .value_kind:     by_value
      - .offset:         136
        .size:           4
        .value_kind:     by_value
    .group_segment_fixed_size: 2048
    .kernarg_segment_align: 8
    .kernarg_segment_size: 140
    .language:       OpenCL C
    .language_version:
      - 2
      - 0
    .max_flat_workgroup_size: 256
    .name:           _ZN12_GLOBAL__N_127rocblas_gemm_batched_kernelIfLi16ELi16ELi32ELi32ELi8ELi32ELi8ELi8ELi32ELc67ELc78EKPK16rocblas_bfloat16S4_KPS1_EEvlllT_PT11_llS9_llS7_PT12_llPT13_lli
    .private_segment_fixed_size: 0
    .sgpr_count:     38
    .sgpr_spill_count: 0
    .symbol:         _ZN12_GLOBAL__N_127rocblas_gemm_batched_kernelIfLi16ELi16ELi32ELi32ELi8ELi32ELi8ELi8ELi32ELc67ELc78EKPK16rocblas_bfloat16S4_KPS1_EEvlllT_PT11_llS9_llS7_PT12_llPT13_lli.kd
    .uniform_work_group_size: 1
    .uses_dynamic_stack: false
    .vgpr_count:     46
    .vgpr_spill_count: 0
    .wavefront_size: 32
    .workgroup_processor_mode: 1
  - .args:
      - .offset:         0
        .size:           8
        .value_kind:     by_value
      - .offset:         8
        .size:           8
        .value_kind:     by_value
      - .offset:         16
        .size:           8
        .value_kind:     by_value
      - .offset:         24
        .size:           4
        .value_kind:     by_value
      - .address_space:  global
        .offset:         32
        .size:           8
        .value_kind:     global_buffer
      - .offset:         40
        .size:           8
        .value_kind:     by_value
      - .offset:         48
        .size:           8
        .value_kind:     by_value
      - .address_space:  global
        .offset:         56
        .size:           8
        .value_kind:     global_buffer
      - .offset:         64
        .size:           8
        .value_kind:     by_value
      - .offset:         72
        .size:           8
        .value_kind:     by_value
      - .offset:         80
        .size:           4
        .value_kind:     by_value
      - .address_space:  global
        .offset:         88
        .size:           8
        .value_kind:     global_buffer
      - .offset:         96
        .size:           8
        .value_kind:     by_value
      - .offset:         104
        .size:           8
        .value_kind:     by_value
      - .address_space:  global
        .offset:         112
        .size:           8
        .value_kind:     global_buffer
      - .offset:         120
        .size:           8
        .value_kind:     by_value
      - .offset:         128
        .size:           8
        .value_kind:     by_value
      - .offset:         136
        .size:           4
        .value_kind:     by_value
    .group_segment_fixed_size: 2048
    .kernarg_segment_align: 8
    .kernarg_segment_size: 140
    .language:       OpenCL C
    .language_version:
      - 2
      - 0
    .max_flat_workgroup_size: 256
    .name:           _ZN12_GLOBAL__N_127rocblas_gemm_batched_kernelIfLi16ELi16ELi32ELi32ELi8ELi32ELi8ELi8ELi32ELc67ELc84EKPK16rocblas_bfloat16S4_KPS1_EEvlllT_PT11_llS9_llS7_PT12_llPT13_lli
    .private_segment_fixed_size: 0
    .sgpr_count:     38
    .sgpr_spill_count: 0
    .symbol:         _ZN12_GLOBAL__N_127rocblas_gemm_batched_kernelIfLi16ELi16ELi32ELi32ELi8ELi32ELi8ELi8ELi32ELc67ELc84EKPK16rocblas_bfloat16S4_KPS1_EEvlllT_PT11_llS9_llS7_PT12_llPT13_lli.kd
    .uniform_work_group_size: 1
    .uses_dynamic_stack: false
    .vgpr_count:     46
    .vgpr_spill_count: 0
    .wavefront_size: 32
    .workgroup_processor_mode: 1
  - .args:
      - .offset:         0
        .size:           8
        .value_kind:     by_value
      - .offset:         8
        .size:           8
        .value_kind:     by_value
      - .offset:         16
        .size:           8
        .value_kind:     by_value
      - .offset:         24
        .size:           4
        .value_kind:     by_value
      - .address_space:  global
        .offset:         32
        .size:           8
        .value_kind:     global_buffer
      - .offset:         40
        .size:           8
        .value_kind:     by_value
      - .offset:         48
        .size:           8
        .value_kind:     by_value
      - .address_space:  global
        .offset:         56
        .size:           8
        .value_kind:     global_buffer
      - .offset:         64
        .size:           8
        .value_kind:     by_value
      - .offset:         72
        .size:           8
        .value_kind:     by_value
      - .offset:         80
        .size:           4
        .value_kind:     by_value
      - .address_space:  global
        .offset:         88
        .size:           8
        .value_kind:     global_buffer
      - .offset:         96
        .size:           8
        .value_kind:     by_value
      - .offset:         104
        .size:           8
        .value_kind:     by_value
      - .address_space:  global
        .offset:         112
        .size:           8
        .value_kind:     global_buffer
      - .offset:         120
        .size:           8
        .value_kind:     by_value
      - .offset:         128
        .size:           8
        .value_kind:     by_value
      - .offset:         136
        .size:           4
        .value_kind:     by_value
    .group_segment_fixed_size: 2048
    .kernarg_segment_align: 8
    .kernarg_segment_size: 140
    .language:       OpenCL C
    .language_version:
      - 2
      - 0
    .max_flat_workgroup_size: 256
    .name:           _ZN12_GLOBAL__N_127rocblas_gemm_batched_kernelIfLi16ELi16ELi32ELi32ELi8ELi32ELi8ELi8ELi32ELc78ELc67EKPK16rocblas_bfloat16S4_KPS1_EEvlllT_PT11_llS9_llS7_PT12_llPT13_lli
    .private_segment_fixed_size: 0
    .sgpr_count:     38
    .sgpr_spill_count: 0
    .symbol:         _ZN12_GLOBAL__N_127rocblas_gemm_batched_kernelIfLi16ELi16ELi32ELi32ELi8ELi32ELi8ELi8ELi32ELc78ELc67EKPK16rocblas_bfloat16S4_KPS1_EEvlllT_PT11_llS9_llS7_PT12_llPT13_lli.kd
    .uniform_work_group_size: 1
    .uses_dynamic_stack: false
    .vgpr_count:     46
    .vgpr_spill_count: 0
    .wavefront_size: 32
    .workgroup_processor_mode: 1
  - .args:
      - .offset:         0
        .size:           8
        .value_kind:     by_value
      - .offset:         8
        .size:           8
        .value_kind:     by_value
      - .offset:         16
        .size:           8
        .value_kind:     by_value
      - .offset:         24
        .size:           4
        .value_kind:     by_value
      - .address_space:  global
        .offset:         32
        .size:           8
        .value_kind:     global_buffer
      - .offset:         40
        .size:           8
        .value_kind:     by_value
      - .offset:         48
        .size:           8
        .value_kind:     by_value
      - .address_space:  global
        .offset:         56
        .size:           8
        .value_kind:     global_buffer
      - .offset:         64
        .size:           8
        .value_kind:     by_value
      - .offset:         72
        .size:           8
        .value_kind:     by_value
      - .offset:         80
        .size:           4
        .value_kind:     by_value
      - .address_space:  global
        .offset:         88
        .size:           8
        .value_kind:     global_buffer
      - .offset:         96
        .size:           8
        .value_kind:     by_value
      - .offset:         104
        .size:           8
        .value_kind:     by_value
      - .address_space:  global
        .offset:         112
        .size:           8
        .value_kind:     global_buffer
      - .offset:         120
        .size:           8
        .value_kind:     by_value
      - .offset:         128
        .size:           8
        .value_kind:     by_value
      - .offset:         136
        .size:           4
        .value_kind:     by_value
    .group_segment_fixed_size: 2048
    .kernarg_segment_align: 8
    .kernarg_segment_size: 140
    .language:       OpenCL C
    .language_version:
      - 2
      - 0
    .max_flat_workgroup_size: 256
    .name:           _ZN12_GLOBAL__N_127rocblas_gemm_batched_kernelIfLi16ELi16ELi32ELi32ELi8ELi32ELi8ELi8ELi32ELc84ELc67EKPK16rocblas_bfloat16S4_KPS1_EEvlllT_PT11_llS9_llS7_PT12_llPT13_lli
    .private_segment_fixed_size: 0
    .sgpr_count:     38
    .sgpr_spill_count: 0
    .symbol:         _ZN12_GLOBAL__N_127rocblas_gemm_batched_kernelIfLi16ELi16ELi32ELi32ELi8ELi32ELi8ELi8ELi32ELc84ELc67EKPK16rocblas_bfloat16S4_KPS1_EEvlllT_PT11_llS9_llS7_PT12_llPT13_lli.kd
    .uniform_work_group_size: 1
    .uses_dynamic_stack: false
    .vgpr_count:     46
    .vgpr_spill_count: 0
    .wavefront_size: 32
    .workgroup_processor_mode: 1
  - .args:
      - .offset:         0
        .size:           8
        .value_kind:     by_value
      - .offset:         8
        .size:           8
        .value_kind:     by_value
      - .offset:         16
        .size:           8
        .value_kind:     by_value
      - .offset:         24
        .size:           4
        .value_kind:     by_value
      - .address_space:  global
        .offset:         32
        .size:           8
        .value_kind:     global_buffer
      - .offset:         40
        .size:           8
        .value_kind:     by_value
      - .offset:         48
        .size:           8
        .value_kind:     by_value
      - .address_space:  global
        .offset:         56
        .size:           8
        .value_kind:     global_buffer
      - .offset:         64
        .size:           8
        .value_kind:     by_value
      - .offset:         72
        .size:           8
        .value_kind:     by_value
      - .offset:         80
        .size:           4
        .value_kind:     by_value
      - .address_space:  global
        .offset:         88
        .size:           8
        .value_kind:     global_buffer
      - .offset:         96
        .size:           8
        .value_kind:     by_value
      - .offset:         104
        .size:           8
        .value_kind:     by_value
      - .address_space:  global
        .offset:         112
        .size:           8
        .value_kind:     global_buffer
      - .offset:         120
        .size:           8
        .value_kind:     by_value
      - .offset:         128
        .size:           8
        .value_kind:     by_value
      - .offset:         136
        .size:           4
        .value_kind:     by_value
    .group_segment_fixed_size: 2048
    .kernarg_segment_align: 8
    .kernarg_segment_size: 140
    .language:       OpenCL C
    .language_version:
      - 2
      - 0
    .max_flat_workgroup_size: 256
    .name:           _ZN12_GLOBAL__N_135rocblas_gemm_batched_general_kernelIfLi16ELi16ELi32ELi32ELi8ELi32ELi8ELi8ELi32ELc78ELc78EKPK16rocblas_bfloat16S4_KPS1_EEvlllT_PT11_llS9_llS7_PT12_llPT13_lli
    .private_segment_fixed_size: 0
    .sgpr_count:     44
    .sgpr_spill_count: 0
    .symbol:         _ZN12_GLOBAL__N_135rocblas_gemm_batched_general_kernelIfLi16ELi16ELi32ELi32ELi8ELi32ELi8ELi8ELi32ELc78ELc78EKPK16rocblas_bfloat16S4_KPS1_EEvlllT_PT11_llS9_llS7_PT12_llPT13_lli.kd
    .uniform_work_group_size: 1
    .uses_dynamic_stack: false
    .vgpr_count:     44
    .vgpr_spill_count: 0
    .wavefront_size: 32
    .workgroup_processor_mode: 1
  - .args:
      - .offset:         0
        .size:           8
        .value_kind:     by_value
      - .offset:         8
        .size:           8
        .value_kind:     by_value
      - .offset:         16
        .size:           8
        .value_kind:     by_value
      - .offset:         24
        .size:           4
        .value_kind:     by_value
      - .address_space:  global
        .offset:         32
        .size:           8
        .value_kind:     global_buffer
      - .offset:         40
        .size:           8
        .value_kind:     by_value
      - .offset:         48
        .size:           8
        .value_kind:     by_value
      - .address_space:  global
        .offset:         56
        .size:           8
        .value_kind:     global_buffer
      - .offset:         64
        .size:           8
        .value_kind:     by_value
      - .offset:         72
        .size:           8
        .value_kind:     by_value
      - .offset:         80
        .size:           4
        .value_kind:     by_value
      - .address_space:  global
        .offset:         88
        .size:           8
        .value_kind:     global_buffer
      - .offset:         96
        .size:           8
        .value_kind:     by_value
      - .offset:         104
        .size:           8
        .value_kind:     by_value
      - .address_space:  global
        .offset:         112
        .size:           8
        .value_kind:     global_buffer
      - .offset:         120
        .size:           8
        .value_kind:     by_value
      - .offset:         128
        .size:           8
        .value_kind:     by_value
      - .offset:         136
        .size:           4
        .value_kind:     by_value
    .group_segment_fixed_size: 2048
    .kernarg_segment_align: 8
    .kernarg_segment_size: 140
    .language:       OpenCL C
    .language_version:
      - 2
      - 0
    .max_flat_workgroup_size: 256
    .name:           _ZN12_GLOBAL__N_135rocblas_gemm_batched_general_kernelIfLi16ELi16ELi32ELi32ELi8ELi32ELi8ELi8ELi32ELc84ELc78EKPK16rocblas_bfloat16S4_KPS1_EEvlllT_PT11_llS9_llS7_PT12_llPT13_lli
    .private_segment_fixed_size: 0
    .sgpr_count:     42
    .sgpr_spill_count: 0
    .symbol:         _ZN12_GLOBAL__N_135rocblas_gemm_batched_general_kernelIfLi16ELi16ELi32ELi32ELi8ELi32ELi8ELi8ELi32ELc84ELc78EKPK16rocblas_bfloat16S4_KPS1_EEvlllT_PT11_llS9_llS7_PT12_llPT13_lli.kd
    .uniform_work_group_size: 1
    .uses_dynamic_stack: false
    .vgpr_count:     44
    .vgpr_spill_count: 0
    .wavefront_size: 32
    .workgroup_processor_mode: 1
  - .args:
      - .offset:         0
        .size:           8
        .value_kind:     by_value
      - .offset:         8
        .size:           8
        .value_kind:     by_value
      - .offset:         16
        .size:           8
        .value_kind:     by_value
      - .offset:         24
        .size:           4
        .value_kind:     by_value
      - .address_space:  global
        .offset:         32
        .size:           8
        .value_kind:     global_buffer
      - .offset:         40
        .size:           8
        .value_kind:     by_value
      - .offset:         48
        .size:           8
        .value_kind:     by_value
      - .address_space:  global
        .offset:         56
        .size:           8
        .value_kind:     global_buffer
      - .offset:         64
        .size:           8
        .value_kind:     by_value
      - .offset:         72
        .size:           8
        .value_kind:     by_value
      - .offset:         80
        .size:           4
        .value_kind:     by_value
      - .address_space:  global
        .offset:         88
        .size:           8
        .value_kind:     global_buffer
      - .offset:         96
        .size:           8
        .value_kind:     by_value
      - .offset:         104
        .size:           8
        .value_kind:     by_value
      - .address_space:  global
        .offset:         112
        .size:           8
        .value_kind:     global_buffer
      - .offset:         120
        .size:           8
        .value_kind:     by_value
      - .offset:         128
        .size:           8
        .value_kind:     by_value
      - .offset:         136
        .size:           4
        .value_kind:     by_value
    .group_segment_fixed_size: 2048
    .kernarg_segment_align: 8
    .kernarg_segment_size: 140
    .language:       OpenCL C
    .language_version:
      - 2
      - 0
    .max_flat_workgroup_size: 256
    .name:           _ZN12_GLOBAL__N_135rocblas_gemm_batched_general_kernelIfLi16ELi16ELi32ELi32ELi8ELi32ELi8ELi8ELi32ELc78ELc84EKPK16rocblas_bfloat16S4_KPS1_EEvlllT_PT11_llS9_llS7_PT12_llPT13_lli
    .private_segment_fixed_size: 0
    .sgpr_count:     48
    .sgpr_spill_count: 0
    .symbol:         _ZN12_GLOBAL__N_135rocblas_gemm_batched_general_kernelIfLi16ELi16ELi32ELi32ELi8ELi32ELi8ELi8ELi32ELc78ELc84EKPK16rocblas_bfloat16S4_KPS1_EEvlllT_PT11_llS9_llS7_PT12_llPT13_lli.kd
    .uniform_work_group_size: 1
    .uses_dynamic_stack: false
    .vgpr_count:     44
    .vgpr_spill_count: 0
    .wavefront_size: 32
    .workgroup_processor_mode: 1
  - .args:
      - .offset:         0
        .size:           8
        .value_kind:     by_value
      - .offset:         8
        .size:           8
        .value_kind:     by_value
      - .offset:         16
        .size:           8
        .value_kind:     by_value
      - .offset:         24
        .size:           4
        .value_kind:     by_value
      - .address_space:  global
        .offset:         32
        .size:           8
        .value_kind:     global_buffer
      - .offset:         40
        .size:           8
        .value_kind:     by_value
      - .offset:         48
        .size:           8
        .value_kind:     by_value
      - .address_space:  global
        .offset:         56
        .size:           8
        .value_kind:     global_buffer
      - .offset:         64
        .size:           8
        .value_kind:     by_value
      - .offset:         72
        .size:           8
        .value_kind:     by_value
      - .offset:         80
        .size:           4
        .value_kind:     by_value
      - .address_space:  global
        .offset:         88
        .size:           8
        .value_kind:     global_buffer
      - .offset:         96
        .size:           8
        .value_kind:     by_value
      - .offset:         104
        .size:           8
        .value_kind:     by_value
      - .address_space:  global
        .offset:         112
        .size:           8
        .value_kind:     global_buffer
      - .offset:         120
        .size:           8
        .value_kind:     by_value
      - .offset:         128
        .size:           8
        .value_kind:     by_value
      - .offset:         136
        .size:           4
        .value_kind:     by_value
    .group_segment_fixed_size: 2048
    .kernarg_segment_align: 8
    .kernarg_segment_size: 140
    .language:       OpenCL C
    .language_version:
      - 2
      - 0
    .max_flat_workgroup_size: 256
    .name:           _ZN12_GLOBAL__N_135rocblas_gemm_batched_general_kernelIfLi16ELi16ELi32ELi32ELi8ELi32ELi8ELi8ELi32ELc84ELc84EKPK16rocblas_bfloat16S4_KPS1_EEvlllT_PT11_llS9_llS7_PT12_llPT13_lli
    .private_segment_fixed_size: 0
    .sgpr_count:     46
    .sgpr_spill_count: 0
    .symbol:         _ZN12_GLOBAL__N_135rocblas_gemm_batched_general_kernelIfLi16ELi16ELi32ELi32ELi8ELi32ELi8ELi8ELi32ELc84ELc84EKPK16rocblas_bfloat16S4_KPS1_EEvlllT_PT11_llS9_llS7_PT12_llPT13_lli.kd
    .uniform_work_group_size: 1
    .uses_dynamic_stack: false
    .vgpr_count:     44
    .vgpr_spill_count: 0
    .wavefront_size: 32
    .workgroup_processor_mode: 1
  - .args:
      - .offset:         0
        .size:           8
        .value_kind:     by_value
      - .offset:         8
        .size:           8
        .value_kind:     by_value
      - .offset:         16
        .size:           8
        .value_kind:     by_value
      - .offset:         24
        .size:           4
        .value_kind:     by_value
      - .address_space:  global
        .offset:         32
        .size:           8
        .value_kind:     global_buffer
      - .offset:         40
        .size:           8
        .value_kind:     by_value
      - .offset:         48
        .size:           8
        .value_kind:     by_value
      - .address_space:  global
        .offset:         56
        .size:           8
        .value_kind:     global_buffer
      - .offset:         64
        .size:           8
        .value_kind:     by_value
      - .offset:         72
        .size:           8
        .value_kind:     by_value
      - .offset:         80
        .size:           4
        .value_kind:     by_value
      - .address_space:  global
        .offset:         88
        .size:           8
        .value_kind:     global_buffer
      - .offset:         96
        .size:           8
        .value_kind:     by_value
      - .offset:         104
        .size:           8
        .value_kind:     by_value
      - .address_space:  global
        .offset:         112
        .size:           8
        .value_kind:     global_buffer
      - .offset:         120
        .size:           8
        .value_kind:     by_value
      - .offset:         128
        .size:           8
        .value_kind:     by_value
      - .offset:         136
        .size:           4
        .value_kind:     by_value
    .group_segment_fixed_size: 2048
    .kernarg_segment_align: 8
    .kernarg_segment_size: 140
    .language:       OpenCL C
    .language_version:
      - 2
      - 0
    .max_flat_workgroup_size: 256
    .name:           _ZN12_GLOBAL__N_135rocblas_gemm_batched_general_kernelIfLi16ELi16ELi32ELi32ELi8ELi32ELi8ELi8ELi32ELc67ELc67EKPK16rocblas_bfloat16S4_KPS1_EEvlllT_PT11_llS9_llS7_PT12_llPT13_lli
    .private_segment_fixed_size: 0
    .sgpr_count:     46
    .sgpr_spill_count: 0
    .symbol:         _ZN12_GLOBAL__N_135rocblas_gemm_batched_general_kernelIfLi16ELi16ELi32ELi32ELi8ELi32ELi8ELi8ELi32ELc67ELc67EKPK16rocblas_bfloat16S4_KPS1_EEvlllT_PT11_llS9_llS7_PT12_llPT13_lli.kd
    .uniform_work_group_size: 1
    .uses_dynamic_stack: false
    .vgpr_count:     44
    .vgpr_spill_count: 0
    .wavefront_size: 32
    .workgroup_processor_mode: 1
  - .args:
      - .offset:         0
        .size:           8
        .value_kind:     by_value
      - .offset:         8
        .size:           8
        .value_kind:     by_value
      - .offset:         16
        .size:           8
        .value_kind:     by_value
      - .offset:         24
        .size:           4
        .value_kind:     by_value
      - .address_space:  global
        .offset:         32
        .size:           8
        .value_kind:     global_buffer
      - .offset:         40
        .size:           8
        .value_kind:     by_value
      - .offset:         48
        .size:           8
        .value_kind:     by_value
      - .address_space:  global
        .offset:         56
        .size:           8
        .value_kind:     global_buffer
      - .offset:         64
        .size:           8
        .value_kind:     by_value
      - .offset:         72
        .size:           8
        .value_kind:     by_value
      - .offset:         80
        .size:           4
        .value_kind:     by_value
      - .address_space:  global
        .offset:         88
        .size:           8
        .value_kind:     global_buffer
      - .offset:         96
        .size:           8
        .value_kind:     by_value
      - .offset:         104
        .size:           8
        .value_kind:     by_value
      - .address_space:  global
        .offset:         112
        .size:           8
        .value_kind:     global_buffer
      - .offset:         120
        .size:           8
        .value_kind:     by_value
      - .offset:         128
        .size:           8
        .value_kind:     by_value
      - .offset:         136
        .size:           4
        .value_kind:     by_value
    .group_segment_fixed_size: 2048
    .kernarg_segment_align: 8
    .kernarg_segment_size: 140
    .language:       OpenCL C
    .language_version:
      - 2
      - 0
    .max_flat_workgroup_size: 256
    .name:           _ZN12_GLOBAL__N_135rocblas_gemm_batched_general_kernelIfLi16ELi16ELi32ELi32ELi8ELi32ELi8ELi8ELi32ELc67ELc78EKPK16rocblas_bfloat16S4_KPS1_EEvlllT_PT11_llS9_llS7_PT12_llPT13_lli
    .private_segment_fixed_size: 0
    .sgpr_count:     42
    .sgpr_spill_count: 0
    .symbol:         _ZN12_GLOBAL__N_135rocblas_gemm_batched_general_kernelIfLi16ELi16ELi32ELi32ELi8ELi32ELi8ELi8ELi32ELc67ELc78EKPK16rocblas_bfloat16S4_KPS1_EEvlllT_PT11_llS9_llS7_PT12_llPT13_lli.kd
    .uniform_work_group_size: 1
    .uses_dynamic_stack: false
    .vgpr_count:     44
    .vgpr_spill_count: 0
    .wavefront_size: 32
    .workgroup_processor_mode: 1
  - .args:
      - .offset:         0
        .size:           8
        .value_kind:     by_value
      - .offset:         8
        .size:           8
        .value_kind:     by_value
      - .offset:         16
        .size:           8
        .value_kind:     by_value
      - .offset:         24
        .size:           4
        .value_kind:     by_value
      - .address_space:  global
        .offset:         32
        .size:           8
        .value_kind:     global_buffer
      - .offset:         40
        .size:           8
        .value_kind:     by_value
      - .offset:         48
        .size:           8
        .value_kind:     by_value
      - .address_space:  global
        .offset:         56
        .size:           8
        .value_kind:     global_buffer
      - .offset:         64
        .size:           8
        .value_kind:     by_value
      - .offset:         72
        .size:           8
        .value_kind:     by_value
      - .offset:         80
        .size:           4
        .value_kind:     by_value
      - .address_space:  global
        .offset:         88
        .size:           8
        .value_kind:     global_buffer
      - .offset:         96
        .size:           8
        .value_kind:     by_value
      - .offset:         104
        .size:           8
        .value_kind:     by_value
      - .address_space:  global
        .offset:         112
        .size:           8
        .value_kind:     global_buffer
      - .offset:         120
        .size:           8
        .value_kind:     by_value
      - .offset:         128
        .size:           8
        .value_kind:     by_value
      - .offset:         136
        .size:           4
        .value_kind:     by_value
    .group_segment_fixed_size: 2048
    .kernarg_segment_align: 8
    .kernarg_segment_size: 140
    .language:       OpenCL C
    .language_version:
      - 2
      - 0
    .max_flat_workgroup_size: 256
    .name:           _ZN12_GLOBAL__N_135rocblas_gemm_batched_general_kernelIfLi16ELi16ELi32ELi32ELi8ELi32ELi8ELi8ELi32ELc67ELc84EKPK16rocblas_bfloat16S4_KPS1_EEvlllT_PT11_llS9_llS7_PT12_llPT13_lli
    .private_segment_fixed_size: 0
    .sgpr_count:     46
    .sgpr_spill_count: 0
    .symbol:         _ZN12_GLOBAL__N_135rocblas_gemm_batched_general_kernelIfLi16ELi16ELi32ELi32ELi8ELi32ELi8ELi8ELi32ELc67ELc84EKPK16rocblas_bfloat16S4_KPS1_EEvlllT_PT11_llS9_llS7_PT12_llPT13_lli.kd
    .uniform_work_group_size: 1
    .uses_dynamic_stack: false
    .vgpr_count:     44
    .vgpr_spill_count: 0
    .wavefront_size: 32
    .workgroup_processor_mode: 1
  - .args:
      - .offset:         0
        .size:           8
        .value_kind:     by_value
      - .offset:         8
        .size:           8
        .value_kind:     by_value
      - .offset:         16
        .size:           8
        .value_kind:     by_value
      - .offset:         24
        .size:           4
        .value_kind:     by_value
      - .address_space:  global
        .offset:         32
        .size:           8
        .value_kind:     global_buffer
      - .offset:         40
        .size:           8
        .value_kind:     by_value
      - .offset:         48
        .size:           8
        .value_kind:     by_value
      - .address_space:  global
        .offset:         56
        .size:           8
        .value_kind:     global_buffer
      - .offset:         64
        .size:           8
        .value_kind:     by_value
      - .offset:         72
        .size:           8
        .value_kind:     by_value
      - .offset:         80
        .size:           4
        .value_kind:     by_value
      - .address_space:  global
        .offset:         88
        .size:           8
        .value_kind:     global_buffer
      - .offset:         96
        .size:           8
        .value_kind:     by_value
      - .offset:         104
        .size:           8
        .value_kind:     by_value
      - .address_space:  global
        .offset:         112
        .size:           8
        .value_kind:     global_buffer
      - .offset:         120
        .size:           8
        .value_kind:     by_value
      - .offset:         128
        .size:           8
        .value_kind:     by_value
      - .offset:         136
        .size:           4
        .value_kind:     by_value
    .group_segment_fixed_size: 2048
    .kernarg_segment_align: 8
    .kernarg_segment_size: 140
    .language:       OpenCL C
    .language_version:
      - 2
      - 0
    .max_flat_workgroup_size: 256
    .name:           _ZN12_GLOBAL__N_135rocblas_gemm_batched_general_kernelIfLi16ELi16ELi32ELi32ELi8ELi32ELi8ELi8ELi32ELc78ELc67EKPK16rocblas_bfloat16S4_KPS1_EEvlllT_PT11_llS9_llS7_PT12_llPT13_lli
    .private_segment_fixed_size: 0
    .sgpr_count:     48
    .sgpr_spill_count: 0
    .symbol:         _ZN12_GLOBAL__N_135rocblas_gemm_batched_general_kernelIfLi16ELi16ELi32ELi32ELi8ELi32ELi8ELi8ELi32ELc78ELc67EKPK16rocblas_bfloat16S4_KPS1_EEvlllT_PT11_llS9_llS7_PT12_llPT13_lli.kd
    .uniform_work_group_size: 1
    .uses_dynamic_stack: false
    .vgpr_count:     44
    .vgpr_spill_count: 0
    .wavefront_size: 32
    .workgroup_processor_mode: 1
  - .args:
      - .offset:         0
        .size:           8
        .value_kind:     by_value
      - .offset:         8
        .size:           8
        .value_kind:     by_value
      - .offset:         16
        .size:           8
        .value_kind:     by_value
      - .offset:         24
        .size:           4
        .value_kind:     by_value
      - .address_space:  global
        .offset:         32
        .size:           8
        .value_kind:     global_buffer
      - .offset:         40
        .size:           8
        .value_kind:     by_value
      - .offset:         48
        .size:           8
        .value_kind:     by_value
      - .address_space:  global
        .offset:         56
        .size:           8
        .value_kind:     global_buffer
      - .offset:         64
        .size:           8
        .value_kind:     by_value
      - .offset:         72
        .size:           8
        .value_kind:     by_value
      - .offset:         80
        .size:           4
        .value_kind:     by_value
      - .address_space:  global
        .offset:         88
        .size:           8
        .value_kind:     global_buffer
      - .offset:         96
        .size:           8
        .value_kind:     by_value
      - .offset:         104
        .size:           8
        .value_kind:     by_value
      - .address_space:  global
        .offset:         112
        .size:           8
        .value_kind:     global_buffer
      - .offset:         120
        .size:           8
        .value_kind:     by_value
      - .offset:         128
        .size:           8
        .value_kind:     by_value
      - .offset:         136
        .size:           4
        .value_kind:     by_value
    .group_segment_fixed_size: 2048
    .kernarg_segment_align: 8
    .kernarg_segment_size: 140
    .language:       OpenCL C
    .language_version:
      - 2
      - 0
    .max_flat_workgroup_size: 256
    .name:           _ZN12_GLOBAL__N_135rocblas_gemm_batched_general_kernelIfLi16ELi16ELi32ELi32ELi8ELi32ELi8ELi8ELi32ELc84ELc67EKPK16rocblas_bfloat16S4_KPS1_EEvlllT_PT11_llS9_llS7_PT12_llPT13_lli
    .private_segment_fixed_size: 0
    .sgpr_count:     46
    .sgpr_spill_count: 0
    .symbol:         _ZN12_GLOBAL__N_135rocblas_gemm_batched_general_kernelIfLi16ELi16ELi32ELi32ELi8ELi32ELi8ELi8ELi32ELc84ELc67EKPK16rocblas_bfloat16S4_KPS1_EEvlllT_PT11_llS9_llS7_PT12_llPT13_lli.kd
    .uniform_work_group_size: 1
    .uses_dynamic_stack: false
    .vgpr_count:     44
    .vgpr_spill_count: 0
    .wavefront_size: 32
    .workgroup_processor_mode: 1
  - .args:
      - .offset:         0
        .size:           8
        .value_kind:     by_value
      - .offset:         8
        .size:           8
        .value_kind:     by_value
      - .offset:         16
        .size:           8
        .value_kind:     by_value
      - .offset:         24
        .size:           4
        .value_kind:     by_value
      - .address_space:  global
        .offset:         32
        .size:           8
        .value_kind:     global_buffer
      - .offset:         40
        .size:           8
        .value_kind:     by_value
      - .offset:         48
        .size:           8
        .value_kind:     by_value
      - .address_space:  global
        .offset:         56
        .size:           8
        .value_kind:     global_buffer
      - .offset:         64
        .size:           8
        .value_kind:     by_value
      - .offset:         72
        .size:           8
        .value_kind:     by_value
      - .offset:         80
        .size:           4
        .value_kind:     by_value
      - .address_space:  global
        .offset:         88
        .size:           8
        .value_kind:     global_buffer
      - .offset:         96
        .size:           8
        .value_kind:     by_value
      - .offset:         104
        .size:           8
        .value_kind:     by_value
      - .address_space:  global
        .offset:         112
        .size:           8
        .value_kind:     global_buffer
      - .offset:         120
        .size:           8
        .value_kind:     by_value
      - .offset:         128
        .size:           8
        .value_kind:     by_value
      - .offset:         136
        .size:           4
        .value_kind:     by_value
    .group_segment_fixed_size: 2048
    .kernarg_segment_align: 8
    .kernarg_segment_size: 140
    .language:       OpenCL C
    .language_version:
      - 2
      - 0
    .max_flat_workgroup_size: 256
    .name:           _ZN12_GLOBAL__N_127rocblas_gemm_batched_kernelIfLi16ELi16ELi64ELi64ELi4ELi64ELi4ELi4ELi64ELc78ELc78EKPK16rocblas_bfloat16KPKfKPfEEvlllT_PT11_llSC_llSA_PT12_llPT13_lli
    .private_segment_fixed_size: 0
    .sgpr_count:     38
    .sgpr_spill_count: 0
    .symbol:         _ZN12_GLOBAL__N_127rocblas_gemm_batched_kernelIfLi16ELi16ELi64ELi64ELi4ELi64ELi4ELi4ELi64ELc78ELc78EKPK16rocblas_bfloat16KPKfKPfEEvlllT_PT11_llSC_llSA_PT12_llPT13_lli.kd
    .uniform_work_group_size: 1
    .uses_dynamic_stack: false
    .vgpr_count:     58
    .vgpr_spill_count: 0
    .wavefront_size: 32
    .workgroup_processor_mode: 1
  - .args:
      - .offset:         0
        .size:           8
        .value_kind:     by_value
      - .offset:         8
        .size:           8
        .value_kind:     by_value
      - .offset:         16
        .size:           8
        .value_kind:     by_value
      - .offset:         24
        .size:           4
        .value_kind:     by_value
      - .address_space:  global
        .offset:         32
        .size:           8
        .value_kind:     global_buffer
      - .offset:         40
        .size:           8
        .value_kind:     by_value
      - .offset:         48
        .size:           8
        .value_kind:     by_value
      - .address_space:  global
        .offset:         56
        .size:           8
        .value_kind:     global_buffer
      - .offset:         64
        .size:           8
        .value_kind:     by_value
      - .offset:         72
        .size:           8
        .value_kind:     by_value
      - .offset:         80
        .size:           4
        .value_kind:     by_value
      - .address_space:  global
        .offset:         88
        .size:           8
        .value_kind:     global_buffer
      - .offset:         96
        .size:           8
        .value_kind:     by_value
      - .offset:         104
        .size:           8
        .value_kind:     by_value
      - .address_space:  global
        .offset:         112
        .size:           8
        .value_kind:     global_buffer
      - .offset:         120
        .size:           8
        .value_kind:     by_value
      - .offset:         128
        .size:           8
        .value_kind:     by_value
      - .offset:         136
        .size:           4
        .value_kind:     by_value
    .group_segment_fixed_size: 2048
    .kernarg_segment_align: 8
    .kernarg_segment_size: 140
    .language:       OpenCL C
    .language_version:
      - 2
      - 0
    .max_flat_workgroup_size: 256
    .name:           _ZN12_GLOBAL__N_127rocblas_gemm_batched_kernelIfLi16ELi16ELi64ELi64ELi4ELi64ELi4ELi4ELi64ELc84ELc78EKPK16rocblas_bfloat16KPKfKPfEEvlllT_PT11_llSC_llSA_PT12_llPT13_lli
    .private_segment_fixed_size: 0
    .sgpr_count:     38
    .sgpr_spill_count: 0
    .symbol:         _ZN12_GLOBAL__N_127rocblas_gemm_batched_kernelIfLi16ELi16ELi64ELi64ELi4ELi64ELi4ELi4ELi64ELc84ELc78EKPK16rocblas_bfloat16KPKfKPfEEvlllT_PT11_llSC_llSA_PT12_llPT13_lli.kd
    .uniform_work_group_size: 1
    .uses_dynamic_stack: false
    .vgpr_count:     58
    .vgpr_spill_count: 0
    .wavefront_size: 32
    .workgroup_processor_mode: 1
  - .args:
      - .offset:         0
        .size:           8
        .value_kind:     by_value
      - .offset:         8
        .size:           8
        .value_kind:     by_value
      - .offset:         16
        .size:           8
        .value_kind:     by_value
      - .offset:         24
        .size:           4
        .value_kind:     by_value
      - .address_space:  global
        .offset:         32
        .size:           8
        .value_kind:     global_buffer
      - .offset:         40
        .size:           8
        .value_kind:     by_value
      - .offset:         48
        .size:           8
        .value_kind:     by_value
      - .address_space:  global
        .offset:         56
        .size:           8
        .value_kind:     global_buffer
      - .offset:         64
        .size:           8
        .value_kind:     by_value
      - .offset:         72
        .size:           8
        .value_kind:     by_value
      - .offset:         80
        .size:           4
        .value_kind:     by_value
      - .address_space:  global
        .offset:         88
        .size:           8
        .value_kind:     global_buffer
      - .offset:         96
        .size:           8
        .value_kind:     by_value
      - .offset:         104
        .size:           8
        .value_kind:     by_value
      - .address_space:  global
        .offset:         112
        .size:           8
        .value_kind:     global_buffer
      - .offset:         120
        .size:           8
        .value_kind:     by_value
      - .offset:         128
        .size:           8
        .value_kind:     by_value
      - .offset:         136
        .size:           4
        .value_kind:     by_value
    .group_segment_fixed_size: 2048
    .kernarg_segment_align: 8
    .kernarg_segment_size: 140
    .language:       OpenCL C
    .language_version:
      - 2
      - 0
    .max_flat_workgroup_size: 256
    .name:           _ZN12_GLOBAL__N_127rocblas_gemm_batched_kernelIfLi16ELi16ELi64ELi64ELi4ELi64ELi4ELi4ELi64ELc78ELc84EKPK16rocblas_bfloat16KPKfKPfEEvlllT_PT11_llSC_llSA_PT12_llPT13_lli
    .private_segment_fixed_size: 0
    .sgpr_count:     38
    .sgpr_spill_count: 0
    .symbol:         _ZN12_GLOBAL__N_127rocblas_gemm_batched_kernelIfLi16ELi16ELi64ELi64ELi4ELi64ELi4ELi4ELi64ELc78ELc84EKPK16rocblas_bfloat16KPKfKPfEEvlllT_PT11_llSC_llSA_PT12_llPT13_lli.kd
    .uniform_work_group_size: 1
    .uses_dynamic_stack: false
    .vgpr_count:     58
    .vgpr_spill_count: 0
    .wavefront_size: 32
    .workgroup_processor_mode: 1
  - .args:
      - .offset:         0
        .size:           8
        .value_kind:     by_value
      - .offset:         8
        .size:           8
        .value_kind:     by_value
      - .offset:         16
        .size:           8
        .value_kind:     by_value
      - .offset:         24
        .size:           4
        .value_kind:     by_value
      - .address_space:  global
        .offset:         32
        .size:           8
        .value_kind:     global_buffer
      - .offset:         40
        .size:           8
        .value_kind:     by_value
      - .offset:         48
        .size:           8
        .value_kind:     by_value
      - .address_space:  global
        .offset:         56
        .size:           8
        .value_kind:     global_buffer
      - .offset:         64
        .size:           8
        .value_kind:     by_value
      - .offset:         72
        .size:           8
        .value_kind:     by_value
      - .offset:         80
        .size:           4
        .value_kind:     by_value
      - .address_space:  global
        .offset:         88
        .size:           8
        .value_kind:     global_buffer
      - .offset:         96
        .size:           8
        .value_kind:     by_value
      - .offset:         104
        .size:           8
        .value_kind:     by_value
      - .address_space:  global
        .offset:         112
        .size:           8
        .value_kind:     global_buffer
      - .offset:         120
        .size:           8
        .value_kind:     by_value
      - .offset:         128
        .size:           8
        .value_kind:     by_value
      - .offset:         136
        .size:           4
        .value_kind:     by_value
    .group_segment_fixed_size: 2048
    .kernarg_segment_align: 8
    .kernarg_segment_size: 140
    .language:       OpenCL C
    .language_version:
      - 2
      - 0
    .max_flat_workgroup_size: 256
    .name:           _ZN12_GLOBAL__N_127rocblas_gemm_batched_kernelIfLi16ELi16ELi64ELi64ELi4ELi64ELi4ELi4ELi64ELc84ELc84EKPK16rocblas_bfloat16KPKfKPfEEvlllT_PT11_llSC_llSA_PT12_llPT13_lli
    .private_segment_fixed_size: 0
    .sgpr_count:     38
    .sgpr_spill_count: 0
    .symbol:         _ZN12_GLOBAL__N_127rocblas_gemm_batched_kernelIfLi16ELi16ELi64ELi64ELi4ELi64ELi4ELi4ELi64ELc84ELc84EKPK16rocblas_bfloat16KPKfKPfEEvlllT_PT11_llSC_llSA_PT12_llPT13_lli.kd
    .uniform_work_group_size: 1
    .uses_dynamic_stack: false
    .vgpr_count:     58
    .vgpr_spill_count: 0
    .wavefront_size: 32
    .workgroup_processor_mode: 1
  - .args:
      - .offset:         0
        .size:           8
        .value_kind:     by_value
      - .offset:         8
        .size:           8
        .value_kind:     by_value
      - .offset:         16
        .size:           8
        .value_kind:     by_value
      - .offset:         24
        .size:           4
        .value_kind:     by_value
      - .address_space:  global
        .offset:         32
        .size:           8
        .value_kind:     global_buffer
      - .offset:         40
        .size:           8
        .value_kind:     by_value
      - .offset:         48
        .size:           8
        .value_kind:     by_value
      - .address_space:  global
        .offset:         56
        .size:           8
        .value_kind:     global_buffer
      - .offset:         64
        .size:           8
        .value_kind:     by_value
      - .offset:         72
        .size:           8
        .value_kind:     by_value
      - .offset:         80
        .size:           4
        .value_kind:     by_value
      - .address_space:  global
        .offset:         88
        .size:           8
        .value_kind:     global_buffer
      - .offset:         96
        .size:           8
        .value_kind:     by_value
      - .offset:         104
        .size:           8
        .value_kind:     by_value
      - .address_space:  global
        .offset:         112
        .size:           8
        .value_kind:     global_buffer
      - .offset:         120
        .size:           8
        .value_kind:     by_value
      - .offset:         128
        .size:           8
        .value_kind:     by_value
      - .offset:         136
        .size:           4
        .value_kind:     by_value
    .group_segment_fixed_size: 2048
    .kernarg_segment_align: 8
    .kernarg_segment_size: 140
    .language:       OpenCL C
    .language_version:
      - 2
      - 0
    .max_flat_workgroup_size: 256
    .name:           _ZN12_GLOBAL__N_127rocblas_gemm_batched_kernelIfLi16ELi16ELi64ELi64ELi4ELi64ELi4ELi4ELi64ELc67ELc67EKPK16rocblas_bfloat16KPKfKPfEEvlllT_PT11_llSC_llSA_PT12_llPT13_lli
    .private_segment_fixed_size: 0
    .sgpr_count:     38
    .sgpr_spill_count: 0
    .symbol:         _ZN12_GLOBAL__N_127rocblas_gemm_batched_kernelIfLi16ELi16ELi64ELi64ELi4ELi64ELi4ELi4ELi64ELc67ELc67EKPK16rocblas_bfloat16KPKfKPfEEvlllT_PT11_llSC_llSA_PT12_llPT13_lli.kd
    .uniform_work_group_size: 1
    .uses_dynamic_stack: false
    .vgpr_count:     58
    .vgpr_spill_count: 0
    .wavefront_size: 32
    .workgroup_processor_mode: 1
  - .args:
      - .offset:         0
        .size:           8
        .value_kind:     by_value
      - .offset:         8
        .size:           8
        .value_kind:     by_value
      - .offset:         16
        .size:           8
        .value_kind:     by_value
      - .offset:         24
        .size:           4
        .value_kind:     by_value
      - .address_space:  global
        .offset:         32
        .size:           8
        .value_kind:     global_buffer
      - .offset:         40
        .size:           8
        .value_kind:     by_value
      - .offset:         48
        .size:           8
        .value_kind:     by_value
      - .address_space:  global
        .offset:         56
        .size:           8
        .value_kind:     global_buffer
      - .offset:         64
        .size:           8
        .value_kind:     by_value
      - .offset:         72
        .size:           8
        .value_kind:     by_value
      - .offset:         80
        .size:           4
        .value_kind:     by_value
      - .address_space:  global
        .offset:         88
        .size:           8
        .value_kind:     global_buffer
      - .offset:         96
        .size:           8
        .value_kind:     by_value
      - .offset:         104
        .size:           8
        .value_kind:     by_value
      - .address_space:  global
        .offset:         112
        .size:           8
        .value_kind:     global_buffer
      - .offset:         120
        .size:           8
        .value_kind:     by_value
      - .offset:         128
        .size:           8
        .value_kind:     by_value
      - .offset:         136
        .size:           4
        .value_kind:     by_value
    .group_segment_fixed_size: 2048
    .kernarg_segment_align: 8
    .kernarg_segment_size: 140
    .language:       OpenCL C
    .language_version:
      - 2
      - 0
    .max_flat_workgroup_size: 256
    .name:           _ZN12_GLOBAL__N_127rocblas_gemm_batched_kernelIfLi16ELi16ELi64ELi64ELi4ELi64ELi4ELi4ELi64ELc67ELc78EKPK16rocblas_bfloat16KPKfKPfEEvlllT_PT11_llSC_llSA_PT12_llPT13_lli
    .private_segment_fixed_size: 0
    .sgpr_count:     38
    .sgpr_spill_count: 0
    .symbol:         _ZN12_GLOBAL__N_127rocblas_gemm_batched_kernelIfLi16ELi16ELi64ELi64ELi4ELi64ELi4ELi4ELi64ELc67ELc78EKPK16rocblas_bfloat16KPKfKPfEEvlllT_PT11_llSC_llSA_PT12_llPT13_lli.kd
    .uniform_work_group_size: 1
    .uses_dynamic_stack: false
    .vgpr_count:     58
    .vgpr_spill_count: 0
    .wavefront_size: 32
    .workgroup_processor_mode: 1
  - .args:
      - .offset:         0
        .size:           8
        .value_kind:     by_value
      - .offset:         8
        .size:           8
        .value_kind:     by_value
      - .offset:         16
        .size:           8
        .value_kind:     by_value
      - .offset:         24
        .size:           4
        .value_kind:     by_value
      - .address_space:  global
        .offset:         32
        .size:           8
        .value_kind:     global_buffer
      - .offset:         40
        .size:           8
        .value_kind:     by_value
      - .offset:         48
        .size:           8
        .value_kind:     by_value
      - .address_space:  global
        .offset:         56
        .size:           8
        .value_kind:     global_buffer
      - .offset:         64
        .size:           8
        .value_kind:     by_value
      - .offset:         72
        .size:           8
        .value_kind:     by_value
      - .offset:         80
        .size:           4
        .value_kind:     by_value
      - .address_space:  global
        .offset:         88
        .size:           8
        .value_kind:     global_buffer
      - .offset:         96
        .size:           8
        .value_kind:     by_value
      - .offset:         104
        .size:           8
        .value_kind:     by_value
      - .address_space:  global
        .offset:         112
        .size:           8
        .value_kind:     global_buffer
      - .offset:         120
        .size:           8
        .value_kind:     by_value
      - .offset:         128
        .size:           8
        .value_kind:     by_value
      - .offset:         136
        .size:           4
        .value_kind:     by_value
    .group_segment_fixed_size: 2048
    .kernarg_segment_align: 8
    .kernarg_segment_size: 140
    .language:       OpenCL C
    .language_version:
      - 2
      - 0
    .max_flat_workgroup_size: 256
    .name:           _ZN12_GLOBAL__N_127rocblas_gemm_batched_kernelIfLi16ELi16ELi64ELi64ELi4ELi64ELi4ELi4ELi64ELc67ELc84EKPK16rocblas_bfloat16KPKfKPfEEvlllT_PT11_llSC_llSA_PT12_llPT13_lli
    .private_segment_fixed_size: 0
    .sgpr_count:     38
    .sgpr_spill_count: 0
    .symbol:         _ZN12_GLOBAL__N_127rocblas_gemm_batched_kernelIfLi16ELi16ELi64ELi64ELi4ELi64ELi4ELi4ELi64ELc67ELc84EKPK16rocblas_bfloat16KPKfKPfEEvlllT_PT11_llSC_llSA_PT12_llPT13_lli.kd
    .uniform_work_group_size: 1
    .uses_dynamic_stack: false
    .vgpr_count:     58
    .vgpr_spill_count: 0
    .wavefront_size: 32
    .workgroup_processor_mode: 1
  - .args:
      - .offset:         0
        .size:           8
        .value_kind:     by_value
      - .offset:         8
        .size:           8
        .value_kind:     by_value
      - .offset:         16
        .size:           8
        .value_kind:     by_value
      - .offset:         24
        .size:           4
        .value_kind:     by_value
      - .address_space:  global
        .offset:         32
        .size:           8
        .value_kind:     global_buffer
      - .offset:         40
        .size:           8
        .value_kind:     by_value
      - .offset:         48
        .size:           8
        .value_kind:     by_value
      - .address_space:  global
        .offset:         56
        .size:           8
        .value_kind:     global_buffer
      - .offset:         64
        .size:           8
        .value_kind:     by_value
      - .offset:         72
        .size:           8
        .value_kind:     by_value
      - .offset:         80
        .size:           4
        .value_kind:     by_value
      - .address_space:  global
        .offset:         88
        .size:           8
        .value_kind:     global_buffer
      - .offset:         96
        .size:           8
        .value_kind:     by_value
      - .offset:         104
        .size:           8
        .value_kind:     by_value
      - .address_space:  global
        .offset:         112
        .size:           8
        .value_kind:     global_buffer
      - .offset:         120
        .size:           8
        .value_kind:     by_value
      - .offset:         128
        .size:           8
        .value_kind:     by_value
      - .offset:         136
        .size:           4
        .value_kind:     by_value
    .group_segment_fixed_size: 2048
    .kernarg_segment_align: 8
    .kernarg_segment_size: 140
    .language:       OpenCL C
    .language_version:
      - 2
      - 0
    .max_flat_workgroup_size: 256
    .name:           _ZN12_GLOBAL__N_127rocblas_gemm_batched_kernelIfLi16ELi16ELi64ELi64ELi4ELi64ELi4ELi4ELi64ELc78ELc67EKPK16rocblas_bfloat16KPKfKPfEEvlllT_PT11_llSC_llSA_PT12_llPT13_lli
    .private_segment_fixed_size: 0
    .sgpr_count:     38
    .sgpr_spill_count: 0
    .symbol:         _ZN12_GLOBAL__N_127rocblas_gemm_batched_kernelIfLi16ELi16ELi64ELi64ELi4ELi64ELi4ELi4ELi64ELc78ELc67EKPK16rocblas_bfloat16KPKfKPfEEvlllT_PT11_llSC_llSA_PT12_llPT13_lli.kd
    .uniform_work_group_size: 1
    .uses_dynamic_stack: false
    .vgpr_count:     58
    .vgpr_spill_count: 0
    .wavefront_size: 32
    .workgroup_processor_mode: 1
  - .args:
      - .offset:         0
        .size:           8
        .value_kind:     by_value
      - .offset:         8
        .size:           8
        .value_kind:     by_value
      - .offset:         16
        .size:           8
        .value_kind:     by_value
      - .offset:         24
        .size:           4
        .value_kind:     by_value
      - .address_space:  global
        .offset:         32
        .size:           8
        .value_kind:     global_buffer
      - .offset:         40
        .size:           8
        .value_kind:     by_value
      - .offset:         48
        .size:           8
        .value_kind:     by_value
      - .address_space:  global
        .offset:         56
        .size:           8
        .value_kind:     global_buffer
      - .offset:         64
        .size:           8
        .value_kind:     by_value
      - .offset:         72
        .size:           8
        .value_kind:     by_value
      - .offset:         80
        .size:           4
        .value_kind:     by_value
      - .address_space:  global
        .offset:         88
        .size:           8
        .value_kind:     global_buffer
      - .offset:         96
        .size:           8
        .value_kind:     by_value
      - .offset:         104
        .size:           8
        .value_kind:     by_value
      - .address_space:  global
        .offset:         112
        .size:           8
        .value_kind:     global_buffer
      - .offset:         120
        .size:           8
        .value_kind:     by_value
      - .offset:         128
        .size:           8
        .value_kind:     by_value
      - .offset:         136
        .size:           4
        .value_kind:     by_value
    .group_segment_fixed_size: 2048
    .kernarg_segment_align: 8
    .kernarg_segment_size: 140
    .language:       OpenCL C
    .language_version:
      - 2
      - 0
    .max_flat_workgroup_size: 256
    .name:           _ZN12_GLOBAL__N_127rocblas_gemm_batched_kernelIfLi16ELi16ELi64ELi64ELi4ELi64ELi4ELi4ELi64ELc84ELc67EKPK16rocblas_bfloat16KPKfKPfEEvlllT_PT11_llSC_llSA_PT12_llPT13_lli
    .private_segment_fixed_size: 0
    .sgpr_count:     38
    .sgpr_spill_count: 0
    .symbol:         _ZN12_GLOBAL__N_127rocblas_gemm_batched_kernelIfLi16ELi16ELi64ELi64ELi4ELi64ELi4ELi4ELi64ELc84ELc67EKPK16rocblas_bfloat16KPKfKPfEEvlllT_PT11_llSC_llSA_PT12_llPT13_lli.kd
    .uniform_work_group_size: 1
    .uses_dynamic_stack: false
    .vgpr_count:     58
    .vgpr_spill_count: 0
    .wavefront_size: 32
    .workgroup_processor_mode: 1
  - .args:
      - .offset:         0
        .size:           8
        .value_kind:     by_value
      - .offset:         8
        .size:           8
        .value_kind:     by_value
      - .offset:         16
        .size:           8
        .value_kind:     by_value
      - .offset:         24
        .size:           4
        .value_kind:     by_value
      - .address_space:  global
        .offset:         32
        .size:           8
        .value_kind:     global_buffer
      - .offset:         40
        .size:           8
        .value_kind:     by_value
      - .offset:         48
        .size:           8
        .value_kind:     by_value
      - .address_space:  global
        .offset:         56
        .size:           8
        .value_kind:     global_buffer
      - .offset:         64
        .size:           8
        .value_kind:     by_value
      - .offset:         72
        .size:           8
        .value_kind:     by_value
      - .offset:         80
        .size:           4
        .value_kind:     by_value
      - .address_space:  global
        .offset:         88
        .size:           8
        .value_kind:     global_buffer
      - .offset:         96
        .size:           8
        .value_kind:     by_value
      - .offset:         104
        .size:           8
        .value_kind:     by_value
      - .address_space:  global
        .offset:         112
        .size:           8
        .value_kind:     global_buffer
      - .offset:         120
        .size:           8
        .value_kind:     by_value
      - .offset:         128
        .size:           8
        .value_kind:     by_value
      - .offset:         136
        .size:           4
        .value_kind:     by_value
    .group_segment_fixed_size: 2048
    .kernarg_segment_align: 8
    .kernarg_segment_size: 140
    .language:       OpenCL C
    .language_version:
      - 2
      - 0
    .max_flat_workgroup_size: 256
    .name:           _ZN12_GLOBAL__N_127rocblas_gemm_batched_kernelIfLi16ELi16ELi32ELi32ELi8ELi32ELi8ELi8ELi32ELc78ELc78EKPK16rocblas_bfloat16KPKfKPfEEvlllT_PT11_llSC_llSA_PT12_llPT13_lli
    .private_segment_fixed_size: 0
    .sgpr_count:     38
    .sgpr_spill_count: 0
    .symbol:         _ZN12_GLOBAL__N_127rocblas_gemm_batched_kernelIfLi16ELi16ELi32ELi32ELi8ELi32ELi8ELi8ELi32ELc78ELc78EKPK16rocblas_bfloat16KPKfKPfEEvlllT_PT11_llSC_llSA_PT12_llPT13_lli.kd
    .uniform_work_group_size: 1
    .uses_dynamic_stack: false
    .vgpr_count:     46
    .vgpr_spill_count: 0
    .wavefront_size: 32
    .workgroup_processor_mode: 1
  - .args:
      - .offset:         0
        .size:           8
        .value_kind:     by_value
      - .offset:         8
        .size:           8
        .value_kind:     by_value
      - .offset:         16
        .size:           8
        .value_kind:     by_value
      - .offset:         24
        .size:           4
        .value_kind:     by_value
      - .address_space:  global
        .offset:         32
        .size:           8
        .value_kind:     global_buffer
      - .offset:         40
        .size:           8
        .value_kind:     by_value
      - .offset:         48
        .size:           8
        .value_kind:     by_value
      - .address_space:  global
        .offset:         56
        .size:           8
        .value_kind:     global_buffer
      - .offset:         64
        .size:           8
        .value_kind:     by_value
      - .offset:         72
        .size:           8
        .value_kind:     by_value
      - .offset:         80
        .size:           4
        .value_kind:     by_value
      - .address_space:  global
        .offset:         88
        .size:           8
        .value_kind:     global_buffer
      - .offset:         96
        .size:           8
        .value_kind:     by_value
      - .offset:         104
        .size:           8
        .value_kind:     by_value
      - .address_space:  global
        .offset:         112
        .size:           8
        .value_kind:     global_buffer
      - .offset:         120
        .size:           8
        .value_kind:     by_value
      - .offset:         128
        .size:           8
        .value_kind:     by_value
      - .offset:         136
        .size:           4
        .value_kind:     by_value
    .group_segment_fixed_size: 2048
    .kernarg_segment_align: 8
    .kernarg_segment_size: 140
    .language:       OpenCL C
    .language_version:
      - 2
      - 0
    .max_flat_workgroup_size: 256
    .name:           _ZN12_GLOBAL__N_127rocblas_gemm_batched_kernelIfLi16ELi16ELi32ELi32ELi8ELi32ELi8ELi8ELi32ELc84ELc78EKPK16rocblas_bfloat16KPKfKPfEEvlllT_PT11_llSC_llSA_PT12_llPT13_lli
    .private_segment_fixed_size: 0
    .sgpr_count:     38
    .sgpr_spill_count: 0
    .symbol:         _ZN12_GLOBAL__N_127rocblas_gemm_batched_kernelIfLi16ELi16ELi32ELi32ELi8ELi32ELi8ELi8ELi32ELc84ELc78EKPK16rocblas_bfloat16KPKfKPfEEvlllT_PT11_llSC_llSA_PT12_llPT13_lli.kd
    .uniform_work_group_size: 1
    .uses_dynamic_stack: false
    .vgpr_count:     46
    .vgpr_spill_count: 0
    .wavefront_size: 32
    .workgroup_processor_mode: 1
  - .args:
      - .offset:         0
        .size:           8
        .value_kind:     by_value
      - .offset:         8
        .size:           8
        .value_kind:     by_value
      - .offset:         16
        .size:           8
        .value_kind:     by_value
      - .offset:         24
        .size:           4
        .value_kind:     by_value
      - .address_space:  global
        .offset:         32
        .size:           8
        .value_kind:     global_buffer
      - .offset:         40
        .size:           8
        .value_kind:     by_value
      - .offset:         48
        .size:           8
        .value_kind:     by_value
      - .address_space:  global
        .offset:         56
        .size:           8
        .value_kind:     global_buffer
      - .offset:         64
        .size:           8
        .value_kind:     by_value
      - .offset:         72
        .size:           8
        .value_kind:     by_value
      - .offset:         80
        .size:           4
        .value_kind:     by_value
      - .address_space:  global
        .offset:         88
        .size:           8
        .value_kind:     global_buffer
      - .offset:         96
        .size:           8
        .value_kind:     by_value
      - .offset:         104
        .size:           8
        .value_kind:     by_value
      - .address_space:  global
        .offset:         112
        .size:           8
        .value_kind:     global_buffer
      - .offset:         120
        .size:           8
        .value_kind:     by_value
      - .offset:         128
        .size:           8
        .value_kind:     by_value
      - .offset:         136
        .size:           4
        .value_kind:     by_value
    .group_segment_fixed_size: 2048
    .kernarg_segment_align: 8
    .kernarg_segment_size: 140
    .language:       OpenCL C
    .language_version:
      - 2
      - 0
    .max_flat_workgroup_size: 256
    .name:           _ZN12_GLOBAL__N_127rocblas_gemm_batched_kernelIfLi16ELi16ELi32ELi32ELi8ELi32ELi8ELi8ELi32ELc78ELc84EKPK16rocblas_bfloat16KPKfKPfEEvlllT_PT11_llSC_llSA_PT12_llPT13_lli
    .private_segment_fixed_size: 0
    .sgpr_count:     38
    .sgpr_spill_count: 0
    .symbol:         _ZN12_GLOBAL__N_127rocblas_gemm_batched_kernelIfLi16ELi16ELi32ELi32ELi8ELi32ELi8ELi8ELi32ELc78ELc84EKPK16rocblas_bfloat16KPKfKPfEEvlllT_PT11_llSC_llSA_PT12_llPT13_lli.kd
    .uniform_work_group_size: 1
    .uses_dynamic_stack: false
    .vgpr_count:     46
    .vgpr_spill_count: 0
    .wavefront_size: 32
    .workgroup_processor_mode: 1
  - .args:
      - .offset:         0
        .size:           8
        .value_kind:     by_value
      - .offset:         8
        .size:           8
        .value_kind:     by_value
      - .offset:         16
        .size:           8
        .value_kind:     by_value
      - .offset:         24
        .size:           4
        .value_kind:     by_value
      - .address_space:  global
        .offset:         32
        .size:           8
        .value_kind:     global_buffer
      - .offset:         40
        .size:           8
        .value_kind:     by_value
      - .offset:         48
        .size:           8
        .value_kind:     by_value
      - .address_space:  global
        .offset:         56
        .size:           8
        .value_kind:     global_buffer
      - .offset:         64
        .size:           8
        .value_kind:     by_value
      - .offset:         72
        .size:           8
        .value_kind:     by_value
      - .offset:         80
        .size:           4
        .value_kind:     by_value
      - .address_space:  global
        .offset:         88
        .size:           8
        .value_kind:     global_buffer
      - .offset:         96
        .size:           8
        .value_kind:     by_value
      - .offset:         104
        .size:           8
        .value_kind:     by_value
      - .address_space:  global
        .offset:         112
        .size:           8
        .value_kind:     global_buffer
      - .offset:         120
        .size:           8
        .value_kind:     by_value
      - .offset:         128
        .size:           8
        .value_kind:     by_value
      - .offset:         136
        .size:           4
        .value_kind:     by_value
    .group_segment_fixed_size: 2048
    .kernarg_segment_align: 8
    .kernarg_segment_size: 140
    .language:       OpenCL C
    .language_version:
      - 2
      - 0
    .max_flat_workgroup_size: 256
    .name:           _ZN12_GLOBAL__N_127rocblas_gemm_batched_kernelIfLi16ELi16ELi32ELi32ELi8ELi32ELi8ELi8ELi32ELc84ELc84EKPK16rocblas_bfloat16KPKfKPfEEvlllT_PT11_llSC_llSA_PT12_llPT13_lli
    .private_segment_fixed_size: 0
    .sgpr_count:     38
    .sgpr_spill_count: 0
    .symbol:         _ZN12_GLOBAL__N_127rocblas_gemm_batched_kernelIfLi16ELi16ELi32ELi32ELi8ELi32ELi8ELi8ELi32ELc84ELc84EKPK16rocblas_bfloat16KPKfKPfEEvlllT_PT11_llSC_llSA_PT12_llPT13_lli.kd
    .uniform_work_group_size: 1
    .uses_dynamic_stack: false
    .vgpr_count:     46
    .vgpr_spill_count: 0
    .wavefront_size: 32
    .workgroup_processor_mode: 1
  - .args:
      - .offset:         0
        .size:           8
        .value_kind:     by_value
      - .offset:         8
        .size:           8
        .value_kind:     by_value
      - .offset:         16
        .size:           8
        .value_kind:     by_value
      - .offset:         24
        .size:           4
        .value_kind:     by_value
      - .address_space:  global
        .offset:         32
        .size:           8
        .value_kind:     global_buffer
      - .offset:         40
        .size:           8
        .value_kind:     by_value
      - .offset:         48
        .size:           8
        .value_kind:     by_value
      - .address_space:  global
        .offset:         56
        .size:           8
        .value_kind:     global_buffer
      - .offset:         64
        .size:           8
        .value_kind:     by_value
      - .offset:         72
        .size:           8
        .value_kind:     by_value
      - .offset:         80
        .size:           4
        .value_kind:     by_value
      - .address_space:  global
        .offset:         88
        .size:           8
        .value_kind:     global_buffer
      - .offset:         96
        .size:           8
        .value_kind:     by_value
      - .offset:         104
        .size:           8
        .value_kind:     by_value
      - .address_space:  global
        .offset:         112
        .size:           8
        .value_kind:     global_buffer
      - .offset:         120
        .size:           8
        .value_kind:     by_value
      - .offset:         128
        .size:           8
        .value_kind:     by_value
      - .offset:         136
        .size:           4
        .value_kind:     by_value
    .group_segment_fixed_size: 2048
    .kernarg_segment_align: 8
    .kernarg_segment_size: 140
    .language:       OpenCL C
    .language_version:
      - 2
      - 0
    .max_flat_workgroup_size: 256
    .name:           _ZN12_GLOBAL__N_127rocblas_gemm_batched_kernelIfLi16ELi16ELi32ELi32ELi8ELi32ELi8ELi8ELi32ELc67ELc67EKPK16rocblas_bfloat16KPKfKPfEEvlllT_PT11_llSC_llSA_PT12_llPT13_lli
    .private_segment_fixed_size: 0
    .sgpr_count:     38
    .sgpr_spill_count: 0
    .symbol:         _ZN12_GLOBAL__N_127rocblas_gemm_batched_kernelIfLi16ELi16ELi32ELi32ELi8ELi32ELi8ELi8ELi32ELc67ELc67EKPK16rocblas_bfloat16KPKfKPfEEvlllT_PT11_llSC_llSA_PT12_llPT13_lli.kd
    .uniform_work_group_size: 1
    .uses_dynamic_stack: false
    .vgpr_count:     46
    .vgpr_spill_count: 0
    .wavefront_size: 32
    .workgroup_processor_mode: 1
  - .args:
      - .offset:         0
        .size:           8
        .value_kind:     by_value
      - .offset:         8
        .size:           8
        .value_kind:     by_value
      - .offset:         16
        .size:           8
        .value_kind:     by_value
      - .offset:         24
        .size:           4
        .value_kind:     by_value
      - .address_space:  global
        .offset:         32
        .size:           8
        .value_kind:     global_buffer
      - .offset:         40
        .size:           8
        .value_kind:     by_value
      - .offset:         48
        .size:           8
        .value_kind:     by_value
      - .address_space:  global
        .offset:         56
        .size:           8
        .value_kind:     global_buffer
      - .offset:         64
        .size:           8
        .value_kind:     by_value
      - .offset:         72
        .size:           8
        .value_kind:     by_value
      - .offset:         80
        .size:           4
        .value_kind:     by_value
      - .address_space:  global
        .offset:         88
        .size:           8
        .value_kind:     global_buffer
      - .offset:         96
        .size:           8
        .value_kind:     by_value
      - .offset:         104
        .size:           8
        .value_kind:     by_value
      - .address_space:  global
        .offset:         112
        .size:           8
        .value_kind:     global_buffer
      - .offset:         120
        .size:           8
        .value_kind:     by_value
      - .offset:         128
        .size:           8
        .value_kind:     by_value
      - .offset:         136
        .size:           4
        .value_kind:     by_value
    .group_segment_fixed_size: 2048
    .kernarg_segment_align: 8
    .kernarg_segment_size: 140
    .language:       OpenCL C
    .language_version:
      - 2
      - 0
    .max_flat_workgroup_size: 256
    .name:           _ZN12_GLOBAL__N_127rocblas_gemm_batched_kernelIfLi16ELi16ELi32ELi32ELi8ELi32ELi8ELi8ELi32ELc67ELc78EKPK16rocblas_bfloat16KPKfKPfEEvlllT_PT11_llSC_llSA_PT12_llPT13_lli
    .private_segment_fixed_size: 0
    .sgpr_count:     38
    .sgpr_spill_count: 0
    .symbol:         _ZN12_GLOBAL__N_127rocblas_gemm_batched_kernelIfLi16ELi16ELi32ELi32ELi8ELi32ELi8ELi8ELi32ELc67ELc78EKPK16rocblas_bfloat16KPKfKPfEEvlllT_PT11_llSC_llSA_PT12_llPT13_lli.kd
    .uniform_work_group_size: 1
    .uses_dynamic_stack: false
    .vgpr_count:     46
    .vgpr_spill_count: 0
    .wavefront_size: 32
    .workgroup_processor_mode: 1
  - .args:
      - .offset:         0
        .size:           8
        .value_kind:     by_value
      - .offset:         8
        .size:           8
        .value_kind:     by_value
      - .offset:         16
        .size:           8
        .value_kind:     by_value
      - .offset:         24
        .size:           4
        .value_kind:     by_value
      - .address_space:  global
        .offset:         32
        .size:           8
        .value_kind:     global_buffer
      - .offset:         40
        .size:           8
        .value_kind:     by_value
      - .offset:         48
        .size:           8
        .value_kind:     by_value
      - .address_space:  global
        .offset:         56
        .size:           8
        .value_kind:     global_buffer
      - .offset:         64
        .size:           8
        .value_kind:     by_value
      - .offset:         72
        .size:           8
        .value_kind:     by_value
      - .offset:         80
        .size:           4
        .value_kind:     by_value
      - .address_space:  global
        .offset:         88
        .size:           8
        .value_kind:     global_buffer
      - .offset:         96
        .size:           8
        .value_kind:     by_value
      - .offset:         104
        .size:           8
        .value_kind:     by_value
      - .address_space:  global
        .offset:         112
        .size:           8
        .value_kind:     global_buffer
      - .offset:         120
        .size:           8
        .value_kind:     by_value
      - .offset:         128
        .size:           8
        .value_kind:     by_value
      - .offset:         136
        .size:           4
        .value_kind:     by_value
    .group_segment_fixed_size: 2048
    .kernarg_segment_align: 8
    .kernarg_segment_size: 140
    .language:       OpenCL C
    .language_version:
      - 2
      - 0
    .max_flat_workgroup_size: 256
    .name:           _ZN12_GLOBAL__N_127rocblas_gemm_batched_kernelIfLi16ELi16ELi32ELi32ELi8ELi32ELi8ELi8ELi32ELc67ELc84EKPK16rocblas_bfloat16KPKfKPfEEvlllT_PT11_llSC_llSA_PT12_llPT13_lli
    .private_segment_fixed_size: 0
    .sgpr_count:     38
    .sgpr_spill_count: 0
    .symbol:         _ZN12_GLOBAL__N_127rocblas_gemm_batched_kernelIfLi16ELi16ELi32ELi32ELi8ELi32ELi8ELi8ELi32ELc67ELc84EKPK16rocblas_bfloat16KPKfKPfEEvlllT_PT11_llSC_llSA_PT12_llPT13_lli.kd
    .uniform_work_group_size: 1
    .uses_dynamic_stack: false
    .vgpr_count:     46
    .vgpr_spill_count: 0
    .wavefront_size: 32
    .workgroup_processor_mode: 1
  - .args:
      - .offset:         0
        .size:           8
        .value_kind:     by_value
      - .offset:         8
        .size:           8
        .value_kind:     by_value
      - .offset:         16
        .size:           8
        .value_kind:     by_value
      - .offset:         24
        .size:           4
        .value_kind:     by_value
      - .address_space:  global
        .offset:         32
        .size:           8
        .value_kind:     global_buffer
      - .offset:         40
        .size:           8
        .value_kind:     by_value
      - .offset:         48
        .size:           8
        .value_kind:     by_value
      - .address_space:  global
        .offset:         56
        .size:           8
        .value_kind:     global_buffer
      - .offset:         64
        .size:           8
        .value_kind:     by_value
      - .offset:         72
        .size:           8
        .value_kind:     by_value
      - .offset:         80
        .size:           4
        .value_kind:     by_value
      - .address_space:  global
        .offset:         88
        .size:           8
        .value_kind:     global_buffer
      - .offset:         96
        .size:           8
        .value_kind:     by_value
      - .offset:         104
        .size:           8
        .value_kind:     by_value
      - .address_space:  global
        .offset:         112
        .size:           8
        .value_kind:     global_buffer
      - .offset:         120
        .size:           8
        .value_kind:     by_value
      - .offset:         128
        .size:           8
        .value_kind:     by_value
      - .offset:         136
        .size:           4
        .value_kind:     by_value
    .group_segment_fixed_size: 2048
    .kernarg_segment_align: 8
    .kernarg_segment_size: 140
    .language:       OpenCL C
    .language_version:
      - 2
      - 0
    .max_flat_workgroup_size: 256
    .name:           _ZN12_GLOBAL__N_127rocblas_gemm_batched_kernelIfLi16ELi16ELi32ELi32ELi8ELi32ELi8ELi8ELi32ELc78ELc67EKPK16rocblas_bfloat16KPKfKPfEEvlllT_PT11_llSC_llSA_PT12_llPT13_lli
    .private_segment_fixed_size: 0
    .sgpr_count:     38
    .sgpr_spill_count: 0
    .symbol:         _ZN12_GLOBAL__N_127rocblas_gemm_batched_kernelIfLi16ELi16ELi32ELi32ELi8ELi32ELi8ELi8ELi32ELc78ELc67EKPK16rocblas_bfloat16KPKfKPfEEvlllT_PT11_llSC_llSA_PT12_llPT13_lli.kd
    .uniform_work_group_size: 1
    .uses_dynamic_stack: false
    .vgpr_count:     46
    .vgpr_spill_count: 0
    .wavefront_size: 32
    .workgroup_processor_mode: 1
  - .args:
      - .offset:         0
        .size:           8
        .value_kind:     by_value
      - .offset:         8
        .size:           8
        .value_kind:     by_value
      - .offset:         16
        .size:           8
        .value_kind:     by_value
      - .offset:         24
        .size:           4
        .value_kind:     by_value
      - .address_space:  global
        .offset:         32
        .size:           8
        .value_kind:     global_buffer
      - .offset:         40
        .size:           8
        .value_kind:     by_value
      - .offset:         48
        .size:           8
        .value_kind:     by_value
      - .address_space:  global
        .offset:         56
        .size:           8
        .value_kind:     global_buffer
      - .offset:         64
        .size:           8
        .value_kind:     by_value
      - .offset:         72
        .size:           8
        .value_kind:     by_value
      - .offset:         80
        .size:           4
        .value_kind:     by_value
      - .address_space:  global
        .offset:         88
        .size:           8
        .value_kind:     global_buffer
      - .offset:         96
        .size:           8
        .value_kind:     by_value
      - .offset:         104
        .size:           8
        .value_kind:     by_value
      - .address_space:  global
        .offset:         112
        .size:           8
        .value_kind:     global_buffer
      - .offset:         120
        .size:           8
        .value_kind:     by_value
      - .offset:         128
        .size:           8
        .value_kind:     by_value
      - .offset:         136
        .size:           4
        .value_kind:     by_value
    .group_segment_fixed_size: 2048
    .kernarg_segment_align: 8
    .kernarg_segment_size: 140
    .language:       OpenCL C
    .language_version:
      - 2
      - 0
    .max_flat_workgroup_size: 256
    .name:           _ZN12_GLOBAL__N_127rocblas_gemm_batched_kernelIfLi16ELi16ELi32ELi32ELi8ELi32ELi8ELi8ELi32ELc84ELc67EKPK16rocblas_bfloat16KPKfKPfEEvlllT_PT11_llSC_llSA_PT12_llPT13_lli
    .private_segment_fixed_size: 0
    .sgpr_count:     38
    .sgpr_spill_count: 0
    .symbol:         _ZN12_GLOBAL__N_127rocblas_gemm_batched_kernelIfLi16ELi16ELi32ELi32ELi8ELi32ELi8ELi8ELi32ELc84ELc67EKPK16rocblas_bfloat16KPKfKPfEEvlllT_PT11_llSC_llSA_PT12_llPT13_lli.kd
    .uniform_work_group_size: 1
    .uses_dynamic_stack: false
    .vgpr_count:     46
    .vgpr_spill_count: 0
    .wavefront_size: 32
    .workgroup_processor_mode: 1
  - .args:
      - .offset:         0
        .size:           8
        .value_kind:     by_value
      - .offset:         8
        .size:           8
        .value_kind:     by_value
      - .offset:         16
        .size:           8
        .value_kind:     by_value
      - .offset:         24
        .size:           4
        .value_kind:     by_value
      - .address_space:  global
        .offset:         32
        .size:           8
        .value_kind:     global_buffer
      - .offset:         40
        .size:           8
        .value_kind:     by_value
      - .offset:         48
        .size:           8
        .value_kind:     by_value
      - .address_space:  global
        .offset:         56
        .size:           8
        .value_kind:     global_buffer
      - .offset:         64
        .size:           8
        .value_kind:     by_value
      - .offset:         72
        .size:           8
        .value_kind:     by_value
      - .offset:         80
        .size:           4
        .value_kind:     by_value
      - .address_space:  global
        .offset:         88
        .size:           8
        .value_kind:     global_buffer
      - .offset:         96
        .size:           8
        .value_kind:     by_value
      - .offset:         104
        .size:           8
        .value_kind:     by_value
      - .address_space:  global
        .offset:         112
        .size:           8
        .value_kind:     global_buffer
      - .offset:         120
        .size:           8
        .value_kind:     by_value
      - .offset:         128
        .size:           8
        .value_kind:     by_value
      - .offset:         136
        .size:           4
        .value_kind:     by_value
    .group_segment_fixed_size: 2048
    .kernarg_segment_align: 8
    .kernarg_segment_size: 140
    .language:       OpenCL C
    .language_version:
      - 2
      - 0
    .max_flat_workgroup_size: 256
    .name:           _ZN12_GLOBAL__N_135rocblas_gemm_batched_general_kernelIfLi16ELi16ELi32ELi32ELi8ELi32ELi8ELi8ELi32ELc78ELc78EKPK16rocblas_bfloat16KPKfKPfEEvlllT_PT11_llSC_llSA_PT12_llPT13_lli
    .private_segment_fixed_size: 0
    .sgpr_count:     44
    .sgpr_spill_count: 0
    .symbol:         _ZN12_GLOBAL__N_135rocblas_gemm_batched_general_kernelIfLi16ELi16ELi32ELi32ELi8ELi32ELi8ELi8ELi32ELc78ELc78EKPK16rocblas_bfloat16KPKfKPfEEvlllT_PT11_llSC_llSA_PT12_llPT13_lli.kd
    .uniform_work_group_size: 1
    .uses_dynamic_stack: false
    .vgpr_count:     44
    .vgpr_spill_count: 0
    .wavefront_size: 32
    .workgroup_processor_mode: 1
  - .args:
      - .offset:         0
        .size:           8
        .value_kind:     by_value
      - .offset:         8
        .size:           8
        .value_kind:     by_value
      - .offset:         16
        .size:           8
        .value_kind:     by_value
      - .offset:         24
        .size:           4
        .value_kind:     by_value
      - .address_space:  global
        .offset:         32
        .size:           8
        .value_kind:     global_buffer
      - .offset:         40
        .size:           8
        .value_kind:     by_value
      - .offset:         48
        .size:           8
        .value_kind:     by_value
      - .address_space:  global
        .offset:         56
        .size:           8
        .value_kind:     global_buffer
      - .offset:         64
        .size:           8
        .value_kind:     by_value
      - .offset:         72
        .size:           8
        .value_kind:     by_value
      - .offset:         80
        .size:           4
        .value_kind:     by_value
      - .address_space:  global
        .offset:         88
        .size:           8
        .value_kind:     global_buffer
      - .offset:         96
        .size:           8
        .value_kind:     by_value
      - .offset:         104
        .size:           8
        .value_kind:     by_value
      - .address_space:  global
        .offset:         112
        .size:           8
        .value_kind:     global_buffer
      - .offset:         120
        .size:           8
        .value_kind:     by_value
      - .offset:         128
        .size:           8
        .value_kind:     by_value
      - .offset:         136
        .size:           4
        .value_kind:     by_value
    .group_segment_fixed_size: 2048
    .kernarg_segment_align: 8
    .kernarg_segment_size: 140
    .language:       OpenCL C
    .language_version:
      - 2
      - 0
    .max_flat_workgroup_size: 256
    .name:           _ZN12_GLOBAL__N_135rocblas_gemm_batched_general_kernelIfLi16ELi16ELi32ELi32ELi8ELi32ELi8ELi8ELi32ELc84ELc78EKPK16rocblas_bfloat16KPKfKPfEEvlllT_PT11_llSC_llSA_PT12_llPT13_lli
    .private_segment_fixed_size: 0
    .sgpr_count:     42
    .sgpr_spill_count: 0
    .symbol:         _ZN12_GLOBAL__N_135rocblas_gemm_batched_general_kernelIfLi16ELi16ELi32ELi32ELi8ELi32ELi8ELi8ELi32ELc84ELc78EKPK16rocblas_bfloat16KPKfKPfEEvlllT_PT11_llSC_llSA_PT12_llPT13_lli.kd
    .uniform_work_group_size: 1
    .uses_dynamic_stack: false
    .vgpr_count:     44
    .vgpr_spill_count: 0
    .wavefront_size: 32
    .workgroup_processor_mode: 1
  - .args:
      - .offset:         0
        .size:           8
        .value_kind:     by_value
      - .offset:         8
        .size:           8
        .value_kind:     by_value
      - .offset:         16
        .size:           8
        .value_kind:     by_value
      - .offset:         24
        .size:           4
        .value_kind:     by_value
      - .address_space:  global
        .offset:         32
        .size:           8
        .value_kind:     global_buffer
      - .offset:         40
        .size:           8
        .value_kind:     by_value
      - .offset:         48
        .size:           8
        .value_kind:     by_value
      - .address_space:  global
        .offset:         56
        .size:           8
        .value_kind:     global_buffer
      - .offset:         64
        .size:           8
        .value_kind:     by_value
      - .offset:         72
        .size:           8
        .value_kind:     by_value
      - .offset:         80
        .size:           4
        .value_kind:     by_value
      - .address_space:  global
        .offset:         88
        .size:           8
        .value_kind:     global_buffer
      - .offset:         96
        .size:           8
        .value_kind:     by_value
      - .offset:         104
        .size:           8
        .value_kind:     by_value
      - .address_space:  global
        .offset:         112
        .size:           8
        .value_kind:     global_buffer
      - .offset:         120
        .size:           8
        .value_kind:     by_value
      - .offset:         128
        .size:           8
        .value_kind:     by_value
      - .offset:         136
        .size:           4
        .value_kind:     by_value
    .group_segment_fixed_size: 2048
    .kernarg_segment_align: 8
    .kernarg_segment_size: 140
    .language:       OpenCL C
    .language_version:
      - 2
      - 0
    .max_flat_workgroup_size: 256
    .name:           _ZN12_GLOBAL__N_135rocblas_gemm_batched_general_kernelIfLi16ELi16ELi32ELi32ELi8ELi32ELi8ELi8ELi32ELc78ELc84EKPK16rocblas_bfloat16KPKfKPfEEvlllT_PT11_llSC_llSA_PT12_llPT13_lli
    .private_segment_fixed_size: 0
    .sgpr_count:     48
    .sgpr_spill_count: 0
    .symbol:         _ZN12_GLOBAL__N_135rocblas_gemm_batched_general_kernelIfLi16ELi16ELi32ELi32ELi8ELi32ELi8ELi8ELi32ELc78ELc84EKPK16rocblas_bfloat16KPKfKPfEEvlllT_PT11_llSC_llSA_PT12_llPT13_lli.kd
    .uniform_work_group_size: 1
    .uses_dynamic_stack: false
    .vgpr_count:     44
    .vgpr_spill_count: 0
    .wavefront_size: 32
    .workgroup_processor_mode: 1
  - .args:
      - .offset:         0
        .size:           8
        .value_kind:     by_value
      - .offset:         8
        .size:           8
        .value_kind:     by_value
      - .offset:         16
        .size:           8
        .value_kind:     by_value
      - .offset:         24
        .size:           4
        .value_kind:     by_value
      - .address_space:  global
        .offset:         32
        .size:           8
        .value_kind:     global_buffer
      - .offset:         40
        .size:           8
        .value_kind:     by_value
      - .offset:         48
        .size:           8
        .value_kind:     by_value
      - .address_space:  global
        .offset:         56
        .size:           8
        .value_kind:     global_buffer
      - .offset:         64
        .size:           8
        .value_kind:     by_value
      - .offset:         72
        .size:           8
        .value_kind:     by_value
      - .offset:         80
        .size:           4
        .value_kind:     by_value
      - .address_space:  global
        .offset:         88
        .size:           8
        .value_kind:     global_buffer
      - .offset:         96
        .size:           8
        .value_kind:     by_value
      - .offset:         104
        .size:           8
        .value_kind:     by_value
      - .address_space:  global
        .offset:         112
        .size:           8
        .value_kind:     global_buffer
      - .offset:         120
        .size:           8
        .value_kind:     by_value
      - .offset:         128
        .size:           8
        .value_kind:     by_value
      - .offset:         136
        .size:           4
        .value_kind:     by_value
    .group_segment_fixed_size: 2048
    .kernarg_segment_align: 8
    .kernarg_segment_size: 140
    .language:       OpenCL C
    .language_version:
      - 2
      - 0
    .max_flat_workgroup_size: 256
    .name:           _ZN12_GLOBAL__N_135rocblas_gemm_batched_general_kernelIfLi16ELi16ELi32ELi32ELi8ELi32ELi8ELi8ELi32ELc84ELc84EKPK16rocblas_bfloat16KPKfKPfEEvlllT_PT11_llSC_llSA_PT12_llPT13_lli
    .private_segment_fixed_size: 0
    .sgpr_count:     46
    .sgpr_spill_count: 0
    .symbol:         _ZN12_GLOBAL__N_135rocblas_gemm_batched_general_kernelIfLi16ELi16ELi32ELi32ELi8ELi32ELi8ELi8ELi32ELc84ELc84EKPK16rocblas_bfloat16KPKfKPfEEvlllT_PT11_llSC_llSA_PT12_llPT13_lli.kd
    .uniform_work_group_size: 1
    .uses_dynamic_stack: false
    .vgpr_count:     44
    .vgpr_spill_count: 0
    .wavefront_size: 32
    .workgroup_processor_mode: 1
  - .args:
      - .offset:         0
        .size:           8
        .value_kind:     by_value
      - .offset:         8
        .size:           8
        .value_kind:     by_value
      - .offset:         16
        .size:           8
        .value_kind:     by_value
      - .offset:         24
        .size:           4
        .value_kind:     by_value
      - .address_space:  global
        .offset:         32
        .size:           8
        .value_kind:     global_buffer
      - .offset:         40
        .size:           8
        .value_kind:     by_value
      - .offset:         48
        .size:           8
        .value_kind:     by_value
      - .address_space:  global
        .offset:         56
        .size:           8
        .value_kind:     global_buffer
      - .offset:         64
        .size:           8
        .value_kind:     by_value
      - .offset:         72
        .size:           8
        .value_kind:     by_value
      - .offset:         80
        .size:           4
        .value_kind:     by_value
      - .address_space:  global
        .offset:         88
        .size:           8
        .value_kind:     global_buffer
      - .offset:         96
        .size:           8
        .value_kind:     by_value
      - .offset:         104
        .size:           8
        .value_kind:     by_value
      - .address_space:  global
        .offset:         112
        .size:           8
        .value_kind:     global_buffer
      - .offset:         120
        .size:           8
        .value_kind:     by_value
      - .offset:         128
        .size:           8
        .value_kind:     by_value
      - .offset:         136
        .size:           4
        .value_kind:     by_value
    .group_segment_fixed_size: 2048
    .kernarg_segment_align: 8
    .kernarg_segment_size: 140
    .language:       OpenCL C
    .language_version:
      - 2
      - 0
    .max_flat_workgroup_size: 256
    .name:           _ZN12_GLOBAL__N_135rocblas_gemm_batched_general_kernelIfLi16ELi16ELi32ELi32ELi8ELi32ELi8ELi8ELi32ELc67ELc67EKPK16rocblas_bfloat16KPKfKPfEEvlllT_PT11_llSC_llSA_PT12_llPT13_lli
    .private_segment_fixed_size: 0
    .sgpr_count:     46
    .sgpr_spill_count: 0
    .symbol:         _ZN12_GLOBAL__N_135rocblas_gemm_batched_general_kernelIfLi16ELi16ELi32ELi32ELi8ELi32ELi8ELi8ELi32ELc67ELc67EKPK16rocblas_bfloat16KPKfKPfEEvlllT_PT11_llSC_llSA_PT12_llPT13_lli.kd
    .uniform_work_group_size: 1
    .uses_dynamic_stack: false
    .vgpr_count:     44
    .vgpr_spill_count: 0
    .wavefront_size: 32
    .workgroup_processor_mode: 1
  - .args:
      - .offset:         0
        .size:           8
        .value_kind:     by_value
      - .offset:         8
        .size:           8
        .value_kind:     by_value
      - .offset:         16
        .size:           8
        .value_kind:     by_value
      - .offset:         24
        .size:           4
        .value_kind:     by_value
      - .address_space:  global
        .offset:         32
        .size:           8
        .value_kind:     global_buffer
      - .offset:         40
        .size:           8
        .value_kind:     by_value
      - .offset:         48
        .size:           8
        .value_kind:     by_value
      - .address_space:  global
        .offset:         56
        .size:           8
        .value_kind:     global_buffer
      - .offset:         64
        .size:           8
        .value_kind:     by_value
      - .offset:         72
        .size:           8
        .value_kind:     by_value
      - .offset:         80
        .size:           4
        .value_kind:     by_value
      - .address_space:  global
        .offset:         88
        .size:           8
        .value_kind:     global_buffer
      - .offset:         96
        .size:           8
        .value_kind:     by_value
      - .offset:         104
        .size:           8
        .value_kind:     by_value
      - .address_space:  global
        .offset:         112
        .size:           8
        .value_kind:     global_buffer
      - .offset:         120
        .size:           8
        .value_kind:     by_value
      - .offset:         128
        .size:           8
        .value_kind:     by_value
      - .offset:         136
        .size:           4
        .value_kind:     by_value
    .group_segment_fixed_size: 2048
    .kernarg_segment_align: 8
    .kernarg_segment_size: 140
    .language:       OpenCL C
    .language_version:
      - 2
      - 0
    .max_flat_workgroup_size: 256
    .name:           _ZN12_GLOBAL__N_135rocblas_gemm_batched_general_kernelIfLi16ELi16ELi32ELi32ELi8ELi32ELi8ELi8ELi32ELc67ELc78EKPK16rocblas_bfloat16KPKfKPfEEvlllT_PT11_llSC_llSA_PT12_llPT13_lli
    .private_segment_fixed_size: 0
    .sgpr_count:     42
    .sgpr_spill_count: 0
    .symbol:         _ZN12_GLOBAL__N_135rocblas_gemm_batched_general_kernelIfLi16ELi16ELi32ELi32ELi8ELi32ELi8ELi8ELi32ELc67ELc78EKPK16rocblas_bfloat16KPKfKPfEEvlllT_PT11_llSC_llSA_PT12_llPT13_lli.kd
    .uniform_work_group_size: 1
    .uses_dynamic_stack: false
    .vgpr_count:     44
    .vgpr_spill_count: 0
    .wavefront_size: 32
    .workgroup_processor_mode: 1
  - .args:
      - .offset:         0
        .size:           8
        .value_kind:     by_value
      - .offset:         8
        .size:           8
        .value_kind:     by_value
      - .offset:         16
        .size:           8
        .value_kind:     by_value
      - .offset:         24
        .size:           4
        .value_kind:     by_value
      - .address_space:  global
        .offset:         32
        .size:           8
        .value_kind:     global_buffer
      - .offset:         40
        .size:           8
        .value_kind:     by_value
      - .offset:         48
        .size:           8
        .value_kind:     by_value
      - .address_space:  global
        .offset:         56
        .size:           8
        .value_kind:     global_buffer
      - .offset:         64
        .size:           8
        .value_kind:     by_value
      - .offset:         72
        .size:           8
        .value_kind:     by_value
      - .offset:         80
        .size:           4
        .value_kind:     by_value
      - .address_space:  global
        .offset:         88
        .size:           8
        .value_kind:     global_buffer
      - .offset:         96
        .size:           8
        .value_kind:     by_value
      - .offset:         104
        .size:           8
        .value_kind:     by_value
      - .address_space:  global
        .offset:         112
        .size:           8
        .value_kind:     global_buffer
      - .offset:         120
        .size:           8
        .value_kind:     by_value
      - .offset:         128
        .size:           8
        .value_kind:     by_value
      - .offset:         136
        .size:           4
        .value_kind:     by_value
    .group_segment_fixed_size: 2048
    .kernarg_segment_align: 8
    .kernarg_segment_size: 140
    .language:       OpenCL C
    .language_version:
      - 2
      - 0
    .max_flat_workgroup_size: 256
    .name:           _ZN12_GLOBAL__N_135rocblas_gemm_batched_general_kernelIfLi16ELi16ELi32ELi32ELi8ELi32ELi8ELi8ELi32ELc67ELc84EKPK16rocblas_bfloat16KPKfKPfEEvlllT_PT11_llSC_llSA_PT12_llPT13_lli
    .private_segment_fixed_size: 0
    .sgpr_count:     46
    .sgpr_spill_count: 0
    .symbol:         _ZN12_GLOBAL__N_135rocblas_gemm_batched_general_kernelIfLi16ELi16ELi32ELi32ELi8ELi32ELi8ELi8ELi32ELc67ELc84EKPK16rocblas_bfloat16KPKfKPfEEvlllT_PT11_llSC_llSA_PT12_llPT13_lli.kd
    .uniform_work_group_size: 1
    .uses_dynamic_stack: false
    .vgpr_count:     44
    .vgpr_spill_count: 0
    .wavefront_size: 32
    .workgroup_processor_mode: 1
  - .args:
      - .offset:         0
        .size:           8
        .value_kind:     by_value
      - .offset:         8
        .size:           8
        .value_kind:     by_value
      - .offset:         16
        .size:           8
        .value_kind:     by_value
      - .offset:         24
        .size:           4
        .value_kind:     by_value
      - .address_space:  global
        .offset:         32
        .size:           8
        .value_kind:     global_buffer
      - .offset:         40
        .size:           8
        .value_kind:     by_value
      - .offset:         48
        .size:           8
        .value_kind:     by_value
      - .address_space:  global
        .offset:         56
        .size:           8
        .value_kind:     global_buffer
      - .offset:         64
        .size:           8
        .value_kind:     by_value
      - .offset:         72
        .size:           8
        .value_kind:     by_value
      - .offset:         80
        .size:           4
        .value_kind:     by_value
      - .address_space:  global
        .offset:         88
        .size:           8
        .value_kind:     global_buffer
      - .offset:         96
        .size:           8
        .value_kind:     by_value
      - .offset:         104
        .size:           8
        .value_kind:     by_value
      - .address_space:  global
        .offset:         112
        .size:           8
        .value_kind:     global_buffer
      - .offset:         120
        .size:           8
        .value_kind:     by_value
      - .offset:         128
        .size:           8
        .value_kind:     by_value
      - .offset:         136
        .size:           4
        .value_kind:     by_value
    .group_segment_fixed_size: 2048
    .kernarg_segment_align: 8
    .kernarg_segment_size: 140
    .language:       OpenCL C
    .language_version:
      - 2
      - 0
    .max_flat_workgroup_size: 256
    .name:           _ZN12_GLOBAL__N_135rocblas_gemm_batched_general_kernelIfLi16ELi16ELi32ELi32ELi8ELi32ELi8ELi8ELi32ELc78ELc67EKPK16rocblas_bfloat16KPKfKPfEEvlllT_PT11_llSC_llSA_PT12_llPT13_lli
    .private_segment_fixed_size: 0
    .sgpr_count:     48
    .sgpr_spill_count: 0
    .symbol:         _ZN12_GLOBAL__N_135rocblas_gemm_batched_general_kernelIfLi16ELi16ELi32ELi32ELi8ELi32ELi8ELi8ELi32ELc78ELc67EKPK16rocblas_bfloat16KPKfKPfEEvlllT_PT11_llSC_llSA_PT12_llPT13_lli.kd
    .uniform_work_group_size: 1
    .uses_dynamic_stack: false
    .vgpr_count:     44
    .vgpr_spill_count: 0
    .wavefront_size: 32
    .workgroup_processor_mode: 1
  - .args:
      - .offset:         0
        .size:           8
        .value_kind:     by_value
      - .offset:         8
        .size:           8
        .value_kind:     by_value
      - .offset:         16
        .size:           8
        .value_kind:     by_value
      - .offset:         24
        .size:           4
        .value_kind:     by_value
      - .address_space:  global
        .offset:         32
        .size:           8
        .value_kind:     global_buffer
      - .offset:         40
        .size:           8
        .value_kind:     by_value
      - .offset:         48
        .size:           8
        .value_kind:     by_value
      - .address_space:  global
        .offset:         56
        .size:           8
        .value_kind:     global_buffer
      - .offset:         64
        .size:           8
        .value_kind:     by_value
      - .offset:         72
        .size:           8
        .value_kind:     by_value
      - .offset:         80
        .size:           4
        .value_kind:     by_value
      - .address_space:  global
        .offset:         88
        .size:           8
        .value_kind:     global_buffer
      - .offset:         96
        .size:           8
        .value_kind:     by_value
      - .offset:         104
        .size:           8
        .value_kind:     by_value
      - .address_space:  global
        .offset:         112
        .size:           8
        .value_kind:     global_buffer
      - .offset:         120
        .size:           8
        .value_kind:     by_value
      - .offset:         128
        .size:           8
        .value_kind:     by_value
      - .offset:         136
        .size:           4
        .value_kind:     by_value
    .group_segment_fixed_size: 2048
    .kernarg_segment_align: 8
    .kernarg_segment_size: 140
    .language:       OpenCL C
    .language_version:
      - 2
      - 0
    .max_flat_workgroup_size: 256
    .name:           _ZN12_GLOBAL__N_135rocblas_gemm_batched_general_kernelIfLi16ELi16ELi32ELi32ELi8ELi32ELi8ELi8ELi32ELc84ELc67EKPK16rocblas_bfloat16KPKfKPfEEvlllT_PT11_llSC_llSA_PT12_llPT13_lli
    .private_segment_fixed_size: 0
    .sgpr_count:     46
    .sgpr_spill_count: 0
    .symbol:         _ZN12_GLOBAL__N_135rocblas_gemm_batched_general_kernelIfLi16ELi16ELi32ELi32ELi8ELi32ELi8ELi8ELi32ELc84ELc67EKPK16rocblas_bfloat16KPKfKPfEEvlllT_PT11_llSC_llSA_PT12_llPT13_lli.kd
    .uniform_work_group_size: 1
    .uses_dynamic_stack: false
    .vgpr_count:     44
    .vgpr_spill_count: 0
    .wavefront_size: 32
    .workgroup_processor_mode: 1
  - .args:
      - .offset:         0
        .size:           4
        .value_kind:     by_value
      - .offset:         4
        .size:           4
        .value_kind:     by_value
      - .offset:         8
        .size:           4
        .value_kind:     by_value
      - .address_space:  global
        .offset:         16
        .size:           8
        .value_kind:     global_buffer
      - .offset:         24
        .size:           8
        .value_kind:     by_value
      - .offset:         32
        .size:           8
        .value_kind:     by_value
      - .offset:         40
        .size:           8
        .value_kind:     by_value
      - .address_space:  global
        .offset:         48
        .size:           8
        .value_kind:     global_buffer
      - .offset:         56
        .size:           8
        .value_kind:     by_value
      - .offset:         64
        .size:           8
        .value_kind:     by_value
      - .offset:         72
        .size:           8
        .value_kind:     by_value
      - .offset:         80
        .size:           4
        .value_kind:     by_value
    .group_segment_fixed_size: 0
    .kernarg_segment_align: 8
    .kernarg_segment_size: 84
    .language:       OpenCL C
    .language_version:
      - 2
      - 0
    .max_flat_workgroup_size: 1024
    .name:           _ZN12_GLOBAL__N_120gemm_ex_scale_kernelILi32ELi32EiPKPKiPKPiEEviiT1_T2_lllT3_llli
    .private_segment_fixed_size: 0
    .sgpr_count:     22
    .sgpr_spill_count: 0
    .symbol:         _ZN12_GLOBAL__N_120gemm_ex_scale_kernelILi32ELi32EiPKPKiPKPiEEviiT1_T2_lllT3_llli.kd
    .uniform_work_group_size: 1
    .uses_dynamic_stack: false
    .vgpr_count:     7
    .vgpr_spill_count: 0
    .wavefront_size: 32
    .workgroup_processor_mode: 1
  - .args:
      - .offset:         0
        .size:           8
        .value_kind:     by_value
      - .offset:         8
        .size:           8
        .value_kind:     by_value
      - .offset:         16
        .size:           8
        .value_kind:     by_value
      - .offset:         24
        .size:           4
        .value_kind:     by_value
      - .address_space:  global
        .offset:         32
        .size:           8
        .value_kind:     global_buffer
      - .offset:         40
        .size:           8
        .value_kind:     by_value
      - .offset:         48
        .size:           8
        .value_kind:     by_value
      - .address_space:  global
        .offset:         56
        .size:           8
        .value_kind:     global_buffer
      - .offset:         64
        .size:           8
        .value_kind:     by_value
      - .offset:         72
        .size:           8
        .value_kind:     by_value
      - .offset:         80
        .size:           4
        .value_kind:     by_value
      - .address_space:  global
        .offset:         88
        .size:           8
        .value_kind:     global_buffer
      - .offset:         96
        .size:           8
        .value_kind:     by_value
      - .offset:         104
        .size:           8
        .value_kind:     by_value
      - .address_space:  global
        .offset:         112
        .size:           8
        .value_kind:     global_buffer
      - .offset:         120
        .size:           8
        .value_kind:     by_value
      - .offset:         128
        .size:           8
        .value_kind:     by_value
      - .offset:         136
        .size:           4
        .value_kind:     by_value
    .group_segment_fixed_size: 2048
    .kernarg_segment_align: 8
    .kernarg_segment_size: 140
    .language:       OpenCL C
    .language_version:
      - 2
      - 0
    .max_flat_workgroup_size: 256
    .name:           _ZN12_GLOBAL__N_127rocblas_gemm_batched_kernelIiLi16ELi16ELi64ELi64ELi4ELi64ELi4ELi4ELi64ELc78ELc78EKPKaKPKiKPiEEvlllT_PT11_llSB_llS9_PT12_llPT13_lli
    .private_segment_fixed_size: 0
    .sgpr_count:     38
    .sgpr_spill_count: 0
    .symbol:         _ZN12_GLOBAL__N_127rocblas_gemm_batched_kernelIiLi16ELi16ELi64ELi64ELi4ELi64ELi4ELi4ELi64ELc78ELc78EKPKaKPKiKPiEEvlllT_PT11_llSB_llS9_PT12_llPT13_lli.kd
    .uniform_work_group_size: 1
    .uses_dynamic_stack: false
    .vgpr_count:     94
    .vgpr_spill_count: 0
    .wavefront_size: 32
    .workgroup_processor_mode: 1
  - .args:
      - .offset:         0
        .size:           8
        .value_kind:     by_value
      - .offset:         8
        .size:           8
        .value_kind:     by_value
      - .offset:         16
        .size:           8
        .value_kind:     by_value
      - .offset:         24
        .size:           4
        .value_kind:     by_value
      - .address_space:  global
        .offset:         32
        .size:           8
        .value_kind:     global_buffer
      - .offset:         40
        .size:           8
        .value_kind:     by_value
      - .offset:         48
        .size:           8
        .value_kind:     by_value
      - .address_space:  global
        .offset:         56
        .size:           8
        .value_kind:     global_buffer
      - .offset:         64
        .size:           8
        .value_kind:     by_value
      - .offset:         72
        .size:           8
        .value_kind:     by_value
      - .offset:         80
        .size:           4
        .value_kind:     by_value
      - .address_space:  global
        .offset:         88
        .size:           8
        .value_kind:     global_buffer
      - .offset:         96
        .size:           8
        .value_kind:     by_value
      - .offset:         104
        .size:           8
        .value_kind:     by_value
      - .address_space:  global
        .offset:         112
        .size:           8
        .value_kind:     global_buffer
      - .offset:         120
        .size:           8
        .value_kind:     by_value
      - .offset:         128
        .size:           8
        .value_kind:     by_value
      - .offset:         136
        .size:           4
        .value_kind:     by_value
    .group_segment_fixed_size: 2048
    .kernarg_segment_align: 8
    .kernarg_segment_size: 140
    .language:       OpenCL C
    .language_version:
      - 2
      - 0
    .max_flat_workgroup_size: 256
    .name:           _ZN12_GLOBAL__N_127rocblas_gemm_batched_kernelIiLi16ELi16ELi64ELi64ELi4ELi64ELi4ELi4ELi64ELc84ELc78EKPKaKPKiKPiEEvlllT_PT11_llSB_llS9_PT12_llPT13_lli
    .private_segment_fixed_size: 0
    .sgpr_count:     42
    .sgpr_spill_count: 0
    .symbol:         _ZN12_GLOBAL__N_127rocblas_gemm_batched_kernelIiLi16ELi16ELi64ELi64ELi4ELi64ELi4ELi4ELi64ELc84ELc78EKPKaKPKiKPiEEvlllT_PT11_llSB_llS9_PT12_llPT13_lli.kd
    .uniform_work_group_size: 1
    .uses_dynamic_stack: false
    .vgpr_count:     94
    .vgpr_spill_count: 0
    .wavefront_size: 32
    .workgroup_processor_mode: 1
  - .args:
      - .offset:         0
        .size:           8
        .value_kind:     by_value
      - .offset:         8
        .size:           8
        .value_kind:     by_value
      - .offset:         16
        .size:           8
        .value_kind:     by_value
      - .offset:         24
        .size:           4
        .value_kind:     by_value
      - .address_space:  global
        .offset:         32
        .size:           8
        .value_kind:     global_buffer
      - .offset:         40
        .size:           8
        .value_kind:     by_value
      - .offset:         48
        .size:           8
        .value_kind:     by_value
      - .address_space:  global
        .offset:         56
        .size:           8
        .value_kind:     global_buffer
      - .offset:         64
        .size:           8
        .value_kind:     by_value
      - .offset:         72
        .size:           8
        .value_kind:     by_value
      - .offset:         80
        .size:           4
        .value_kind:     by_value
      - .address_space:  global
        .offset:         88
        .size:           8
        .value_kind:     global_buffer
      - .offset:         96
        .size:           8
        .value_kind:     by_value
      - .offset:         104
        .size:           8
        .value_kind:     by_value
      - .address_space:  global
        .offset:         112
        .size:           8
        .value_kind:     global_buffer
      - .offset:         120
        .size:           8
        .value_kind:     by_value
      - .offset:         128
        .size:           8
        .value_kind:     by_value
      - .offset:         136
        .size:           4
        .value_kind:     by_value
    .group_segment_fixed_size: 2048
    .kernarg_segment_align: 8
    .kernarg_segment_size: 140
    .language:       OpenCL C
    .language_version:
      - 2
      - 0
    .max_flat_workgroup_size: 256
    .name:           _ZN12_GLOBAL__N_127rocblas_gemm_batched_kernelIiLi16ELi16ELi64ELi64ELi4ELi64ELi4ELi4ELi64ELc78ELc84EKPKaKPKiKPiEEvlllT_PT11_llSB_llS9_PT12_llPT13_lli
    .private_segment_fixed_size: 0
    .sgpr_count:     40
    .sgpr_spill_count: 0
    .symbol:         _ZN12_GLOBAL__N_127rocblas_gemm_batched_kernelIiLi16ELi16ELi64ELi64ELi4ELi64ELi4ELi4ELi64ELc78ELc84EKPKaKPKiKPiEEvlllT_PT11_llSB_llS9_PT12_llPT13_lli.kd
    .uniform_work_group_size: 1
    .uses_dynamic_stack: false
    .vgpr_count:     94
    .vgpr_spill_count: 0
    .wavefront_size: 32
    .workgroup_processor_mode: 1
  - .args:
      - .offset:         0
        .size:           8
        .value_kind:     by_value
      - .offset:         8
        .size:           8
        .value_kind:     by_value
      - .offset:         16
        .size:           8
        .value_kind:     by_value
      - .offset:         24
        .size:           4
        .value_kind:     by_value
      - .address_space:  global
        .offset:         32
        .size:           8
        .value_kind:     global_buffer
      - .offset:         40
        .size:           8
        .value_kind:     by_value
      - .offset:         48
        .size:           8
        .value_kind:     by_value
      - .address_space:  global
        .offset:         56
        .size:           8
        .value_kind:     global_buffer
      - .offset:         64
        .size:           8
        .value_kind:     by_value
      - .offset:         72
        .size:           8
        .value_kind:     by_value
      - .offset:         80
        .size:           4
        .value_kind:     by_value
      - .address_space:  global
        .offset:         88
        .size:           8
        .value_kind:     global_buffer
      - .offset:         96
        .size:           8
        .value_kind:     by_value
      - .offset:         104
        .size:           8
        .value_kind:     by_value
      - .address_space:  global
        .offset:         112
        .size:           8
        .value_kind:     global_buffer
      - .offset:         120
        .size:           8
        .value_kind:     by_value
      - .offset:         128
        .size:           8
        .value_kind:     by_value
      - .offset:         136
        .size:           4
        .value_kind:     by_value
    .group_segment_fixed_size: 2048
    .kernarg_segment_align: 8
    .kernarg_segment_size: 140
    .language:       OpenCL C
    .language_version:
      - 2
      - 0
    .max_flat_workgroup_size: 256
    .name:           _ZN12_GLOBAL__N_127rocblas_gemm_batched_kernelIiLi16ELi16ELi64ELi64ELi4ELi64ELi4ELi4ELi64ELc84ELc84EKPKaKPKiKPiEEvlllT_PT11_llSB_llS9_PT12_llPT13_lli
    .private_segment_fixed_size: 0
    .sgpr_count:     38
    .sgpr_spill_count: 0
    .symbol:         _ZN12_GLOBAL__N_127rocblas_gemm_batched_kernelIiLi16ELi16ELi64ELi64ELi4ELi64ELi4ELi4ELi64ELc84ELc84EKPKaKPKiKPiEEvlllT_PT11_llSB_llS9_PT12_llPT13_lli.kd
    .uniform_work_group_size: 1
    .uses_dynamic_stack: false
    .vgpr_count:     94
    .vgpr_spill_count: 0
    .wavefront_size: 32
    .workgroup_processor_mode: 1
  - .args:
      - .offset:         0
        .size:           8
        .value_kind:     by_value
      - .offset:         8
        .size:           8
        .value_kind:     by_value
      - .offset:         16
        .size:           8
        .value_kind:     by_value
      - .offset:         24
        .size:           4
        .value_kind:     by_value
      - .address_space:  global
        .offset:         32
        .size:           8
        .value_kind:     global_buffer
      - .offset:         40
        .size:           8
        .value_kind:     by_value
      - .offset:         48
        .size:           8
        .value_kind:     by_value
      - .address_space:  global
        .offset:         56
        .size:           8
        .value_kind:     global_buffer
      - .offset:         64
        .size:           8
        .value_kind:     by_value
      - .offset:         72
        .size:           8
        .value_kind:     by_value
      - .offset:         80
        .size:           4
        .value_kind:     by_value
      - .address_space:  global
        .offset:         88
        .size:           8
        .value_kind:     global_buffer
      - .offset:         96
        .size:           8
        .value_kind:     by_value
      - .offset:         104
        .size:           8
        .value_kind:     by_value
      - .address_space:  global
        .offset:         112
        .size:           8
        .value_kind:     global_buffer
      - .offset:         120
        .size:           8
        .value_kind:     by_value
      - .offset:         128
        .size:           8
        .value_kind:     by_value
      - .offset:         136
        .size:           4
        .value_kind:     by_value
    .group_segment_fixed_size: 2048
    .kernarg_segment_align: 8
    .kernarg_segment_size: 140
    .language:       OpenCL C
    .language_version:
      - 2
      - 0
    .max_flat_workgroup_size: 256
    .name:           _ZN12_GLOBAL__N_127rocblas_gemm_batched_kernelIiLi16ELi16ELi64ELi64ELi4ELi64ELi4ELi4ELi64ELc67ELc67EKPKaKPKiKPiEEvlllT_PT11_llSB_llS9_PT12_llPT13_lli
    .private_segment_fixed_size: 0
    .sgpr_count:     38
    .sgpr_spill_count: 0
    .symbol:         _ZN12_GLOBAL__N_127rocblas_gemm_batched_kernelIiLi16ELi16ELi64ELi64ELi4ELi64ELi4ELi4ELi64ELc67ELc67EKPKaKPKiKPiEEvlllT_PT11_llSB_llS9_PT12_llPT13_lli.kd
    .uniform_work_group_size: 1
    .uses_dynamic_stack: false
    .vgpr_count:     94
    .vgpr_spill_count: 0
    .wavefront_size: 32
    .workgroup_processor_mode: 1
  - .args:
      - .offset:         0
        .size:           8
        .value_kind:     by_value
      - .offset:         8
        .size:           8
        .value_kind:     by_value
      - .offset:         16
        .size:           8
        .value_kind:     by_value
      - .offset:         24
        .size:           4
        .value_kind:     by_value
      - .address_space:  global
        .offset:         32
        .size:           8
        .value_kind:     global_buffer
      - .offset:         40
        .size:           8
        .value_kind:     by_value
      - .offset:         48
        .size:           8
        .value_kind:     by_value
      - .address_space:  global
        .offset:         56
        .size:           8
        .value_kind:     global_buffer
      - .offset:         64
        .size:           8
        .value_kind:     by_value
      - .offset:         72
        .size:           8
        .value_kind:     by_value
      - .offset:         80
        .size:           4
        .value_kind:     by_value
      - .address_space:  global
        .offset:         88
        .size:           8
        .value_kind:     global_buffer
      - .offset:         96
        .size:           8
        .value_kind:     by_value
      - .offset:         104
        .size:           8
        .value_kind:     by_value
      - .address_space:  global
        .offset:         112
        .size:           8
        .value_kind:     global_buffer
      - .offset:         120
        .size:           8
        .value_kind:     by_value
      - .offset:         128
        .size:           8
        .value_kind:     by_value
      - .offset:         136
        .size:           4
        .value_kind:     by_value
    .group_segment_fixed_size: 2048
    .kernarg_segment_align: 8
    .kernarg_segment_size: 140
    .language:       OpenCL C
    .language_version:
      - 2
      - 0
    .max_flat_workgroup_size: 256
    .name:           _ZN12_GLOBAL__N_127rocblas_gemm_batched_kernelIiLi16ELi16ELi64ELi64ELi4ELi64ELi4ELi4ELi64ELc67ELc78EKPKaKPKiKPiEEvlllT_PT11_llSB_llS9_PT12_llPT13_lli
    .private_segment_fixed_size: 0
    .sgpr_count:     42
    .sgpr_spill_count: 0
    .symbol:         _ZN12_GLOBAL__N_127rocblas_gemm_batched_kernelIiLi16ELi16ELi64ELi64ELi4ELi64ELi4ELi4ELi64ELc67ELc78EKPKaKPKiKPiEEvlllT_PT11_llSB_llS9_PT12_llPT13_lli.kd
    .uniform_work_group_size: 1
    .uses_dynamic_stack: false
    .vgpr_count:     94
    .vgpr_spill_count: 0
    .wavefront_size: 32
    .workgroup_processor_mode: 1
  - .args:
      - .offset:         0
        .size:           8
        .value_kind:     by_value
      - .offset:         8
        .size:           8
        .value_kind:     by_value
      - .offset:         16
        .size:           8
        .value_kind:     by_value
      - .offset:         24
        .size:           4
        .value_kind:     by_value
      - .address_space:  global
        .offset:         32
        .size:           8
        .value_kind:     global_buffer
      - .offset:         40
        .size:           8
        .value_kind:     by_value
      - .offset:         48
        .size:           8
        .value_kind:     by_value
      - .address_space:  global
        .offset:         56
        .size:           8
        .value_kind:     global_buffer
      - .offset:         64
        .size:           8
        .value_kind:     by_value
      - .offset:         72
        .size:           8
        .value_kind:     by_value
      - .offset:         80
        .size:           4
        .value_kind:     by_value
      - .address_space:  global
        .offset:         88
        .size:           8
        .value_kind:     global_buffer
      - .offset:         96
        .size:           8
        .value_kind:     by_value
      - .offset:         104
        .size:           8
        .value_kind:     by_value
      - .address_space:  global
        .offset:         112
        .size:           8
        .value_kind:     global_buffer
      - .offset:         120
        .size:           8
        .value_kind:     by_value
      - .offset:         128
        .size:           8
        .value_kind:     by_value
      - .offset:         136
        .size:           4
        .value_kind:     by_value
    .group_segment_fixed_size: 2048
    .kernarg_segment_align: 8
    .kernarg_segment_size: 140
    .language:       OpenCL C
    .language_version:
      - 2
      - 0
    .max_flat_workgroup_size: 256
    .name:           _ZN12_GLOBAL__N_127rocblas_gemm_batched_kernelIiLi16ELi16ELi64ELi64ELi4ELi64ELi4ELi4ELi64ELc67ELc84EKPKaKPKiKPiEEvlllT_PT11_llSB_llS9_PT12_llPT13_lli
    .private_segment_fixed_size: 0
    .sgpr_count:     38
    .sgpr_spill_count: 0
    .symbol:         _ZN12_GLOBAL__N_127rocblas_gemm_batched_kernelIiLi16ELi16ELi64ELi64ELi4ELi64ELi4ELi4ELi64ELc67ELc84EKPKaKPKiKPiEEvlllT_PT11_llSB_llS9_PT12_llPT13_lli.kd
    .uniform_work_group_size: 1
    .uses_dynamic_stack: false
    .vgpr_count:     94
    .vgpr_spill_count: 0
    .wavefront_size: 32
    .workgroup_processor_mode: 1
  - .args:
      - .offset:         0
        .size:           8
        .value_kind:     by_value
      - .offset:         8
        .size:           8
        .value_kind:     by_value
      - .offset:         16
        .size:           8
        .value_kind:     by_value
      - .offset:         24
        .size:           4
        .value_kind:     by_value
      - .address_space:  global
        .offset:         32
        .size:           8
        .value_kind:     global_buffer
      - .offset:         40
        .size:           8
        .value_kind:     by_value
      - .offset:         48
        .size:           8
        .value_kind:     by_value
      - .address_space:  global
        .offset:         56
        .size:           8
        .value_kind:     global_buffer
      - .offset:         64
        .size:           8
        .value_kind:     by_value
      - .offset:         72
        .size:           8
        .value_kind:     by_value
      - .offset:         80
        .size:           4
        .value_kind:     by_value
      - .address_space:  global
        .offset:         88
        .size:           8
        .value_kind:     global_buffer
      - .offset:         96
        .size:           8
        .value_kind:     by_value
      - .offset:         104
        .size:           8
        .value_kind:     by_value
      - .address_space:  global
        .offset:         112
        .size:           8
        .value_kind:     global_buffer
      - .offset:         120
        .size:           8
        .value_kind:     by_value
      - .offset:         128
        .size:           8
        .value_kind:     by_value
      - .offset:         136
        .size:           4
        .value_kind:     by_value
    .group_segment_fixed_size: 2048
    .kernarg_segment_align: 8
    .kernarg_segment_size: 140
    .language:       OpenCL C
    .language_version:
      - 2
      - 0
    .max_flat_workgroup_size: 256
    .name:           _ZN12_GLOBAL__N_127rocblas_gemm_batched_kernelIiLi16ELi16ELi64ELi64ELi4ELi64ELi4ELi4ELi64ELc78ELc67EKPKaKPKiKPiEEvlllT_PT11_llSB_llS9_PT12_llPT13_lli
    .private_segment_fixed_size: 0
    .sgpr_count:     40
    .sgpr_spill_count: 0
    .symbol:         _ZN12_GLOBAL__N_127rocblas_gemm_batched_kernelIiLi16ELi16ELi64ELi64ELi4ELi64ELi4ELi4ELi64ELc78ELc67EKPKaKPKiKPiEEvlllT_PT11_llSB_llS9_PT12_llPT13_lli.kd
    .uniform_work_group_size: 1
    .uses_dynamic_stack: false
    .vgpr_count:     94
    .vgpr_spill_count: 0
    .wavefront_size: 32
    .workgroup_processor_mode: 1
  - .args:
      - .offset:         0
        .size:           8
        .value_kind:     by_value
      - .offset:         8
        .size:           8
        .value_kind:     by_value
      - .offset:         16
        .size:           8
        .value_kind:     by_value
      - .offset:         24
        .size:           4
        .value_kind:     by_value
      - .address_space:  global
        .offset:         32
        .size:           8
        .value_kind:     global_buffer
      - .offset:         40
        .size:           8
        .value_kind:     by_value
      - .offset:         48
        .size:           8
        .value_kind:     by_value
      - .address_space:  global
        .offset:         56
        .size:           8
        .value_kind:     global_buffer
      - .offset:         64
        .size:           8
        .value_kind:     by_value
      - .offset:         72
        .size:           8
        .value_kind:     by_value
      - .offset:         80
        .size:           4
        .value_kind:     by_value
      - .address_space:  global
        .offset:         88
        .size:           8
        .value_kind:     global_buffer
      - .offset:         96
        .size:           8
        .value_kind:     by_value
      - .offset:         104
        .size:           8
        .value_kind:     by_value
      - .address_space:  global
        .offset:         112
        .size:           8
        .value_kind:     global_buffer
      - .offset:         120
        .size:           8
        .value_kind:     by_value
      - .offset:         128
        .size:           8
        .value_kind:     by_value
      - .offset:         136
        .size:           4
        .value_kind:     by_value
    .group_segment_fixed_size: 2048
    .kernarg_segment_align: 8
    .kernarg_segment_size: 140
    .language:       OpenCL C
    .language_version:
      - 2
      - 0
    .max_flat_workgroup_size: 256
    .name:           _ZN12_GLOBAL__N_127rocblas_gemm_batched_kernelIiLi16ELi16ELi64ELi64ELi4ELi64ELi4ELi4ELi64ELc84ELc67EKPKaKPKiKPiEEvlllT_PT11_llSB_llS9_PT12_llPT13_lli
    .private_segment_fixed_size: 0
    .sgpr_count:     38
    .sgpr_spill_count: 0
    .symbol:         _ZN12_GLOBAL__N_127rocblas_gemm_batched_kernelIiLi16ELi16ELi64ELi64ELi4ELi64ELi4ELi4ELi64ELc84ELc67EKPKaKPKiKPiEEvlllT_PT11_llSB_llS9_PT12_llPT13_lli.kd
    .uniform_work_group_size: 1
    .uses_dynamic_stack: false
    .vgpr_count:     94
    .vgpr_spill_count: 0
    .wavefront_size: 32
    .workgroup_processor_mode: 1
  - .args:
      - .offset:         0
        .size:           8
        .value_kind:     by_value
      - .offset:         8
        .size:           8
        .value_kind:     by_value
      - .offset:         16
        .size:           8
        .value_kind:     by_value
      - .offset:         24
        .size:           4
        .value_kind:     by_value
      - .address_space:  global
        .offset:         32
        .size:           8
        .value_kind:     global_buffer
      - .offset:         40
        .size:           8
        .value_kind:     by_value
      - .offset:         48
        .size:           8
        .value_kind:     by_value
      - .address_space:  global
        .offset:         56
        .size:           8
        .value_kind:     global_buffer
      - .offset:         64
        .size:           8
        .value_kind:     by_value
      - .offset:         72
        .size:           8
        .value_kind:     by_value
      - .offset:         80
        .size:           4
        .value_kind:     by_value
      - .address_space:  global
        .offset:         88
        .size:           8
        .value_kind:     global_buffer
      - .offset:         96
        .size:           8
        .value_kind:     by_value
      - .offset:         104
        .size:           8
        .value_kind:     by_value
      - .address_space:  global
        .offset:         112
        .size:           8
        .value_kind:     global_buffer
      - .offset:         120
        .size:           8
        .value_kind:     by_value
      - .offset:         128
        .size:           8
        .value_kind:     by_value
      - .offset:         136
        .size:           4
        .value_kind:     by_value
    .group_segment_fixed_size: 2048
    .kernarg_segment_align: 8
    .kernarg_segment_size: 140
    .language:       OpenCL C
    .language_version:
      - 2
      - 0
    .max_flat_workgroup_size: 256
    .name:           _ZN12_GLOBAL__N_127rocblas_gemm_batched_kernelIiLi16ELi16ELi32ELi32ELi8ELi32ELi8ELi8ELi32ELc78ELc78EKPKaKPKiKPiEEvlllT_PT11_llSB_llS9_PT12_llPT13_lli
    .private_segment_fixed_size: 0
    .sgpr_count:     40
    .sgpr_spill_count: 0
    .symbol:         _ZN12_GLOBAL__N_127rocblas_gemm_batched_kernelIiLi16ELi16ELi32ELi32ELi8ELi32ELi8ELi8ELi32ELc78ELc78EKPKaKPKiKPiEEvlllT_PT11_llSB_llS9_PT12_llPT13_lli.kd
    .uniform_work_group_size: 1
    .uses_dynamic_stack: false
    .vgpr_count:     47
    .vgpr_spill_count: 0
    .wavefront_size: 32
    .workgroup_processor_mode: 1
  - .args:
      - .offset:         0
        .size:           8
        .value_kind:     by_value
      - .offset:         8
        .size:           8
        .value_kind:     by_value
      - .offset:         16
        .size:           8
        .value_kind:     by_value
      - .offset:         24
        .size:           4
        .value_kind:     by_value
      - .address_space:  global
        .offset:         32
        .size:           8
        .value_kind:     global_buffer
      - .offset:         40
        .size:           8
        .value_kind:     by_value
      - .offset:         48
        .size:           8
        .value_kind:     by_value
      - .address_space:  global
        .offset:         56
        .size:           8
        .value_kind:     global_buffer
      - .offset:         64
        .size:           8
        .value_kind:     by_value
      - .offset:         72
        .size:           8
        .value_kind:     by_value
      - .offset:         80
        .size:           4
        .value_kind:     by_value
      - .address_space:  global
        .offset:         88
        .size:           8
        .value_kind:     global_buffer
      - .offset:         96
        .size:           8
        .value_kind:     by_value
      - .offset:         104
        .size:           8
        .value_kind:     by_value
      - .address_space:  global
        .offset:         112
        .size:           8
        .value_kind:     global_buffer
      - .offset:         120
        .size:           8
        .value_kind:     by_value
      - .offset:         128
        .size:           8
        .value_kind:     by_value
      - .offset:         136
        .size:           4
        .value_kind:     by_value
    .group_segment_fixed_size: 2048
    .kernarg_segment_align: 8
    .kernarg_segment_size: 140
    .language:       OpenCL C
    .language_version:
      - 2
      - 0
    .max_flat_workgroup_size: 256
    .name:           _ZN12_GLOBAL__N_127rocblas_gemm_batched_kernelIiLi16ELi16ELi32ELi32ELi8ELi32ELi8ELi8ELi32ELc84ELc78EKPKaKPKiKPiEEvlllT_PT11_llSB_llS9_PT12_llPT13_lli
    .private_segment_fixed_size: 0
    .sgpr_count:     42
    .sgpr_spill_count: 0
    .symbol:         _ZN12_GLOBAL__N_127rocblas_gemm_batched_kernelIiLi16ELi16ELi32ELi32ELi8ELi32ELi8ELi8ELi32ELc84ELc78EKPKaKPKiKPiEEvlllT_PT11_llSB_llS9_PT12_llPT13_lli.kd
    .uniform_work_group_size: 1
    .uses_dynamic_stack: false
    .vgpr_count:     47
    .vgpr_spill_count: 0
    .wavefront_size: 32
    .workgroup_processor_mode: 1
  - .args:
      - .offset:         0
        .size:           8
        .value_kind:     by_value
      - .offset:         8
        .size:           8
        .value_kind:     by_value
      - .offset:         16
        .size:           8
        .value_kind:     by_value
      - .offset:         24
        .size:           4
        .value_kind:     by_value
      - .address_space:  global
        .offset:         32
        .size:           8
        .value_kind:     global_buffer
      - .offset:         40
        .size:           8
        .value_kind:     by_value
      - .offset:         48
        .size:           8
        .value_kind:     by_value
      - .address_space:  global
        .offset:         56
        .size:           8
        .value_kind:     global_buffer
      - .offset:         64
        .size:           8
        .value_kind:     by_value
      - .offset:         72
        .size:           8
        .value_kind:     by_value
      - .offset:         80
        .size:           4
        .value_kind:     by_value
      - .address_space:  global
        .offset:         88
        .size:           8
        .value_kind:     global_buffer
      - .offset:         96
        .size:           8
        .value_kind:     by_value
      - .offset:         104
        .size:           8
        .value_kind:     by_value
      - .address_space:  global
        .offset:         112
        .size:           8
        .value_kind:     global_buffer
      - .offset:         120
        .size:           8
        .value_kind:     by_value
      - .offset:         128
        .size:           8
        .value_kind:     by_value
      - .offset:         136
        .size:           4
        .value_kind:     by_value
    .group_segment_fixed_size: 2048
    .kernarg_segment_align: 8
    .kernarg_segment_size: 140
    .language:       OpenCL C
    .language_version:
      - 2
      - 0
    .max_flat_workgroup_size: 256
    .name:           _ZN12_GLOBAL__N_127rocblas_gemm_batched_kernelIiLi16ELi16ELi32ELi32ELi8ELi32ELi8ELi8ELi32ELc78ELc84EKPKaKPKiKPiEEvlllT_PT11_llSB_llS9_PT12_llPT13_lli
    .private_segment_fixed_size: 0
    .sgpr_count:     40
    .sgpr_spill_count: 0
    .symbol:         _ZN12_GLOBAL__N_127rocblas_gemm_batched_kernelIiLi16ELi16ELi32ELi32ELi8ELi32ELi8ELi8ELi32ELc78ELc84EKPKaKPKiKPiEEvlllT_PT11_llSB_llS9_PT12_llPT13_lli.kd
    .uniform_work_group_size: 1
    .uses_dynamic_stack: false
    .vgpr_count:     47
    .vgpr_spill_count: 0
    .wavefront_size: 32
    .workgroup_processor_mode: 1
  - .args:
      - .offset:         0
        .size:           8
        .value_kind:     by_value
      - .offset:         8
        .size:           8
        .value_kind:     by_value
      - .offset:         16
        .size:           8
        .value_kind:     by_value
      - .offset:         24
        .size:           4
        .value_kind:     by_value
      - .address_space:  global
        .offset:         32
        .size:           8
        .value_kind:     global_buffer
      - .offset:         40
        .size:           8
        .value_kind:     by_value
      - .offset:         48
        .size:           8
        .value_kind:     by_value
      - .address_space:  global
        .offset:         56
        .size:           8
        .value_kind:     global_buffer
      - .offset:         64
        .size:           8
        .value_kind:     by_value
      - .offset:         72
        .size:           8
        .value_kind:     by_value
      - .offset:         80
        .size:           4
        .value_kind:     by_value
      - .address_space:  global
        .offset:         88
        .size:           8
        .value_kind:     global_buffer
      - .offset:         96
        .size:           8
        .value_kind:     by_value
      - .offset:         104
        .size:           8
        .value_kind:     by_value
      - .address_space:  global
        .offset:         112
        .size:           8
        .value_kind:     global_buffer
      - .offset:         120
        .size:           8
        .value_kind:     by_value
      - .offset:         128
        .size:           8
        .value_kind:     by_value
      - .offset:         136
        .size:           4
        .value_kind:     by_value
    .group_segment_fixed_size: 2048
    .kernarg_segment_align: 8
    .kernarg_segment_size: 140
    .language:       OpenCL C
    .language_version:
      - 2
      - 0
    .max_flat_workgroup_size: 256
    .name:           _ZN12_GLOBAL__N_127rocblas_gemm_batched_kernelIiLi16ELi16ELi32ELi32ELi8ELi32ELi8ELi8ELi32ELc84ELc84EKPKaKPKiKPiEEvlllT_PT11_llSB_llS9_PT12_llPT13_lli
    .private_segment_fixed_size: 0
    .sgpr_count:     38
    .sgpr_spill_count: 0
    .symbol:         _ZN12_GLOBAL__N_127rocblas_gemm_batched_kernelIiLi16ELi16ELi32ELi32ELi8ELi32ELi8ELi8ELi32ELc84ELc84EKPKaKPKiKPiEEvlllT_PT11_llSB_llS9_PT12_llPT13_lli.kd
    .uniform_work_group_size: 1
    .uses_dynamic_stack: false
    .vgpr_count:     47
    .vgpr_spill_count: 0
    .wavefront_size: 32
    .workgroup_processor_mode: 1
  - .args:
      - .offset:         0
        .size:           8
        .value_kind:     by_value
      - .offset:         8
        .size:           8
        .value_kind:     by_value
      - .offset:         16
        .size:           8
        .value_kind:     by_value
      - .offset:         24
        .size:           4
        .value_kind:     by_value
      - .address_space:  global
        .offset:         32
        .size:           8
        .value_kind:     global_buffer
      - .offset:         40
        .size:           8
        .value_kind:     by_value
      - .offset:         48
        .size:           8
        .value_kind:     by_value
      - .address_space:  global
        .offset:         56
        .size:           8
        .value_kind:     global_buffer
      - .offset:         64
        .size:           8
        .value_kind:     by_value
      - .offset:         72
        .size:           8
        .value_kind:     by_value
      - .offset:         80
        .size:           4
        .value_kind:     by_value
      - .address_space:  global
        .offset:         88
        .size:           8
        .value_kind:     global_buffer
      - .offset:         96
        .size:           8
        .value_kind:     by_value
      - .offset:         104
        .size:           8
        .value_kind:     by_value
      - .address_space:  global
        .offset:         112
        .size:           8
        .value_kind:     global_buffer
      - .offset:         120
        .size:           8
        .value_kind:     by_value
      - .offset:         128
        .size:           8
        .value_kind:     by_value
      - .offset:         136
        .size:           4
        .value_kind:     by_value
    .group_segment_fixed_size: 2048
    .kernarg_segment_align: 8
    .kernarg_segment_size: 140
    .language:       OpenCL C
    .language_version:
      - 2
      - 0
    .max_flat_workgroup_size: 256
    .name:           _ZN12_GLOBAL__N_127rocblas_gemm_batched_kernelIiLi16ELi16ELi32ELi32ELi8ELi32ELi8ELi8ELi32ELc67ELc67EKPKaKPKiKPiEEvlllT_PT11_llSB_llS9_PT12_llPT13_lli
    .private_segment_fixed_size: 0
    .sgpr_count:     38
    .sgpr_spill_count: 0
    .symbol:         _ZN12_GLOBAL__N_127rocblas_gemm_batched_kernelIiLi16ELi16ELi32ELi32ELi8ELi32ELi8ELi8ELi32ELc67ELc67EKPKaKPKiKPiEEvlllT_PT11_llSB_llS9_PT12_llPT13_lli.kd
    .uniform_work_group_size: 1
    .uses_dynamic_stack: false
    .vgpr_count:     47
    .vgpr_spill_count: 0
    .wavefront_size: 32
    .workgroup_processor_mode: 1
  - .args:
      - .offset:         0
        .size:           8
        .value_kind:     by_value
      - .offset:         8
        .size:           8
        .value_kind:     by_value
      - .offset:         16
        .size:           8
        .value_kind:     by_value
      - .offset:         24
        .size:           4
        .value_kind:     by_value
      - .address_space:  global
        .offset:         32
        .size:           8
        .value_kind:     global_buffer
      - .offset:         40
        .size:           8
        .value_kind:     by_value
      - .offset:         48
        .size:           8
        .value_kind:     by_value
      - .address_space:  global
        .offset:         56
        .size:           8
        .value_kind:     global_buffer
      - .offset:         64
        .size:           8
        .value_kind:     by_value
      - .offset:         72
        .size:           8
        .value_kind:     by_value
      - .offset:         80
        .size:           4
        .value_kind:     by_value
      - .address_space:  global
        .offset:         88
        .size:           8
        .value_kind:     global_buffer
      - .offset:         96
        .size:           8
        .value_kind:     by_value
      - .offset:         104
        .size:           8
        .value_kind:     by_value
      - .address_space:  global
        .offset:         112
        .size:           8
        .value_kind:     global_buffer
      - .offset:         120
        .size:           8
        .value_kind:     by_value
      - .offset:         128
        .size:           8
        .value_kind:     by_value
      - .offset:         136
        .size:           4
        .value_kind:     by_value
    .group_segment_fixed_size: 2048
    .kernarg_segment_align: 8
    .kernarg_segment_size: 140
    .language:       OpenCL C
    .language_version:
      - 2
      - 0
    .max_flat_workgroup_size: 256
    .name:           _ZN12_GLOBAL__N_127rocblas_gemm_batched_kernelIiLi16ELi16ELi32ELi32ELi8ELi32ELi8ELi8ELi32ELc67ELc78EKPKaKPKiKPiEEvlllT_PT11_llSB_llS9_PT12_llPT13_lli
    .private_segment_fixed_size: 0
    .sgpr_count:     42
    .sgpr_spill_count: 0
    .symbol:         _ZN12_GLOBAL__N_127rocblas_gemm_batched_kernelIiLi16ELi16ELi32ELi32ELi8ELi32ELi8ELi8ELi32ELc67ELc78EKPKaKPKiKPiEEvlllT_PT11_llSB_llS9_PT12_llPT13_lli.kd
    .uniform_work_group_size: 1
    .uses_dynamic_stack: false
    .vgpr_count:     47
    .vgpr_spill_count: 0
    .wavefront_size: 32
    .workgroup_processor_mode: 1
  - .args:
      - .offset:         0
        .size:           8
        .value_kind:     by_value
      - .offset:         8
        .size:           8
        .value_kind:     by_value
      - .offset:         16
        .size:           8
        .value_kind:     by_value
      - .offset:         24
        .size:           4
        .value_kind:     by_value
      - .address_space:  global
        .offset:         32
        .size:           8
        .value_kind:     global_buffer
      - .offset:         40
        .size:           8
        .value_kind:     by_value
      - .offset:         48
        .size:           8
        .value_kind:     by_value
      - .address_space:  global
        .offset:         56
        .size:           8
        .value_kind:     global_buffer
      - .offset:         64
        .size:           8
        .value_kind:     by_value
      - .offset:         72
        .size:           8
        .value_kind:     by_value
      - .offset:         80
        .size:           4
        .value_kind:     by_value
      - .address_space:  global
        .offset:         88
        .size:           8
        .value_kind:     global_buffer
      - .offset:         96
        .size:           8
        .value_kind:     by_value
      - .offset:         104
        .size:           8
        .value_kind:     by_value
      - .address_space:  global
        .offset:         112
        .size:           8
        .value_kind:     global_buffer
      - .offset:         120
        .size:           8
        .value_kind:     by_value
      - .offset:         128
        .size:           8
        .value_kind:     by_value
      - .offset:         136
        .size:           4
        .value_kind:     by_value
    .group_segment_fixed_size: 2048
    .kernarg_segment_align: 8
    .kernarg_segment_size: 140
    .language:       OpenCL C
    .language_version:
      - 2
      - 0
    .max_flat_workgroup_size: 256
    .name:           _ZN12_GLOBAL__N_127rocblas_gemm_batched_kernelIiLi16ELi16ELi32ELi32ELi8ELi32ELi8ELi8ELi32ELc67ELc84EKPKaKPKiKPiEEvlllT_PT11_llSB_llS9_PT12_llPT13_lli
    .private_segment_fixed_size: 0
    .sgpr_count:     38
    .sgpr_spill_count: 0
    .symbol:         _ZN12_GLOBAL__N_127rocblas_gemm_batched_kernelIiLi16ELi16ELi32ELi32ELi8ELi32ELi8ELi8ELi32ELc67ELc84EKPKaKPKiKPiEEvlllT_PT11_llSB_llS9_PT12_llPT13_lli.kd
    .uniform_work_group_size: 1
    .uses_dynamic_stack: false
    .vgpr_count:     47
    .vgpr_spill_count: 0
    .wavefront_size: 32
    .workgroup_processor_mode: 1
  - .args:
      - .offset:         0
        .size:           8
        .value_kind:     by_value
      - .offset:         8
        .size:           8
        .value_kind:     by_value
      - .offset:         16
        .size:           8
        .value_kind:     by_value
      - .offset:         24
        .size:           4
        .value_kind:     by_value
      - .address_space:  global
        .offset:         32
        .size:           8
        .value_kind:     global_buffer
      - .offset:         40
        .size:           8
        .value_kind:     by_value
      - .offset:         48
        .size:           8
        .value_kind:     by_value
      - .address_space:  global
        .offset:         56
        .size:           8
        .value_kind:     global_buffer
      - .offset:         64
        .size:           8
        .value_kind:     by_value
      - .offset:         72
        .size:           8
        .value_kind:     by_value
      - .offset:         80
        .size:           4
        .value_kind:     by_value
      - .address_space:  global
        .offset:         88
        .size:           8
        .value_kind:     global_buffer
      - .offset:         96
        .size:           8
        .value_kind:     by_value
      - .offset:         104
        .size:           8
        .value_kind:     by_value
      - .address_space:  global
        .offset:         112
        .size:           8
        .value_kind:     global_buffer
      - .offset:         120
        .size:           8
        .value_kind:     by_value
      - .offset:         128
        .size:           8
        .value_kind:     by_value
      - .offset:         136
        .size:           4
        .value_kind:     by_value
    .group_segment_fixed_size: 2048
    .kernarg_segment_align: 8
    .kernarg_segment_size: 140
    .language:       OpenCL C
    .language_version:
      - 2
      - 0
    .max_flat_workgroup_size: 256
    .name:           _ZN12_GLOBAL__N_127rocblas_gemm_batched_kernelIiLi16ELi16ELi32ELi32ELi8ELi32ELi8ELi8ELi32ELc78ELc67EKPKaKPKiKPiEEvlllT_PT11_llSB_llS9_PT12_llPT13_lli
    .private_segment_fixed_size: 0
    .sgpr_count:     40
    .sgpr_spill_count: 0
    .symbol:         _ZN12_GLOBAL__N_127rocblas_gemm_batched_kernelIiLi16ELi16ELi32ELi32ELi8ELi32ELi8ELi8ELi32ELc78ELc67EKPKaKPKiKPiEEvlllT_PT11_llSB_llS9_PT12_llPT13_lli.kd
    .uniform_work_group_size: 1
    .uses_dynamic_stack: false
    .vgpr_count:     47
    .vgpr_spill_count: 0
    .wavefront_size: 32
    .workgroup_processor_mode: 1
  - .args:
      - .offset:         0
        .size:           8
        .value_kind:     by_value
      - .offset:         8
        .size:           8
        .value_kind:     by_value
      - .offset:         16
        .size:           8
        .value_kind:     by_value
      - .offset:         24
        .size:           4
        .value_kind:     by_value
      - .address_space:  global
        .offset:         32
        .size:           8
        .value_kind:     global_buffer
      - .offset:         40
        .size:           8
        .value_kind:     by_value
      - .offset:         48
        .size:           8
        .value_kind:     by_value
      - .address_space:  global
        .offset:         56
        .size:           8
        .value_kind:     global_buffer
      - .offset:         64
        .size:           8
        .value_kind:     by_value
      - .offset:         72
        .size:           8
        .value_kind:     by_value
      - .offset:         80
        .size:           4
        .value_kind:     by_value
      - .address_space:  global
        .offset:         88
        .size:           8
        .value_kind:     global_buffer
      - .offset:         96
        .size:           8
        .value_kind:     by_value
      - .offset:         104
        .size:           8
        .value_kind:     by_value
      - .address_space:  global
        .offset:         112
        .size:           8
        .value_kind:     global_buffer
      - .offset:         120
        .size:           8
        .value_kind:     by_value
      - .offset:         128
        .size:           8
        .value_kind:     by_value
      - .offset:         136
        .size:           4
        .value_kind:     by_value
    .group_segment_fixed_size: 2048
    .kernarg_segment_align: 8
    .kernarg_segment_size: 140
    .language:       OpenCL C
    .language_version:
      - 2
      - 0
    .max_flat_workgroup_size: 256
    .name:           _ZN12_GLOBAL__N_127rocblas_gemm_batched_kernelIiLi16ELi16ELi32ELi32ELi8ELi32ELi8ELi8ELi32ELc84ELc67EKPKaKPKiKPiEEvlllT_PT11_llSB_llS9_PT12_llPT13_lli
    .private_segment_fixed_size: 0
    .sgpr_count:     38
    .sgpr_spill_count: 0
    .symbol:         _ZN12_GLOBAL__N_127rocblas_gemm_batched_kernelIiLi16ELi16ELi32ELi32ELi8ELi32ELi8ELi8ELi32ELc84ELc67EKPKaKPKiKPiEEvlllT_PT11_llSB_llS9_PT12_llPT13_lli.kd
    .uniform_work_group_size: 1
    .uses_dynamic_stack: false
    .vgpr_count:     47
    .vgpr_spill_count: 0
    .wavefront_size: 32
    .workgroup_processor_mode: 1
  - .args:
      - .offset:         0
        .size:           8
        .value_kind:     by_value
      - .offset:         8
        .size:           8
        .value_kind:     by_value
      - .offset:         16
        .size:           8
        .value_kind:     by_value
      - .offset:         24
        .size:           4
        .value_kind:     by_value
      - .address_space:  global
        .offset:         32
        .size:           8
        .value_kind:     global_buffer
      - .offset:         40
        .size:           8
        .value_kind:     by_value
      - .offset:         48
        .size:           8
        .value_kind:     by_value
      - .address_space:  global
        .offset:         56
        .size:           8
        .value_kind:     global_buffer
      - .offset:         64
        .size:           8
        .value_kind:     by_value
      - .offset:         72
        .size:           8
        .value_kind:     by_value
      - .offset:         80
        .size:           4
        .value_kind:     by_value
      - .address_space:  global
        .offset:         88
        .size:           8
        .value_kind:     global_buffer
      - .offset:         96
        .size:           8
        .value_kind:     by_value
      - .offset:         104
        .size:           8
        .value_kind:     by_value
      - .address_space:  global
        .offset:         112
        .size:           8
        .value_kind:     global_buffer
      - .offset:         120
        .size:           8
        .value_kind:     by_value
      - .offset:         128
        .size:           8
        .value_kind:     by_value
      - .offset:         136
        .size:           4
        .value_kind:     by_value
    .group_segment_fixed_size: 2048
    .kernarg_segment_align: 8
    .kernarg_segment_size: 140
    .language:       OpenCL C
    .language_version:
      - 2
      - 0
    .max_flat_workgroup_size: 256
    .name:           _ZN12_GLOBAL__N_135rocblas_gemm_batched_general_kernelIiLi16ELi16ELi32ELi32ELi8ELi32ELi8ELi8ELi32ELc78ELc78EKPKaKPKiKPiEEvlllT_PT11_llSB_llS9_PT12_llPT13_lli
    .private_segment_fixed_size: 0
    .sgpr_count:     42
    .sgpr_spill_count: 0
    .symbol:         _ZN12_GLOBAL__N_135rocblas_gemm_batched_general_kernelIiLi16ELi16ELi32ELi32ELi8ELi32ELi8ELi8ELi32ELc78ELc78EKPKaKPKiKPiEEvlllT_PT11_llSB_llS9_PT12_llPT13_lli.kd
    .uniform_work_group_size: 1
    .uses_dynamic_stack: false
    .vgpr_count:     45
    .vgpr_spill_count: 0
    .wavefront_size: 32
    .workgroup_processor_mode: 1
  - .args:
      - .offset:         0
        .size:           8
        .value_kind:     by_value
      - .offset:         8
        .size:           8
        .value_kind:     by_value
      - .offset:         16
        .size:           8
        .value_kind:     by_value
      - .offset:         24
        .size:           4
        .value_kind:     by_value
      - .address_space:  global
        .offset:         32
        .size:           8
        .value_kind:     global_buffer
      - .offset:         40
        .size:           8
        .value_kind:     by_value
      - .offset:         48
        .size:           8
        .value_kind:     by_value
      - .address_space:  global
        .offset:         56
        .size:           8
        .value_kind:     global_buffer
      - .offset:         64
        .size:           8
        .value_kind:     by_value
      - .offset:         72
        .size:           8
        .value_kind:     by_value
      - .offset:         80
        .size:           4
        .value_kind:     by_value
      - .address_space:  global
        .offset:         88
        .size:           8
        .value_kind:     global_buffer
      - .offset:         96
        .size:           8
        .value_kind:     by_value
      - .offset:         104
        .size:           8
        .value_kind:     by_value
      - .address_space:  global
        .offset:         112
        .size:           8
        .value_kind:     global_buffer
      - .offset:         120
        .size:           8
        .value_kind:     by_value
      - .offset:         128
        .size:           8
        .value_kind:     by_value
      - .offset:         136
        .size:           4
        .value_kind:     by_value
    .group_segment_fixed_size: 2048
    .kernarg_segment_align: 8
    .kernarg_segment_size: 140
    .language:       OpenCL C
    .language_version:
      - 2
      - 0
    .max_flat_workgroup_size: 256
    .name:           _ZN12_GLOBAL__N_135rocblas_gemm_batched_general_kernelIiLi16ELi16ELi32ELi32ELi8ELi32ELi8ELi8ELi32ELc84ELc78EKPKaKPKiKPiEEvlllT_PT11_llSB_llS9_PT12_llPT13_lli
    .private_segment_fixed_size: 0
    .sgpr_count:     44
    .sgpr_spill_count: 0
    .symbol:         _ZN12_GLOBAL__N_135rocblas_gemm_batched_general_kernelIiLi16ELi16ELi32ELi32ELi8ELi32ELi8ELi8ELi32ELc84ELc78EKPKaKPKiKPiEEvlllT_PT11_llSB_llS9_PT12_llPT13_lli.kd
    .uniform_work_group_size: 1
    .uses_dynamic_stack: false
    .vgpr_count:     45
    .vgpr_spill_count: 0
    .wavefront_size: 32
    .workgroup_processor_mode: 1
  - .args:
      - .offset:         0
        .size:           8
        .value_kind:     by_value
      - .offset:         8
        .size:           8
        .value_kind:     by_value
      - .offset:         16
        .size:           8
        .value_kind:     by_value
      - .offset:         24
        .size:           4
        .value_kind:     by_value
      - .address_space:  global
        .offset:         32
        .size:           8
        .value_kind:     global_buffer
      - .offset:         40
        .size:           8
        .value_kind:     by_value
      - .offset:         48
        .size:           8
        .value_kind:     by_value
      - .address_space:  global
        .offset:         56
        .size:           8
        .value_kind:     global_buffer
      - .offset:         64
        .size:           8
        .value_kind:     by_value
      - .offset:         72
        .size:           8
        .value_kind:     by_value
      - .offset:         80
        .size:           4
        .value_kind:     by_value
      - .address_space:  global
        .offset:         88
        .size:           8
        .value_kind:     global_buffer
      - .offset:         96
        .size:           8
        .value_kind:     by_value
      - .offset:         104
        .size:           8
        .value_kind:     by_value
      - .address_space:  global
        .offset:         112
        .size:           8
        .value_kind:     global_buffer
      - .offset:         120
        .size:           8
        .value_kind:     by_value
      - .offset:         128
        .size:           8
        .value_kind:     by_value
      - .offset:         136
        .size:           4
        .value_kind:     by_value
    .group_segment_fixed_size: 2048
    .kernarg_segment_align: 8
    .kernarg_segment_size: 140
    .language:       OpenCL C
    .language_version:
      - 2
      - 0
    .max_flat_workgroup_size: 256
    .name:           _ZN12_GLOBAL__N_135rocblas_gemm_batched_general_kernelIiLi16ELi16ELi32ELi32ELi8ELi32ELi8ELi8ELi32ELc78ELc84EKPKaKPKiKPiEEvlllT_PT11_llSB_llS9_PT12_llPT13_lli
    .private_segment_fixed_size: 0
    .sgpr_count:     42
    .sgpr_spill_count: 0
    .symbol:         _ZN12_GLOBAL__N_135rocblas_gemm_batched_general_kernelIiLi16ELi16ELi32ELi32ELi8ELi32ELi8ELi8ELi32ELc78ELc84EKPKaKPKiKPiEEvlllT_PT11_llSB_llS9_PT12_llPT13_lli.kd
    .uniform_work_group_size: 1
    .uses_dynamic_stack: false
    .vgpr_count:     45
    .vgpr_spill_count: 0
    .wavefront_size: 32
    .workgroup_processor_mode: 1
  - .args:
      - .offset:         0
        .size:           8
        .value_kind:     by_value
      - .offset:         8
        .size:           8
        .value_kind:     by_value
      - .offset:         16
        .size:           8
        .value_kind:     by_value
      - .offset:         24
        .size:           4
        .value_kind:     by_value
      - .address_space:  global
        .offset:         32
        .size:           8
        .value_kind:     global_buffer
      - .offset:         40
        .size:           8
        .value_kind:     by_value
      - .offset:         48
        .size:           8
        .value_kind:     by_value
      - .address_space:  global
        .offset:         56
        .size:           8
        .value_kind:     global_buffer
      - .offset:         64
        .size:           8
        .value_kind:     by_value
      - .offset:         72
        .size:           8
        .value_kind:     by_value
      - .offset:         80
        .size:           4
        .value_kind:     by_value
      - .address_space:  global
        .offset:         88
        .size:           8
        .value_kind:     global_buffer
      - .offset:         96
        .size:           8
        .value_kind:     by_value
      - .offset:         104
        .size:           8
        .value_kind:     by_value
      - .address_space:  global
        .offset:         112
        .size:           8
        .value_kind:     global_buffer
      - .offset:         120
        .size:           8
        .value_kind:     by_value
      - .offset:         128
        .size:           8
        .value_kind:     by_value
      - .offset:         136
        .size:           4
        .value_kind:     by_value
    .group_segment_fixed_size: 2048
    .kernarg_segment_align: 8
    .kernarg_segment_size: 140
    .language:       OpenCL C
    .language_version:
      - 2
      - 0
    .max_flat_workgroup_size: 256
    .name:           _ZN12_GLOBAL__N_135rocblas_gemm_batched_general_kernelIiLi16ELi16ELi32ELi32ELi8ELi32ELi8ELi8ELi32ELc84ELc84EKPKaKPKiKPiEEvlllT_PT11_llSB_llS9_PT12_llPT13_lli
    .private_segment_fixed_size: 0
    .sgpr_count:     44
    .sgpr_spill_count: 0
    .symbol:         _ZN12_GLOBAL__N_135rocblas_gemm_batched_general_kernelIiLi16ELi16ELi32ELi32ELi8ELi32ELi8ELi8ELi32ELc84ELc84EKPKaKPKiKPiEEvlllT_PT11_llSB_llS9_PT12_llPT13_lli.kd
    .uniform_work_group_size: 1
    .uses_dynamic_stack: false
    .vgpr_count:     45
    .vgpr_spill_count: 0
    .wavefront_size: 32
    .workgroup_processor_mode: 1
  - .args:
      - .offset:         0
        .size:           8
        .value_kind:     by_value
      - .offset:         8
        .size:           8
        .value_kind:     by_value
      - .offset:         16
        .size:           8
        .value_kind:     by_value
      - .offset:         24
        .size:           4
        .value_kind:     by_value
      - .address_space:  global
        .offset:         32
        .size:           8
        .value_kind:     global_buffer
      - .offset:         40
        .size:           8
        .value_kind:     by_value
      - .offset:         48
        .size:           8
        .value_kind:     by_value
      - .address_space:  global
        .offset:         56
        .size:           8
        .value_kind:     global_buffer
      - .offset:         64
        .size:           8
        .value_kind:     by_value
      - .offset:         72
        .size:           8
        .value_kind:     by_value
      - .offset:         80
        .size:           4
        .value_kind:     by_value
      - .address_space:  global
        .offset:         88
        .size:           8
        .value_kind:     global_buffer
      - .offset:         96
        .size:           8
        .value_kind:     by_value
      - .offset:         104
        .size:           8
        .value_kind:     by_value
      - .address_space:  global
        .offset:         112
        .size:           8
        .value_kind:     global_buffer
      - .offset:         120
        .size:           8
        .value_kind:     by_value
      - .offset:         128
        .size:           8
        .value_kind:     by_value
      - .offset:         136
        .size:           4
        .value_kind:     by_value
    .group_segment_fixed_size: 2048
    .kernarg_segment_align: 8
    .kernarg_segment_size: 140
    .language:       OpenCL C
    .language_version:
      - 2
      - 0
    .max_flat_workgroup_size: 256
    .name:           _ZN12_GLOBAL__N_135rocblas_gemm_batched_general_kernelIiLi16ELi16ELi32ELi32ELi8ELi32ELi8ELi8ELi32ELc67ELc67EKPKaKPKiKPiEEvlllT_PT11_llSB_llS9_PT12_llPT13_lli
    .private_segment_fixed_size: 0
    .sgpr_count:     44
    .sgpr_spill_count: 0
    .symbol:         _ZN12_GLOBAL__N_135rocblas_gemm_batched_general_kernelIiLi16ELi16ELi32ELi32ELi8ELi32ELi8ELi8ELi32ELc67ELc67EKPKaKPKiKPiEEvlllT_PT11_llSB_llS9_PT12_llPT13_lli.kd
    .uniform_work_group_size: 1
    .uses_dynamic_stack: false
    .vgpr_count:     45
    .vgpr_spill_count: 0
    .wavefront_size: 32
    .workgroup_processor_mode: 1
  - .args:
      - .offset:         0
        .size:           8
        .value_kind:     by_value
      - .offset:         8
        .size:           8
        .value_kind:     by_value
      - .offset:         16
        .size:           8
        .value_kind:     by_value
      - .offset:         24
        .size:           4
        .value_kind:     by_value
      - .address_space:  global
        .offset:         32
        .size:           8
        .value_kind:     global_buffer
      - .offset:         40
        .size:           8
        .value_kind:     by_value
      - .offset:         48
        .size:           8
        .value_kind:     by_value
      - .address_space:  global
        .offset:         56
        .size:           8
        .value_kind:     global_buffer
      - .offset:         64
        .size:           8
        .value_kind:     by_value
      - .offset:         72
        .size:           8
        .value_kind:     by_value
      - .offset:         80
        .size:           4
        .value_kind:     by_value
      - .address_space:  global
        .offset:         88
        .size:           8
        .value_kind:     global_buffer
      - .offset:         96
        .size:           8
        .value_kind:     by_value
      - .offset:         104
        .size:           8
        .value_kind:     by_value
      - .address_space:  global
        .offset:         112
        .size:           8
        .value_kind:     global_buffer
      - .offset:         120
        .size:           8
        .value_kind:     by_value
      - .offset:         128
        .size:           8
        .value_kind:     by_value
      - .offset:         136
        .size:           4
        .value_kind:     by_value
    .group_segment_fixed_size: 2048
    .kernarg_segment_align: 8
    .kernarg_segment_size: 140
    .language:       OpenCL C
    .language_version:
      - 2
      - 0
    .max_flat_workgroup_size: 256
    .name:           _ZN12_GLOBAL__N_135rocblas_gemm_batched_general_kernelIiLi16ELi16ELi32ELi32ELi8ELi32ELi8ELi8ELi32ELc67ELc78EKPKaKPKiKPiEEvlllT_PT11_llSB_llS9_PT12_llPT13_lli
    .private_segment_fixed_size: 0
    .sgpr_count:     44
    .sgpr_spill_count: 0
    .symbol:         _ZN12_GLOBAL__N_135rocblas_gemm_batched_general_kernelIiLi16ELi16ELi32ELi32ELi8ELi32ELi8ELi8ELi32ELc67ELc78EKPKaKPKiKPiEEvlllT_PT11_llSB_llS9_PT12_llPT13_lli.kd
    .uniform_work_group_size: 1
    .uses_dynamic_stack: false
    .vgpr_count:     45
    .vgpr_spill_count: 0
    .wavefront_size: 32
    .workgroup_processor_mode: 1
  - .args:
      - .offset:         0
        .size:           8
        .value_kind:     by_value
      - .offset:         8
        .size:           8
        .value_kind:     by_value
      - .offset:         16
        .size:           8
        .value_kind:     by_value
      - .offset:         24
        .size:           4
        .value_kind:     by_value
      - .address_space:  global
        .offset:         32
        .size:           8
        .value_kind:     global_buffer
      - .offset:         40
        .size:           8
        .value_kind:     by_value
      - .offset:         48
        .size:           8
        .value_kind:     by_value
      - .address_space:  global
        .offset:         56
        .size:           8
        .value_kind:     global_buffer
      - .offset:         64
        .size:           8
        .value_kind:     by_value
      - .offset:         72
        .size:           8
        .value_kind:     by_value
      - .offset:         80
        .size:           4
        .value_kind:     by_value
      - .address_space:  global
        .offset:         88
        .size:           8
        .value_kind:     global_buffer
      - .offset:         96
        .size:           8
        .value_kind:     by_value
      - .offset:         104
        .size:           8
        .value_kind:     by_value
      - .address_space:  global
        .offset:         112
        .size:           8
        .value_kind:     global_buffer
      - .offset:         120
        .size:           8
        .value_kind:     by_value
      - .offset:         128
        .size:           8
        .value_kind:     by_value
      - .offset:         136
        .size:           4
        .value_kind:     by_value
    .group_segment_fixed_size: 2048
    .kernarg_segment_align: 8
    .kernarg_segment_size: 140
    .language:       OpenCL C
    .language_version:
      - 2
      - 0
    .max_flat_workgroup_size: 256
    .name:           _ZN12_GLOBAL__N_135rocblas_gemm_batched_general_kernelIiLi16ELi16ELi32ELi32ELi8ELi32ELi8ELi8ELi32ELc67ELc84EKPKaKPKiKPiEEvlllT_PT11_llSB_llS9_PT12_llPT13_lli
    .private_segment_fixed_size: 0
    .sgpr_count:     44
    .sgpr_spill_count: 0
    .symbol:         _ZN12_GLOBAL__N_135rocblas_gemm_batched_general_kernelIiLi16ELi16ELi32ELi32ELi8ELi32ELi8ELi8ELi32ELc67ELc84EKPKaKPKiKPiEEvlllT_PT11_llSB_llS9_PT12_llPT13_lli.kd
    .uniform_work_group_size: 1
    .uses_dynamic_stack: false
    .vgpr_count:     45
    .vgpr_spill_count: 0
    .wavefront_size: 32
    .workgroup_processor_mode: 1
  - .args:
      - .offset:         0
        .size:           8
        .value_kind:     by_value
      - .offset:         8
        .size:           8
        .value_kind:     by_value
      - .offset:         16
        .size:           8
        .value_kind:     by_value
      - .offset:         24
        .size:           4
        .value_kind:     by_value
      - .address_space:  global
        .offset:         32
        .size:           8
        .value_kind:     global_buffer
      - .offset:         40
        .size:           8
        .value_kind:     by_value
      - .offset:         48
        .size:           8
        .value_kind:     by_value
      - .address_space:  global
        .offset:         56
        .size:           8
        .value_kind:     global_buffer
      - .offset:         64
        .size:           8
        .value_kind:     by_value
      - .offset:         72
        .size:           8
        .value_kind:     by_value
      - .offset:         80
        .size:           4
        .value_kind:     by_value
      - .address_space:  global
        .offset:         88
        .size:           8
        .value_kind:     global_buffer
      - .offset:         96
        .size:           8
        .value_kind:     by_value
      - .offset:         104
        .size:           8
        .value_kind:     by_value
      - .address_space:  global
        .offset:         112
        .size:           8
        .value_kind:     global_buffer
      - .offset:         120
        .size:           8
        .value_kind:     by_value
      - .offset:         128
        .size:           8
        .value_kind:     by_value
      - .offset:         136
        .size:           4
        .value_kind:     by_value
    .group_segment_fixed_size: 2048
    .kernarg_segment_align: 8
    .kernarg_segment_size: 140
    .language:       OpenCL C
    .language_version:
      - 2
      - 0
    .max_flat_workgroup_size: 256
    .name:           _ZN12_GLOBAL__N_135rocblas_gemm_batched_general_kernelIiLi16ELi16ELi32ELi32ELi8ELi32ELi8ELi8ELi32ELc78ELc67EKPKaKPKiKPiEEvlllT_PT11_llSB_llS9_PT12_llPT13_lli
    .private_segment_fixed_size: 0
    .sgpr_count:     42
    .sgpr_spill_count: 0
    .symbol:         _ZN12_GLOBAL__N_135rocblas_gemm_batched_general_kernelIiLi16ELi16ELi32ELi32ELi8ELi32ELi8ELi8ELi32ELc78ELc67EKPKaKPKiKPiEEvlllT_PT11_llSB_llS9_PT12_llPT13_lli.kd
    .uniform_work_group_size: 1
    .uses_dynamic_stack: false
    .vgpr_count:     45
    .vgpr_spill_count: 0
    .wavefront_size: 32
    .workgroup_processor_mode: 1
  - .args:
      - .offset:         0
        .size:           8
        .value_kind:     by_value
      - .offset:         8
        .size:           8
        .value_kind:     by_value
      - .offset:         16
        .size:           8
        .value_kind:     by_value
      - .offset:         24
        .size:           4
        .value_kind:     by_value
      - .address_space:  global
        .offset:         32
        .size:           8
        .value_kind:     global_buffer
      - .offset:         40
        .size:           8
        .value_kind:     by_value
      - .offset:         48
        .size:           8
        .value_kind:     by_value
      - .address_space:  global
        .offset:         56
        .size:           8
        .value_kind:     global_buffer
      - .offset:         64
        .size:           8
        .value_kind:     by_value
      - .offset:         72
        .size:           8
        .value_kind:     by_value
      - .offset:         80
        .size:           4
        .value_kind:     by_value
      - .address_space:  global
        .offset:         88
        .size:           8
        .value_kind:     global_buffer
      - .offset:         96
        .size:           8
        .value_kind:     by_value
      - .offset:         104
        .size:           8
        .value_kind:     by_value
      - .address_space:  global
        .offset:         112
        .size:           8
        .value_kind:     global_buffer
      - .offset:         120
        .size:           8
        .value_kind:     by_value
      - .offset:         128
        .size:           8
        .value_kind:     by_value
      - .offset:         136
        .size:           4
        .value_kind:     by_value
    .group_segment_fixed_size: 2048
    .kernarg_segment_align: 8
    .kernarg_segment_size: 140
    .language:       OpenCL C
    .language_version:
      - 2
      - 0
    .max_flat_workgroup_size: 256
    .name:           _ZN12_GLOBAL__N_135rocblas_gemm_batched_general_kernelIiLi16ELi16ELi32ELi32ELi8ELi32ELi8ELi8ELi32ELc84ELc67EKPKaKPKiKPiEEvlllT_PT11_llSB_llS9_PT12_llPT13_lli
    .private_segment_fixed_size: 0
    .sgpr_count:     44
    .sgpr_spill_count: 0
    .symbol:         _ZN12_GLOBAL__N_135rocblas_gemm_batched_general_kernelIiLi16ELi16ELi32ELi32ELi8ELi32ELi8ELi8ELi32ELc84ELc67EKPKaKPKiKPiEEvlllT_PT11_llSB_llS9_PT12_llPT13_lli.kd
    .uniform_work_group_size: 1
    .uses_dynamic_stack: false
    .vgpr_count:     45
    .vgpr_spill_count: 0
    .wavefront_size: 32
    .workgroup_processor_mode: 1
  - .args:
      - .offset:         0
        .size:           4
        .value_kind:     by_value
      - .offset:         4
        .size:           4
        .value_kind:     by_value
      - .offset:         8
        .size:           8
        .value_kind:     by_value
      - .address_space:  global
        .offset:         16
        .size:           8
        .value_kind:     global_buffer
      - .offset:         24
        .size:           8
        .value_kind:     by_value
      - .offset:         32
        .size:           8
        .value_kind:     by_value
      - .offset:         40
        .size:           8
        .value_kind:     by_value
      - .address_space:  global
        .offset:         48
        .size:           8
        .value_kind:     global_buffer
      - .offset:         56
        .size:           8
        .value_kind:     by_value
      - .offset:         64
        .size:           8
        .value_kind:     by_value
      - .offset:         72
        .size:           8
        .value_kind:     by_value
      - .offset:         80
        .size:           4
        .value_kind:     by_value
    .group_segment_fixed_size: 0
    .kernarg_segment_align: 8
    .kernarg_segment_size: 84
    .language:       OpenCL C
    .language_version:
      - 2
      - 0
    .max_flat_workgroup_size: 1024
    .name:           _ZN12_GLOBAL__N_120gemm_ex_scale_kernelILi32ELi32E19rocblas_complex_numIfEPKPKS2_PKPS2_EEviiT1_T2_lllT3_llli
    .private_segment_fixed_size: 0
    .sgpr_count:     24
    .sgpr_spill_count: 0
    .symbol:         _ZN12_GLOBAL__N_120gemm_ex_scale_kernelILi32ELi32E19rocblas_complex_numIfEPKPKS2_PKPS2_EEviiT1_T2_lllT3_llli.kd
    .uniform_work_group_size: 1
    .uses_dynamic_stack: false
    .vgpr_count:     9
    .vgpr_spill_count: 0
    .wavefront_size: 32
    .workgroup_processor_mode: 1
  - .args:
      - .offset:         0
        .size:           8
        .value_kind:     by_value
      - .offset:         8
        .size:           8
        .value_kind:     by_value
      - .offset:         16
        .size:           8
        .value_kind:     by_value
      - .offset:         24
        .size:           8
        .value_kind:     by_value
      - .address_space:  global
        .offset:         32
        .size:           8
        .value_kind:     global_buffer
      - .offset:         40
        .size:           8
        .value_kind:     by_value
      - .offset:         48
        .size:           8
        .value_kind:     by_value
      - .address_space:  global
        .offset:         56
        .size:           8
        .value_kind:     global_buffer
      - .offset:         64
        .size:           8
        .value_kind:     by_value
      - .offset:         72
        .size:           8
        .value_kind:     by_value
      - .offset:         80
        .size:           8
        .value_kind:     by_value
      - .address_space:  global
        .offset:         88
        .size:           8
        .value_kind:     global_buffer
      - .offset:         96
        .size:           8
        .value_kind:     by_value
      - .offset:         104
        .size:           8
        .value_kind:     by_value
      - .address_space:  global
        .offset:         112
        .size:           8
        .value_kind:     global_buffer
      - .offset:         120
        .size:           8
        .value_kind:     by_value
      - .offset:         128
        .size:           8
        .value_kind:     by_value
      - .offset:         136
        .size:           4
        .value_kind:     by_value
    .group_segment_fixed_size: 4096
    .kernarg_segment_align: 8
    .kernarg_segment_size: 140
    .language:       OpenCL C
    .language_version:
      - 2
      - 0
    .max_flat_workgroup_size: 256
    .name:           _ZN12_GLOBAL__N_127rocblas_gemm_batched_kernelI19rocblas_complex_numIfELi16ELi16ELi64ELi64ELi4ELi64ELi4ELi4ELi64ELc78ELc78EKPKS2_S5_KPS2_EEvlllT_PT11_llSA_llS8_PT12_llPT13_lli
    .private_segment_fixed_size: 0
    .sgpr_count:     46
    .sgpr_spill_count: 0
    .symbol:         _ZN12_GLOBAL__N_127rocblas_gemm_batched_kernelI19rocblas_complex_numIfELi16ELi16ELi64ELi64ELi4ELi64ELi4ELi4ELi64ELc78ELc78EKPKS2_S5_KPS2_EEvlllT_PT11_llSA_llS8_PT12_llPT13_lli.kd
    .uniform_work_group_size: 1
    .uses_dynamic_stack: false
    .vgpr_count:     188
    .vgpr_spill_count: 0
    .wavefront_size: 32
    .workgroup_processor_mode: 1
  - .args:
      - .offset:         0
        .size:           8
        .value_kind:     by_value
      - .offset:         8
        .size:           8
        .value_kind:     by_value
      - .offset:         16
        .size:           8
        .value_kind:     by_value
      - .offset:         24
        .size:           8
        .value_kind:     by_value
      - .address_space:  global
        .offset:         32
        .size:           8
        .value_kind:     global_buffer
      - .offset:         40
        .size:           8
        .value_kind:     by_value
      - .offset:         48
        .size:           8
        .value_kind:     by_value
      - .address_space:  global
        .offset:         56
        .size:           8
        .value_kind:     global_buffer
      - .offset:         64
        .size:           8
        .value_kind:     by_value
      - .offset:         72
        .size:           8
        .value_kind:     by_value
      - .offset:         80
        .size:           8
        .value_kind:     by_value
      - .address_space:  global
        .offset:         88
        .size:           8
        .value_kind:     global_buffer
      - .offset:         96
        .size:           8
        .value_kind:     by_value
      - .offset:         104
        .size:           8
        .value_kind:     by_value
      - .address_space:  global
        .offset:         112
        .size:           8
        .value_kind:     global_buffer
      - .offset:         120
        .size:           8
        .value_kind:     by_value
      - .offset:         128
        .size:           8
        .value_kind:     by_value
      - .offset:         136
        .size:           4
        .value_kind:     by_value
    .group_segment_fixed_size: 4096
    .kernarg_segment_align: 8
    .kernarg_segment_size: 140
    .language:       OpenCL C
    .language_version:
      - 2
      - 0
    .max_flat_workgroup_size: 256
    .name:           _ZN12_GLOBAL__N_127rocblas_gemm_batched_kernelI19rocblas_complex_numIfELi16ELi16ELi64ELi64ELi4ELi64ELi4ELi4ELi64ELc84ELc78EKPKS2_S5_KPS2_EEvlllT_PT11_llSA_llS8_PT12_llPT13_lli
    .private_segment_fixed_size: 0
    .sgpr_count:     46
    .sgpr_spill_count: 0
    .symbol:         _ZN12_GLOBAL__N_127rocblas_gemm_batched_kernelI19rocblas_complex_numIfELi16ELi16ELi64ELi64ELi4ELi64ELi4ELi4ELi64ELc84ELc78EKPKS2_S5_KPS2_EEvlllT_PT11_llSA_llS8_PT12_llPT13_lli.kd
    .uniform_work_group_size: 1
    .uses_dynamic_stack: false
    .vgpr_count:     188
    .vgpr_spill_count: 0
    .wavefront_size: 32
    .workgroup_processor_mode: 1
  - .args:
      - .offset:         0
        .size:           8
        .value_kind:     by_value
      - .offset:         8
        .size:           8
        .value_kind:     by_value
      - .offset:         16
        .size:           8
        .value_kind:     by_value
      - .offset:         24
        .size:           8
        .value_kind:     by_value
      - .address_space:  global
        .offset:         32
        .size:           8
        .value_kind:     global_buffer
      - .offset:         40
        .size:           8
        .value_kind:     by_value
      - .offset:         48
        .size:           8
        .value_kind:     by_value
      - .address_space:  global
        .offset:         56
        .size:           8
        .value_kind:     global_buffer
      - .offset:         64
        .size:           8
        .value_kind:     by_value
      - .offset:         72
        .size:           8
        .value_kind:     by_value
      - .offset:         80
        .size:           8
        .value_kind:     by_value
      - .address_space:  global
        .offset:         88
        .size:           8
        .value_kind:     global_buffer
      - .offset:         96
        .size:           8
        .value_kind:     by_value
      - .offset:         104
        .size:           8
        .value_kind:     by_value
      - .address_space:  global
        .offset:         112
        .size:           8
        .value_kind:     global_buffer
      - .offset:         120
        .size:           8
        .value_kind:     by_value
      - .offset:         128
        .size:           8
        .value_kind:     by_value
      - .offset:         136
        .size:           4
        .value_kind:     by_value
    .group_segment_fixed_size: 4096
    .kernarg_segment_align: 8
    .kernarg_segment_size: 140
    .language:       OpenCL C
    .language_version:
      - 2
      - 0
    .max_flat_workgroup_size: 256
    .name:           _ZN12_GLOBAL__N_127rocblas_gemm_batched_kernelI19rocblas_complex_numIfELi16ELi16ELi64ELi64ELi4ELi64ELi4ELi4ELi64ELc78ELc84EKPKS2_S5_KPS2_EEvlllT_PT11_llSA_llS8_PT12_llPT13_lli
    .private_segment_fixed_size: 0
    .sgpr_count:     46
    .sgpr_spill_count: 0
    .symbol:         _ZN12_GLOBAL__N_127rocblas_gemm_batched_kernelI19rocblas_complex_numIfELi16ELi16ELi64ELi64ELi4ELi64ELi4ELi4ELi64ELc78ELc84EKPKS2_S5_KPS2_EEvlllT_PT11_llSA_llS8_PT12_llPT13_lli.kd
    .uniform_work_group_size: 1
    .uses_dynamic_stack: false
    .vgpr_count:     188
    .vgpr_spill_count: 0
    .wavefront_size: 32
    .workgroup_processor_mode: 1
  - .args:
      - .offset:         0
        .size:           8
        .value_kind:     by_value
      - .offset:         8
        .size:           8
        .value_kind:     by_value
      - .offset:         16
        .size:           8
        .value_kind:     by_value
      - .offset:         24
        .size:           8
        .value_kind:     by_value
      - .address_space:  global
        .offset:         32
        .size:           8
        .value_kind:     global_buffer
      - .offset:         40
        .size:           8
        .value_kind:     by_value
      - .offset:         48
        .size:           8
        .value_kind:     by_value
      - .address_space:  global
        .offset:         56
        .size:           8
        .value_kind:     global_buffer
      - .offset:         64
        .size:           8
        .value_kind:     by_value
      - .offset:         72
        .size:           8
        .value_kind:     by_value
      - .offset:         80
        .size:           8
        .value_kind:     by_value
      - .address_space:  global
        .offset:         88
        .size:           8
        .value_kind:     global_buffer
      - .offset:         96
        .size:           8
        .value_kind:     by_value
      - .offset:         104
        .size:           8
        .value_kind:     by_value
      - .address_space:  global
        .offset:         112
        .size:           8
        .value_kind:     global_buffer
      - .offset:         120
        .size:           8
        .value_kind:     by_value
      - .offset:         128
        .size:           8
        .value_kind:     by_value
      - .offset:         136
        .size:           4
        .value_kind:     by_value
    .group_segment_fixed_size: 4096
    .kernarg_segment_align: 8
    .kernarg_segment_size: 140
    .language:       OpenCL C
    .language_version:
      - 2
      - 0
    .max_flat_workgroup_size: 256
    .name:           _ZN12_GLOBAL__N_127rocblas_gemm_batched_kernelI19rocblas_complex_numIfELi16ELi16ELi64ELi64ELi4ELi64ELi4ELi4ELi64ELc84ELc84EKPKS2_S5_KPS2_EEvlllT_PT11_llSA_llS8_PT12_llPT13_lli
    .private_segment_fixed_size: 0
    .sgpr_count:     46
    .sgpr_spill_count: 0
    .symbol:         _ZN12_GLOBAL__N_127rocblas_gemm_batched_kernelI19rocblas_complex_numIfELi16ELi16ELi64ELi64ELi4ELi64ELi4ELi4ELi64ELc84ELc84EKPKS2_S5_KPS2_EEvlllT_PT11_llSA_llS8_PT12_llPT13_lli.kd
    .uniform_work_group_size: 1
    .uses_dynamic_stack: false
    .vgpr_count:     188
    .vgpr_spill_count: 0
    .wavefront_size: 32
    .workgroup_processor_mode: 1
  - .args:
      - .offset:         0
        .size:           8
        .value_kind:     by_value
      - .offset:         8
        .size:           8
        .value_kind:     by_value
      - .offset:         16
        .size:           8
        .value_kind:     by_value
      - .offset:         24
        .size:           8
        .value_kind:     by_value
      - .address_space:  global
        .offset:         32
        .size:           8
        .value_kind:     global_buffer
      - .offset:         40
        .size:           8
        .value_kind:     by_value
      - .offset:         48
        .size:           8
        .value_kind:     by_value
      - .address_space:  global
        .offset:         56
        .size:           8
        .value_kind:     global_buffer
      - .offset:         64
        .size:           8
        .value_kind:     by_value
      - .offset:         72
        .size:           8
        .value_kind:     by_value
      - .offset:         80
        .size:           8
        .value_kind:     by_value
      - .address_space:  global
        .offset:         88
        .size:           8
        .value_kind:     global_buffer
      - .offset:         96
        .size:           8
        .value_kind:     by_value
      - .offset:         104
        .size:           8
        .value_kind:     by_value
      - .address_space:  global
        .offset:         112
        .size:           8
        .value_kind:     global_buffer
      - .offset:         120
        .size:           8
        .value_kind:     by_value
      - .offset:         128
        .size:           8
        .value_kind:     by_value
      - .offset:         136
        .size:           4
        .value_kind:     by_value
    .group_segment_fixed_size: 4096
    .kernarg_segment_align: 8
    .kernarg_segment_size: 140
    .language:       OpenCL C
    .language_version:
      - 2
      - 0
    .max_flat_workgroup_size: 256
    .name:           _ZN12_GLOBAL__N_127rocblas_gemm_batched_kernelI19rocblas_complex_numIfELi16ELi16ELi64ELi64ELi4ELi64ELi4ELi4ELi64ELc67ELc67EKPKS2_S5_KPS2_EEvlllT_PT11_llSA_llS8_PT12_llPT13_lli
    .private_segment_fixed_size: 0
    .sgpr_count:     46
    .sgpr_spill_count: 0
    .symbol:         _ZN12_GLOBAL__N_127rocblas_gemm_batched_kernelI19rocblas_complex_numIfELi16ELi16ELi64ELi64ELi4ELi64ELi4ELi4ELi64ELc67ELc67EKPKS2_S5_KPS2_EEvlllT_PT11_llSA_llS8_PT12_llPT13_lli.kd
    .uniform_work_group_size: 1
    .uses_dynamic_stack: false
    .vgpr_count:     188
    .vgpr_spill_count: 0
    .wavefront_size: 32
    .workgroup_processor_mode: 1
  - .args:
      - .offset:         0
        .size:           8
        .value_kind:     by_value
      - .offset:         8
        .size:           8
        .value_kind:     by_value
      - .offset:         16
        .size:           8
        .value_kind:     by_value
      - .offset:         24
        .size:           8
        .value_kind:     by_value
      - .address_space:  global
        .offset:         32
        .size:           8
        .value_kind:     global_buffer
      - .offset:         40
        .size:           8
        .value_kind:     by_value
      - .offset:         48
        .size:           8
        .value_kind:     by_value
      - .address_space:  global
        .offset:         56
        .size:           8
        .value_kind:     global_buffer
      - .offset:         64
        .size:           8
        .value_kind:     by_value
      - .offset:         72
        .size:           8
        .value_kind:     by_value
      - .offset:         80
        .size:           8
        .value_kind:     by_value
      - .address_space:  global
        .offset:         88
        .size:           8
        .value_kind:     global_buffer
      - .offset:         96
        .size:           8
        .value_kind:     by_value
      - .offset:         104
        .size:           8
        .value_kind:     by_value
      - .address_space:  global
        .offset:         112
        .size:           8
        .value_kind:     global_buffer
      - .offset:         120
        .size:           8
        .value_kind:     by_value
      - .offset:         128
        .size:           8
        .value_kind:     by_value
      - .offset:         136
        .size:           4
        .value_kind:     by_value
    .group_segment_fixed_size: 4096
    .kernarg_segment_align: 8
    .kernarg_segment_size: 140
    .language:       OpenCL C
    .language_version:
      - 2
      - 0
    .max_flat_workgroup_size: 256
    .name:           _ZN12_GLOBAL__N_127rocblas_gemm_batched_kernelI19rocblas_complex_numIfELi16ELi16ELi64ELi64ELi4ELi64ELi4ELi4ELi64ELc67ELc78EKPKS2_S5_KPS2_EEvlllT_PT11_llSA_llS8_PT12_llPT13_lli
    .private_segment_fixed_size: 0
    .sgpr_count:     46
    .sgpr_spill_count: 0
    .symbol:         _ZN12_GLOBAL__N_127rocblas_gemm_batched_kernelI19rocblas_complex_numIfELi16ELi16ELi64ELi64ELi4ELi64ELi4ELi4ELi64ELc67ELc78EKPKS2_S5_KPS2_EEvlllT_PT11_llSA_llS8_PT12_llPT13_lli.kd
    .uniform_work_group_size: 1
    .uses_dynamic_stack: false
    .vgpr_count:     188
    .vgpr_spill_count: 0
    .wavefront_size: 32
    .workgroup_processor_mode: 1
  - .args:
      - .offset:         0
        .size:           8
        .value_kind:     by_value
      - .offset:         8
        .size:           8
        .value_kind:     by_value
      - .offset:         16
        .size:           8
        .value_kind:     by_value
      - .offset:         24
        .size:           8
        .value_kind:     by_value
      - .address_space:  global
        .offset:         32
        .size:           8
        .value_kind:     global_buffer
      - .offset:         40
        .size:           8
        .value_kind:     by_value
      - .offset:         48
        .size:           8
        .value_kind:     by_value
      - .address_space:  global
        .offset:         56
        .size:           8
        .value_kind:     global_buffer
      - .offset:         64
        .size:           8
        .value_kind:     by_value
      - .offset:         72
        .size:           8
        .value_kind:     by_value
      - .offset:         80
        .size:           8
        .value_kind:     by_value
      - .address_space:  global
        .offset:         88
        .size:           8
        .value_kind:     global_buffer
      - .offset:         96
        .size:           8
        .value_kind:     by_value
      - .offset:         104
        .size:           8
        .value_kind:     by_value
      - .address_space:  global
        .offset:         112
        .size:           8
        .value_kind:     global_buffer
      - .offset:         120
        .size:           8
        .value_kind:     by_value
      - .offset:         128
        .size:           8
        .value_kind:     by_value
      - .offset:         136
        .size:           4
        .value_kind:     by_value
    .group_segment_fixed_size: 4096
    .kernarg_segment_align: 8
    .kernarg_segment_size: 140
    .language:       OpenCL C
    .language_version:
      - 2
      - 0
    .max_flat_workgroup_size: 256
    .name:           _ZN12_GLOBAL__N_127rocblas_gemm_batched_kernelI19rocblas_complex_numIfELi16ELi16ELi64ELi64ELi4ELi64ELi4ELi4ELi64ELc67ELc84EKPKS2_S5_KPS2_EEvlllT_PT11_llSA_llS8_PT12_llPT13_lli
    .private_segment_fixed_size: 0
    .sgpr_count:     46
    .sgpr_spill_count: 0
    .symbol:         _ZN12_GLOBAL__N_127rocblas_gemm_batched_kernelI19rocblas_complex_numIfELi16ELi16ELi64ELi64ELi4ELi64ELi4ELi4ELi64ELc67ELc84EKPKS2_S5_KPS2_EEvlllT_PT11_llSA_llS8_PT12_llPT13_lli.kd
    .uniform_work_group_size: 1
    .uses_dynamic_stack: false
    .vgpr_count:     188
    .vgpr_spill_count: 0
    .wavefront_size: 32
    .workgroup_processor_mode: 1
  - .args:
      - .offset:         0
        .size:           8
        .value_kind:     by_value
      - .offset:         8
        .size:           8
        .value_kind:     by_value
      - .offset:         16
        .size:           8
        .value_kind:     by_value
      - .offset:         24
        .size:           8
        .value_kind:     by_value
      - .address_space:  global
        .offset:         32
        .size:           8
        .value_kind:     global_buffer
      - .offset:         40
        .size:           8
        .value_kind:     by_value
      - .offset:         48
        .size:           8
        .value_kind:     by_value
      - .address_space:  global
        .offset:         56
        .size:           8
        .value_kind:     global_buffer
      - .offset:         64
        .size:           8
        .value_kind:     by_value
      - .offset:         72
        .size:           8
        .value_kind:     by_value
      - .offset:         80
        .size:           8
        .value_kind:     by_value
      - .address_space:  global
        .offset:         88
        .size:           8
        .value_kind:     global_buffer
      - .offset:         96
        .size:           8
        .value_kind:     by_value
      - .offset:         104
        .size:           8
        .value_kind:     by_value
      - .address_space:  global
        .offset:         112
        .size:           8
        .value_kind:     global_buffer
      - .offset:         120
        .size:           8
        .value_kind:     by_value
      - .offset:         128
        .size:           8
        .value_kind:     by_value
      - .offset:         136
        .size:           4
        .value_kind:     by_value
    .group_segment_fixed_size: 4096
    .kernarg_segment_align: 8
    .kernarg_segment_size: 140
    .language:       OpenCL C
    .language_version:
      - 2
      - 0
    .max_flat_workgroup_size: 256
    .name:           _ZN12_GLOBAL__N_127rocblas_gemm_batched_kernelI19rocblas_complex_numIfELi16ELi16ELi64ELi64ELi4ELi64ELi4ELi4ELi64ELc78ELc67EKPKS2_S5_KPS2_EEvlllT_PT11_llSA_llS8_PT12_llPT13_lli
    .private_segment_fixed_size: 0
    .sgpr_count:     46
    .sgpr_spill_count: 0
    .symbol:         _ZN12_GLOBAL__N_127rocblas_gemm_batched_kernelI19rocblas_complex_numIfELi16ELi16ELi64ELi64ELi4ELi64ELi4ELi4ELi64ELc78ELc67EKPKS2_S5_KPS2_EEvlllT_PT11_llSA_llS8_PT12_llPT13_lli.kd
    .uniform_work_group_size: 1
    .uses_dynamic_stack: false
    .vgpr_count:     188
    .vgpr_spill_count: 0
    .wavefront_size: 32
    .workgroup_processor_mode: 1
  - .args:
      - .offset:         0
        .size:           8
        .value_kind:     by_value
      - .offset:         8
        .size:           8
        .value_kind:     by_value
      - .offset:         16
        .size:           8
        .value_kind:     by_value
      - .offset:         24
        .size:           8
        .value_kind:     by_value
      - .address_space:  global
        .offset:         32
        .size:           8
        .value_kind:     global_buffer
      - .offset:         40
        .size:           8
        .value_kind:     by_value
      - .offset:         48
        .size:           8
        .value_kind:     by_value
      - .address_space:  global
        .offset:         56
        .size:           8
        .value_kind:     global_buffer
      - .offset:         64
        .size:           8
        .value_kind:     by_value
      - .offset:         72
        .size:           8
        .value_kind:     by_value
      - .offset:         80
        .size:           8
        .value_kind:     by_value
      - .address_space:  global
        .offset:         88
        .size:           8
        .value_kind:     global_buffer
      - .offset:         96
        .size:           8
        .value_kind:     by_value
      - .offset:         104
        .size:           8
        .value_kind:     by_value
      - .address_space:  global
        .offset:         112
        .size:           8
        .value_kind:     global_buffer
      - .offset:         120
        .size:           8
        .value_kind:     by_value
      - .offset:         128
        .size:           8
        .value_kind:     by_value
      - .offset:         136
        .size:           4
        .value_kind:     by_value
    .group_segment_fixed_size: 4096
    .kernarg_segment_align: 8
    .kernarg_segment_size: 140
    .language:       OpenCL C
    .language_version:
      - 2
      - 0
    .max_flat_workgroup_size: 256
    .name:           _ZN12_GLOBAL__N_127rocblas_gemm_batched_kernelI19rocblas_complex_numIfELi16ELi16ELi64ELi64ELi4ELi64ELi4ELi4ELi64ELc84ELc67EKPKS2_S5_KPS2_EEvlllT_PT11_llSA_llS8_PT12_llPT13_lli
    .private_segment_fixed_size: 0
    .sgpr_count:     46
    .sgpr_spill_count: 0
    .symbol:         _ZN12_GLOBAL__N_127rocblas_gemm_batched_kernelI19rocblas_complex_numIfELi16ELi16ELi64ELi64ELi4ELi64ELi4ELi4ELi64ELc84ELc67EKPKS2_S5_KPS2_EEvlllT_PT11_llSA_llS8_PT12_llPT13_lli.kd
    .uniform_work_group_size: 1
    .uses_dynamic_stack: false
    .vgpr_count:     188
    .vgpr_spill_count: 0
    .wavefront_size: 32
    .workgroup_processor_mode: 1
  - .args:
      - .offset:         0
        .size:           8
        .value_kind:     by_value
      - .offset:         8
        .size:           8
        .value_kind:     by_value
      - .offset:         16
        .size:           8
        .value_kind:     by_value
      - .offset:         24
        .size:           8
        .value_kind:     by_value
      - .address_space:  global
        .offset:         32
        .size:           8
        .value_kind:     global_buffer
      - .offset:         40
        .size:           8
        .value_kind:     by_value
      - .offset:         48
        .size:           8
        .value_kind:     by_value
      - .address_space:  global
        .offset:         56
        .size:           8
        .value_kind:     global_buffer
      - .offset:         64
        .size:           8
        .value_kind:     by_value
      - .offset:         72
        .size:           8
        .value_kind:     by_value
      - .offset:         80
        .size:           8
        .value_kind:     by_value
      - .address_space:  global
        .offset:         88
        .size:           8
        .value_kind:     global_buffer
      - .offset:         96
        .size:           8
        .value_kind:     by_value
      - .offset:         104
        .size:           8
        .value_kind:     by_value
      - .address_space:  global
        .offset:         112
        .size:           8
        .value_kind:     global_buffer
      - .offset:         120
        .size:           8
        .value_kind:     by_value
      - .offset:         128
        .size:           8
        .value_kind:     by_value
      - .offset:         136
        .size:           4
        .value_kind:     by_value
    .group_segment_fixed_size: 4096
    .kernarg_segment_align: 8
    .kernarg_segment_size: 140
    .language:       OpenCL C
    .language_version:
      - 2
      - 0
    .max_flat_workgroup_size: 256
    .name:           _ZN12_GLOBAL__N_127rocblas_gemm_batched_kernelI19rocblas_complex_numIfELi16ELi16ELi32ELi32ELi8ELi32ELi8ELi8ELi32ELc78ELc78EKPKS2_S5_KPS2_EEvlllT_PT11_llSA_llS8_PT12_llPT13_lli
    .private_segment_fixed_size: 0
    .sgpr_count:     46
    .sgpr_spill_count: 0
    .symbol:         _ZN12_GLOBAL__N_127rocblas_gemm_batched_kernelI19rocblas_complex_numIfELi16ELi16ELi32ELi32ELi8ELi32ELi8ELi8ELi32ELc78ELc78EKPKS2_S5_KPS2_EEvlllT_PT11_llSA_llS8_PT12_llPT13_lli.kd
    .uniform_work_group_size: 1
    .uses_dynamic_stack: false
    .vgpr_count:     92
    .vgpr_spill_count: 0
    .wavefront_size: 32
    .workgroup_processor_mode: 1
  - .args:
      - .offset:         0
        .size:           8
        .value_kind:     by_value
      - .offset:         8
        .size:           8
        .value_kind:     by_value
      - .offset:         16
        .size:           8
        .value_kind:     by_value
      - .offset:         24
        .size:           8
        .value_kind:     by_value
      - .address_space:  global
        .offset:         32
        .size:           8
        .value_kind:     global_buffer
      - .offset:         40
        .size:           8
        .value_kind:     by_value
      - .offset:         48
        .size:           8
        .value_kind:     by_value
      - .address_space:  global
        .offset:         56
        .size:           8
        .value_kind:     global_buffer
      - .offset:         64
        .size:           8
        .value_kind:     by_value
      - .offset:         72
        .size:           8
        .value_kind:     by_value
      - .offset:         80
        .size:           8
        .value_kind:     by_value
      - .address_space:  global
        .offset:         88
        .size:           8
        .value_kind:     global_buffer
      - .offset:         96
        .size:           8
        .value_kind:     by_value
      - .offset:         104
        .size:           8
        .value_kind:     by_value
      - .address_space:  global
        .offset:         112
        .size:           8
        .value_kind:     global_buffer
      - .offset:         120
        .size:           8
        .value_kind:     by_value
      - .offset:         128
        .size:           8
        .value_kind:     by_value
      - .offset:         136
        .size:           4
        .value_kind:     by_value
    .group_segment_fixed_size: 4096
    .kernarg_segment_align: 8
    .kernarg_segment_size: 140
    .language:       OpenCL C
    .language_version:
      - 2
      - 0
    .max_flat_workgroup_size: 256
    .name:           _ZN12_GLOBAL__N_127rocblas_gemm_batched_kernelI19rocblas_complex_numIfELi16ELi16ELi32ELi32ELi8ELi32ELi8ELi8ELi32ELc84ELc78EKPKS2_S5_KPS2_EEvlllT_PT11_llSA_llS8_PT12_llPT13_lli
    .private_segment_fixed_size: 0
    .sgpr_count:     46
    .sgpr_spill_count: 0
    .symbol:         _ZN12_GLOBAL__N_127rocblas_gemm_batched_kernelI19rocblas_complex_numIfELi16ELi16ELi32ELi32ELi8ELi32ELi8ELi8ELi32ELc84ELc78EKPKS2_S5_KPS2_EEvlllT_PT11_llSA_llS8_PT12_llPT13_lli.kd
    .uniform_work_group_size: 1
    .uses_dynamic_stack: false
    .vgpr_count:     92
    .vgpr_spill_count: 0
    .wavefront_size: 32
    .workgroup_processor_mode: 1
  - .args:
      - .offset:         0
        .size:           8
        .value_kind:     by_value
      - .offset:         8
        .size:           8
        .value_kind:     by_value
      - .offset:         16
        .size:           8
        .value_kind:     by_value
      - .offset:         24
        .size:           8
        .value_kind:     by_value
      - .address_space:  global
        .offset:         32
        .size:           8
        .value_kind:     global_buffer
      - .offset:         40
        .size:           8
        .value_kind:     by_value
      - .offset:         48
        .size:           8
        .value_kind:     by_value
      - .address_space:  global
        .offset:         56
        .size:           8
        .value_kind:     global_buffer
      - .offset:         64
        .size:           8
        .value_kind:     by_value
      - .offset:         72
        .size:           8
        .value_kind:     by_value
      - .offset:         80
        .size:           8
        .value_kind:     by_value
      - .address_space:  global
        .offset:         88
        .size:           8
        .value_kind:     global_buffer
      - .offset:         96
        .size:           8
        .value_kind:     by_value
      - .offset:         104
        .size:           8
        .value_kind:     by_value
      - .address_space:  global
        .offset:         112
        .size:           8
        .value_kind:     global_buffer
      - .offset:         120
        .size:           8
        .value_kind:     by_value
      - .offset:         128
        .size:           8
        .value_kind:     by_value
      - .offset:         136
        .size:           4
        .value_kind:     by_value
    .group_segment_fixed_size: 4096
    .kernarg_segment_align: 8
    .kernarg_segment_size: 140
    .language:       OpenCL C
    .language_version:
      - 2
      - 0
    .max_flat_workgroup_size: 256
    .name:           _ZN12_GLOBAL__N_127rocblas_gemm_batched_kernelI19rocblas_complex_numIfELi16ELi16ELi32ELi32ELi8ELi32ELi8ELi8ELi32ELc78ELc84EKPKS2_S5_KPS2_EEvlllT_PT11_llSA_llS8_PT12_llPT13_lli
    .private_segment_fixed_size: 0
    .sgpr_count:     46
    .sgpr_spill_count: 0
    .symbol:         _ZN12_GLOBAL__N_127rocblas_gemm_batched_kernelI19rocblas_complex_numIfELi16ELi16ELi32ELi32ELi8ELi32ELi8ELi8ELi32ELc78ELc84EKPKS2_S5_KPS2_EEvlllT_PT11_llSA_llS8_PT12_llPT13_lli.kd
    .uniform_work_group_size: 1
    .uses_dynamic_stack: false
    .vgpr_count:     92
    .vgpr_spill_count: 0
    .wavefront_size: 32
    .workgroup_processor_mode: 1
  - .args:
      - .offset:         0
        .size:           8
        .value_kind:     by_value
      - .offset:         8
        .size:           8
        .value_kind:     by_value
      - .offset:         16
        .size:           8
        .value_kind:     by_value
      - .offset:         24
        .size:           8
        .value_kind:     by_value
      - .address_space:  global
        .offset:         32
        .size:           8
        .value_kind:     global_buffer
      - .offset:         40
        .size:           8
        .value_kind:     by_value
      - .offset:         48
        .size:           8
        .value_kind:     by_value
      - .address_space:  global
        .offset:         56
        .size:           8
        .value_kind:     global_buffer
      - .offset:         64
        .size:           8
        .value_kind:     by_value
      - .offset:         72
        .size:           8
        .value_kind:     by_value
      - .offset:         80
        .size:           8
        .value_kind:     by_value
      - .address_space:  global
        .offset:         88
        .size:           8
        .value_kind:     global_buffer
      - .offset:         96
        .size:           8
        .value_kind:     by_value
      - .offset:         104
        .size:           8
        .value_kind:     by_value
      - .address_space:  global
        .offset:         112
        .size:           8
        .value_kind:     global_buffer
      - .offset:         120
        .size:           8
        .value_kind:     by_value
      - .offset:         128
        .size:           8
        .value_kind:     by_value
      - .offset:         136
        .size:           4
        .value_kind:     by_value
    .group_segment_fixed_size: 4096
    .kernarg_segment_align: 8
    .kernarg_segment_size: 140
    .language:       OpenCL C
    .language_version:
      - 2
      - 0
    .max_flat_workgroup_size: 256
    .name:           _ZN12_GLOBAL__N_127rocblas_gemm_batched_kernelI19rocblas_complex_numIfELi16ELi16ELi32ELi32ELi8ELi32ELi8ELi8ELi32ELc84ELc84EKPKS2_S5_KPS2_EEvlllT_PT11_llSA_llS8_PT12_llPT13_lli
    .private_segment_fixed_size: 0
    .sgpr_count:     46
    .sgpr_spill_count: 0
    .symbol:         _ZN12_GLOBAL__N_127rocblas_gemm_batched_kernelI19rocblas_complex_numIfELi16ELi16ELi32ELi32ELi8ELi32ELi8ELi8ELi32ELc84ELc84EKPKS2_S5_KPS2_EEvlllT_PT11_llSA_llS8_PT12_llPT13_lli.kd
    .uniform_work_group_size: 1
    .uses_dynamic_stack: false
    .vgpr_count:     92
    .vgpr_spill_count: 0
    .wavefront_size: 32
    .workgroup_processor_mode: 1
  - .args:
      - .offset:         0
        .size:           8
        .value_kind:     by_value
      - .offset:         8
        .size:           8
        .value_kind:     by_value
      - .offset:         16
        .size:           8
        .value_kind:     by_value
      - .offset:         24
        .size:           8
        .value_kind:     by_value
      - .address_space:  global
        .offset:         32
        .size:           8
        .value_kind:     global_buffer
      - .offset:         40
        .size:           8
        .value_kind:     by_value
      - .offset:         48
        .size:           8
        .value_kind:     by_value
      - .address_space:  global
        .offset:         56
        .size:           8
        .value_kind:     global_buffer
      - .offset:         64
        .size:           8
        .value_kind:     by_value
      - .offset:         72
        .size:           8
        .value_kind:     by_value
      - .offset:         80
        .size:           8
        .value_kind:     by_value
      - .address_space:  global
        .offset:         88
        .size:           8
        .value_kind:     global_buffer
      - .offset:         96
        .size:           8
        .value_kind:     by_value
      - .offset:         104
        .size:           8
        .value_kind:     by_value
      - .address_space:  global
        .offset:         112
        .size:           8
        .value_kind:     global_buffer
      - .offset:         120
        .size:           8
        .value_kind:     by_value
      - .offset:         128
        .size:           8
        .value_kind:     by_value
      - .offset:         136
        .size:           4
        .value_kind:     by_value
    .group_segment_fixed_size: 4096
    .kernarg_segment_align: 8
    .kernarg_segment_size: 140
    .language:       OpenCL C
    .language_version:
      - 2
      - 0
    .max_flat_workgroup_size: 256
    .name:           _ZN12_GLOBAL__N_127rocblas_gemm_batched_kernelI19rocblas_complex_numIfELi16ELi16ELi32ELi32ELi8ELi32ELi8ELi8ELi32ELc67ELc67EKPKS2_S5_KPS2_EEvlllT_PT11_llSA_llS8_PT12_llPT13_lli
    .private_segment_fixed_size: 0
    .sgpr_count:     46
    .sgpr_spill_count: 0
    .symbol:         _ZN12_GLOBAL__N_127rocblas_gemm_batched_kernelI19rocblas_complex_numIfELi16ELi16ELi32ELi32ELi8ELi32ELi8ELi8ELi32ELc67ELc67EKPKS2_S5_KPS2_EEvlllT_PT11_llSA_llS8_PT12_llPT13_lli.kd
    .uniform_work_group_size: 1
    .uses_dynamic_stack: false
    .vgpr_count:     92
    .vgpr_spill_count: 0
    .wavefront_size: 32
    .workgroup_processor_mode: 1
  - .args:
      - .offset:         0
        .size:           8
        .value_kind:     by_value
      - .offset:         8
        .size:           8
        .value_kind:     by_value
      - .offset:         16
        .size:           8
        .value_kind:     by_value
      - .offset:         24
        .size:           8
        .value_kind:     by_value
      - .address_space:  global
        .offset:         32
        .size:           8
        .value_kind:     global_buffer
      - .offset:         40
        .size:           8
        .value_kind:     by_value
      - .offset:         48
        .size:           8
        .value_kind:     by_value
      - .address_space:  global
        .offset:         56
        .size:           8
        .value_kind:     global_buffer
      - .offset:         64
        .size:           8
        .value_kind:     by_value
      - .offset:         72
        .size:           8
        .value_kind:     by_value
      - .offset:         80
        .size:           8
        .value_kind:     by_value
      - .address_space:  global
        .offset:         88
        .size:           8
        .value_kind:     global_buffer
      - .offset:         96
        .size:           8
        .value_kind:     by_value
      - .offset:         104
        .size:           8
        .value_kind:     by_value
      - .address_space:  global
        .offset:         112
        .size:           8
        .value_kind:     global_buffer
      - .offset:         120
        .size:           8
        .value_kind:     by_value
      - .offset:         128
        .size:           8
        .value_kind:     by_value
      - .offset:         136
        .size:           4
        .value_kind:     by_value
    .group_segment_fixed_size: 4096
    .kernarg_segment_align: 8
    .kernarg_segment_size: 140
    .language:       OpenCL C
    .language_version:
      - 2
      - 0
    .max_flat_workgroup_size: 256
    .name:           _ZN12_GLOBAL__N_127rocblas_gemm_batched_kernelI19rocblas_complex_numIfELi16ELi16ELi32ELi32ELi8ELi32ELi8ELi8ELi32ELc67ELc78EKPKS2_S5_KPS2_EEvlllT_PT11_llSA_llS8_PT12_llPT13_lli
    .private_segment_fixed_size: 0
    .sgpr_count:     46
    .sgpr_spill_count: 0
    .symbol:         _ZN12_GLOBAL__N_127rocblas_gemm_batched_kernelI19rocblas_complex_numIfELi16ELi16ELi32ELi32ELi8ELi32ELi8ELi8ELi32ELc67ELc78EKPKS2_S5_KPS2_EEvlllT_PT11_llSA_llS8_PT12_llPT13_lli.kd
    .uniform_work_group_size: 1
    .uses_dynamic_stack: false
    .vgpr_count:     92
    .vgpr_spill_count: 0
    .wavefront_size: 32
    .workgroup_processor_mode: 1
  - .args:
      - .offset:         0
        .size:           8
        .value_kind:     by_value
      - .offset:         8
        .size:           8
        .value_kind:     by_value
      - .offset:         16
        .size:           8
        .value_kind:     by_value
      - .offset:         24
        .size:           8
        .value_kind:     by_value
      - .address_space:  global
        .offset:         32
        .size:           8
        .value_kind:     global_buffer
      - .offset:         40
        .size:           8
        .value_kind:     by_value
      - .offset:         48
        .size:           8
        .value_kind:     by_value
      - .address_space:  global
        .offset:         56
        .size:           8
        .value_kind:     global_buffer
      - .offset:         64
        .size:           8
        .value_kind:     by_value
      - .offset:         72
        .size:           8
        .value_kind:     by_value
      - .offset:         80
        .size:           8
        .value_kind:     by_value
      - .address_space:  global
        .offset:         88
        .size:           8
        .value_kind:     global_buffer
      - .offset:         96
        .size:           8
        .value_kind:     by_value
      - .offset:         104
        .size:           8
        .value_kind:     by_value
      - .address_space:  global
        .offset:         112
        .size:           8
        .value_kind:     global_buffer
      - .offset:         120
        .size:           8
        .value_kind:     by_value
      - .offset:         128
        .size:           8
        .value_kind:     by_value
      - .offset:         136
        .size:           4
        .value_kind:     by_value
    .group_segment_fixed_size: 4096
    .kernarg_segment_align: 8
    .kernarg_segment_size: 140
    .language:       OpenCL C
    .language_version:
      - 2
      - 0
    .max_flat_workgroup_size: 256
    .name:           _ZN12_GLOBAL__N_127rocblas_gemm_batched_kernelI19rocblas_complex_numIfELi16ELi16ELi32ELi32ELi8ELi32ELi8ELi8ELi32ELc67ELc84EKPKS2_S5_KPS2_EEvlllT_PT11_llSA_llS8_PT12_llPT13_lli
    .private_segment_fixed_size: 0
    .sgpr_count:     46
    .sgpr_spill_count: 0
    .symbol:         _ZN12_GLOBAL__N_127rocblas_gemm_batched_kernelI19rocblas_complex_numIfELi16ELi16ELi32ELi32ELi8ELi32ELi8ELi8ELi32ELc67ELc84EKPKS2_S5_KPS2_EEvlllT_PT11_llSA_llS8_PT12_llPT13_lli.kd
    .uniform_work_group_size: 1
    .uses_dynamic_stack: false
    .vgpr_count:     92
    .vgpr_spill_count: 0
    .wavefront_size: 32
    .workgroup_processor_mode: 1
  - .args:
      - .offset:         0
        .size:           8
        .value_kind:     by_value
      - .offset:         8
        .size:           8
        .value_kind:     by_value
      - .offset:         16
        .size:           8
        .value_kind:     by_value
      - .offset:         24
        .size:           8
        .value_kind:     by_value
      - .address_space:  global
        .offset:         32
        .size:           8
        .value_kind:     global_buffer
      - .offset:         40
        .size:           8
        .value_kind:     by_value
      - .offset:         48
        .size:           8
        .value_kind:     by_value
      - .address_space:  global
        .offset:         56
        .size:           8
        .value_kind:     global_buffer
      - .offset:         64
        .size:           8
        .value_kind:     by_value
      - .offset:         72
        .size:           8
        .value_kind:     by_value
      - .offset:         80
        .size:           8
        .value_kind:     by_value
      - .address_space:  global
        .offset:         88
        .size:           8
        .value_kind:     global_buffer
      - .offset:         96
        .size:           8
        .value_kind:     by_value
      - .offset:         104
        .size:           8
        .value_kind:     by_value
      - .address_space:  global
        .offset:         112
        .size:           8
        .value_kind:     global_buffer
      - .offset:         120
        .size:           8
        .value_kind:     by_value
      - .offset:         128
        .size:           8
        .value_kind:     by_value
      - .offset:         136
        .size:           4
        .value_kind:     by_value
    .group_segment_fixed_size: 4096
    .kernarg_segment_align: 8
    .kernarg_segment_size: 140
    .language:       OpenCL C
    .language_version:
      - 2
      - 0
    .max_flat_workgroup_size: 256
    .name:           _ZN12_GLOBAL__N_127rocblas_gemm_batched_kernelI19rocblas_complex_numIfELi16ELi16ELi32ELi32ELi8ELi32ELi8ELi8ELi32ELc78ELc67EKPKS2_S5_KPS2_EEvlllT_PT11_llSA_llS8_PT12_llPT13_lli
    .private_segment_fixed_size: 0
    .sgpr_count:     46
    .sgpr_spill_count: 0
    .symbol:         _ZN12_GLOBAL__N_127rocblas_gemm_batched_kernelI19rocblas_complex_numIfELi16ELi16ELi32ELi32ELi8ELi32ELi8ELi8ELi32ELc78ELc67EKPKS2_S5_KPS2_EEvlllT_PT11_llSA_llS8_PT12_llPT13_lli.kd
    .uniform_work_group_size: 1
    .uses_dynamic_stack: false
    .vgpr_count:     92
    .vgpr_spill_count: 0
    .wavefront_size: 32
    .workgroup_processor_mode: 1
  - .args:
      - .offset:         0
        .size:           8
        .value_kind:     by_value
      - .offset:         8
        .size:           8
        .value_kind:     by_value
      - .offset:         16
        .size:           8
        .value_kind:     by_value
      - .offset:         24
        .size:           8
        .value_kind:     by_value
      - .address_space:  global
        .offset:         32
        .size:           8
        .value_kind:     global_buffer
      - .offset:         40
        .size:           8
        .value_kind:     by_value
      - .offset:         48
        .size:           8
        .value_kind:     by_value
      - .address_space:  global
        .offset:         56
        .size:           8
        .value_kind:     global_buffer
      - .offset:         64
        .size:           8
        .value_kind:     by_value
      - .offset:         72
        .size:           8
        .value_kind:     by_value
      - .offset:         80
        .size:           8
        .value_kind:     by_value
      - .address_space:  global
        .offset:         88
        .size:           8
        .value_kind:     global_buffer
      - .offset:         96
        .size:           8
        .value_kind:     by_value
      - .offset:         104
        .size:           8
        .value_kind:     by_value
      - .address_space:  global
        .offset:         112
        .size:           8
        .value_kind:     global_buffer
      - .offset:         120
        .size:           8
        .value_kind:     by_value
      - .offset:         128
        .size:           8
        .value_kind:     by_value
      - .offset:         136
        .size:           4
        .value_kind:     by_value
    .group_segment_fixed_size: 4096
    .kernarg_segment_align: 8
    .kernarg_segment_size: 140
    .language:       OpenCL C
    .language_version:
      - 2
      - 0
    .max_flat_workgroup_size: 256
    .name:           _ZN12_GLOBAL__N_127rocblas_gemm_batched_kernelI19rocblas_complex_numIfELi16ELi16ELi32ELi32ELi8ELi32ELi8ELi8ELi32ELc84ELc67EKPKS2_S5_KPS2_EEvlllT_PT11_llSA_llS8_PT12_llPT13_lli
    .private_segment_fixed_size: 0
    .sgpr_count:     46
    .sgpr_spill_count: 0
    .symbol:         _ZN12_GLOBAL__N_127rocblas_gemm_batched_kernelI19rocblas_complex_numIfELi16ELi16ELi32ELi32ELi8ELi32ELi8ELi8ELi32ELc84ELc67EKPKS2_S5_KPS2_EEvlllT_PT11_llSA_llS8_PT12_llPT13_lli.kd
    .uniform_work_group_size: 1
    .uses_dynamic_stack: false
    .vgpr_count:     92
    .vgpr_spill_count: 0
    .wavefront_size: 32
    .workgroup_processor_mode: 1
  - .args:
      - .offset:         0
        .size:           8
        .value_kind:     by_value
      - .offset:         8
        .size:           8
        .value_kind:     by_value
      - .offset:         16
        .size:           8
        .value_kind:     by_value
      - .offset:         24
        .size:           8
        .value_kind:     by_value
      - .address_space:  global
        .offset:         32
        .size:           8
        .value_kind:     global_buffer
      - .offset:         40
        .size:           8
        .value_kind:     by_value
      - .offset:         48
        .size:           8
        .value_kind:     by_value
      - .address_space:  global
        .offset:         56
        .size:           8
        .value_kind:     global_buffer
      - .offset:         64
        .size:           8
        .value_kind:     by_value
      - .offset:         72
        .size:           8
        .value_kind:     by_value
      - .offset:         80
        .size:           8
        .value_kind:     by_value
      - .address_space:  global
        .offset:         88
        .size:           8
        .value_kind:     global_buffer
      - .offset:         96
        .size:           8
        .value_kind:     by_value
      - .offset:         104
        .size:           8
        .value_kind:     by_value
      - .address_space:  global
        .offset:         112
        .size:           8
        .value_kind:     global_buffer
      - .offset:         120
        .size:           8
        .value_kind:     by_value
      - .offset:         128
        .size:           8
        .value_kind:     by_value
      - .offset:         136
        .size:           4
        .value_kind:     by_value
    .group_segment_fixed_size: 4096
    .kernarg_segment_align: 8
    .kernarg_segment_size: 140
    .language:       OpenCL C
    .language_version:
      - 2
      - 0
    .max_flat_workgroup_size: 256
    .name:           _ZN12_GLOBAL__N_135rocblas_gemm_batched_general_kernelI19rocblas_complex_numIfELi16ELi16ELi32ELi32ELi8ELi32ELi8ELi8ELi32ELc78ELc78EKPKS2_S5_KPS2_EEvlllT_PT11_llSA_llS8_PT12_llPT13_lli
    .private_segment_fixed_size: 0
    .sgpr_count:     48
    .sgpr_spill_count: 0
    .symbol:         _ZN12_GLOBAL__N_135rocblas_gemm_batched_general_kernelI19rocblas_complex_numIfELi16ELi16ELi32ELi32ELi8ELi32ELi8ELi8ELi32ELc78ELc78EKPKS2_S5_KPS2_EEvlllT_PT11_llSA_llS8_PT12_llPT13_lli.kd
    .uniform_work_group_size: 1
    .uses_dynamic_stack: false
    .vgpr_count:     59
    .vgpr_spill_count: 0
    .wavefront_size: 32
    .workgroup_processor_mode: 1
  - .args:
      - .offset:         0
        .size:           8
        .value_kind:     by_value
      - .offset:         8
        .size:           8
        .value_kind:     by_value
      - .offset:         16
        .size:           8
        .value_kind:     by_value
      - .offset:         24
        .size:           8
        .value_kind:     by_value
      - .address_space:  global
        .offset:         32
        .size:           8
        .value_kind:     global_buffer
      - .offset:         40
        .size:           8
        .value_kind:     by_value
      - .offset:         48
        .size:           8
        .value_kind:     by_value
      - .address_space:  global
        .offset:         56
        .size:           8
        .value_kind:     global_buffer
      - .offset:         64
        .size:           8
        .value_kind:     by_value
      - .offset:         72
        .size:           8
        .value_kind:     by_value
      - .offset:         80
        .size:           8
        .value_kind:     by_value
      - .address_space:  global
        .offset:         88
        .size:           8
        .value_kind:     global_buffer
      - .offset:         96
        .size:           8
        .value_kind:     by_value
      - .offset:         104
        .size:           8
        .value_kind:     by_value
      - .address_space:  global
        .offset:         112
        .size:           8
        .value_kind:     global_buffer
      - .offset:         120
        .size:           8
        .value_kind:     by_value
      - .offset:         128
        .size:           8
        .value_kind:     by_value
      - .offset:         136
        .size:           4
        .value_kind:     by_value
    .group_segment_fixed_size: 4096
    .kernarg_segment_align: 8
    .kernarg_segment_size: 140
    .language:       OpenCL C
    .language_version:
      - 2
      - 0
    .max_flat_workgroup_size: 256
    .name:           _ZN12_GLOBAL__N_135rocblas_gemm_batched_general_kernelI19rocblas_complex_numIfELi16ELi16ELi32ELi32ELi8ELi32ELi8ELi8ELi32ELc84ELc78EKPKS2_S5_KPS2_EEvlllT_PT11_llSA_llS8_PT12_llPT13_lli
    .private_segment_fixed_size: 0
    .sgpr_count:     48
    .sgpr_spill_count: 0
    .symbol:         _ZN12_GLOBAL__N_135rocblas_gemm_batched_general_kernelI19rocblas_complex_numIfELi16ELi16ELi32ELi32ELi8ELi32ELi8ELi8ELi32ELc84ELc78EKPKS2_S5_KPS2_EEvlllT_PT11_llSA_llS8_PT12_llPT13_lli.kd
    .uniform_work_group_size: 1
    .uses_dynamic_stack: false
    .vgpr_count:     59
    .vgpr_spill_count: 0
    .wavefront_size: 32
    .workgroup_processor_mode: 1
  - .args:
      - .offset:         0
        .size:           8
        .value_kind:     by_value
      - .offset:         8
        .size:           8
        .value_kind:     by_value
      - .offset:         16
        .size:           8
        .value_kind:     by_value
      - .offset:         24
        .size:           8
        .value_kind:     by_value
      - .address_space:  global
        .offset:         32
        .size:           8
        .value_kind:     global_buffer
      - .offset:         40
        .size:           8
        .value_kind:     by_value
      - .offset:         48
        .size:           8
        .value_kind:     by_value
      - .address_space:  global
        .offset:         56
        .size:           8
        .value_kind:     global_buffer
      - .offset:         64
        .size:           8
        .value_kind:     by_value
      - .offset:         72
        .size:           8
        .value_kind:     by_value
      - .offset:         80
        .size:           8
        .value_kind:     by_value
      - .address_space:  global
        .offset:         88
        .size:           8
        .value_kind:     global_buffer
      - .offset:         96
        .size:           8
        .value_kind:     by_value
      - .offset:         104
        .size:           8
        .value_kind:     by_value
      - .address_space:  global
        .offset:         112
        .size:           8
        .value_kind:     global_buffer
      - .offset:         120
        .size:           8
        .value_kind:     by_value
      - .offset:         128
        .size:           8
        .value_kind:     by_value
      - .offset:         136
        .size:           4
        .value_kind:     by_value
    .group_segment_fixed_size: 4096
    .kernarg_segment_align: 8
    .kernarg_segment_size: 140
    .language:       OpenCL C
    .language_version:
      - 2
      - 0
    .max_flat_workgroup_size: 256
    .name:           _ZN12_GLOBAL__N_135rocblas_gemm_batched_general_kernelI19rocblas_complex_numIfELi16ELi16ELi32ELi32ELi8ELi32ELi8ELi8ELi32ELc78ELc84EKPKS2_S5_KPS2_EEvlllT_PT11_llSA_llS8_PT12_llPT13_lli
    .private_segment_fixed_size: 0
    .sgpr_count:     50
    .sgpr_spill_count: 0
    .symbol:         _ZN12_GLOBAL__N_135rocblas_gemm_batched_general_kernelI19rocblas_complex_numIfELi16ELi16ELi32ELi32ELi8ELi32ELi8ELi8ELi32ELc78ELc84EKPKS2_S5_KPS2_EEvlllT_PT11_llSA_llS8_PT12_llPT13_lli.kd
    .uniform_work_group_size: 1
    .uses_dynamic_stack: false
    .vgpr_count:     59
    .vgpr_spill_count: 0
    .wavefront_size: 32
    .workgroup_processor_mode: 1
  - .args:
      - .offset:         0
        .size:           8
        .value_kind:     by_value
      - .offset:         8
        .size:           8
        .value_kind:     by_value
      - .offset:         16
        .size:           8
        .value_kind:     by_value
      - .offset:         24
        .size:           8
        .value_kind:     by_value
      - .address_space:  global
        .offset:         32
        .size:           8
        .value_kind:     global_buffer
      - .offset:         40
        .size:           8
        .value_kind:     by_value
      - .offset:         48
        .size:           8
        .value_kind:     by_value
      - .address_space:  global
        .offset:         56
        .size:           8
        .value_kind:     global_buffer
      - .offset:         64
        .size:           8
        .value_kind:     by_value
      - .offset:         72
        .size:           8
        .value_kind:     by_value
      - .offset:         80
        .size:           8
        .value_kind:     by_value
      - .address_space:  global
        .offset:         88
        .size:           8
        .value_kind:     global_buffer
      - .offset:         96
        .size:           8
        .value_kind:     by_value
      - .offset:         104
        .size:           8
        .value_kind:     by_value
      - .address_space:  global
        .offset:         112
        .size:           8
        .value_kind:     global_buffer
      - .offset:         120
        .size:           8
        .value_kind:     by_value
      - .offset:         128
        .size:           8
        .value_kind:     by_value
      - .offset:         136
        .size:           4
        .value_kind:     by_value
    .group_segment_fixed_size: 4096
    .kernarg_segment_align: 8
    .kernarg_segment_size: 140
    .language:       OpenCL C
    .language_version:
      - 2
      - 0
    .max_flat_workgroup_size: 256
    .name:           _ZN12_GLOBAL__N_135rocblas_gemm_batched_general_kernelI19rocblas_complex_numIfELi16ELi16ELi32ELi32ELi8ELi32ELi8ELi8ELi32ELc84ELc84EKPKS2_S5_KPS2_EEvlllT_PT11_llSA_llS8_PT12_llPT13_lli
    .private_segment_fixed_size: 0
    .sgpr_count:     48
    .sgpr_spill_count: 0
    .symbol:         _ZN12_GLOBAL__N_135rocblas_gemm_batched_general_kernelI19rocblas_complex_numIfELi16ELi16ELi32ELi32ELi8ELi32ELi8ELi8ELi32ELc84ELc84EKPKS2_S5_KPS2_EEvlllT_PT11_llSA_llS8_PT12_llPT13_lli.kd
    .uniform_work_group_size: 1
    .uses_dynamic_stack: false
    .vgpr_count:     59
    .vgpr_spill_count: 0
    .wavefront_size: 32
    .workgroup_processor_mode: 1
  - .args:
      - .offset:         0
        .size:           8
        .value_kind:     by_value
      - .offset:         8
        .size:           8
        .value_kind:     by_value
      - .offset:         16
        .size:           8
        .value_kind:     by_value
      - .offset:         24
        .size:           8
        .value_kind:     by_value
      - .address_space:  global
        .offset:         32
        .size:           8
        .value_kind:     global_buffer
      - .offset:         40
        .size:           8
        .value_kind:     by_value
      - .offset:         48
        .size:           8
        .value_kind:     by_value
      - .address_space:  global
        .offset:         56
        .size:           8
        .value_kind:     global_buffer
      - .offset:         64
        .size:           8
        .value_kind:     by_value
      - .offset:         72
        .size:           8
        .value_kind:     by_value
      - .offset:         80
        .size:           8
        .value_kind:     by_value
      - .address_space:  global
        .offset:         88
        .size:           8
        .value_kind:     global_buffer
      - .offset:         96
        .size:           8
        .value_kind:     by_value
      - .offset:         104
        .size:           8
        .value_kind:     by_value
      - .address_space:  global
        .offset:         112
        .size:           8
        .value_kind:     global_buffer
      - .offset:         120
        .size:           8
        .value_kind:     by_value
      - .offset:         128
        .size:           8
        .value_kind:     by_value
      - .offset:         136
        .size:           4
        .value_kind:     by_value
    .group_segment_fixed_size: 4096
    .kernarg_segment_align: 8
    .kernarg_segment_size: 140
    .language:       OpenCL C
    .language_version:
      - 2
      - 0
    .max_flat_workgroup_size: 256
    .name:           _ZN12_GLOBAL__N_135rocblas_gemm_batched_general_kernelI19rocblas_complex_numIfELi16ELi16ELi32ELi32ELi8ELi32ELi8ELi8ELi32ELc67ELc67EKPKS2_S5_KPS2_EEvlllT_PT11_llSA_llS8_PT12_llPT13_lli
    .private_segment_fixed_size: 0
    .sgpr_count:     48
    .sgpr_spill_count: 0
    .symbol:         _ZN12_GLOBAL__N_135rocblas_gemm_batched_general_kernelI19rocblas_complex_numIfELi16ELi16ELi32ELi32ELi8ELi32ELi8ELi8ELi32ELc67ELc67EKPKS2_S5_KPS2_EEvlllT_PT11_llSA_llS8_PT12_llPT13_lli.kd
    .uniform_work_group_size: 1
    .uses_dynamic_stack: false
    .vgpr_count:     59
    .vgpr_spill_count: 0
    .wavefront_size: 32
    .workgroup_processor_mode: 1
  - .args:
      - .offset:         0
        .size:           8
        .value_kind:     by_value
      - .offset:         8
        .size:           8
        .value_kind:     by_value
      - .offset:         16
        .size:           8
        .value_kind:     by_value
      - .offset:         24
        .size:           8
        .value_kind:     by_value
      - .address_space:  global
        .offset:         32
        .size:           8
        .value_kind:     global_buffer
      - .offset:         40
        .size:           8
        .value_kind:     by_value
      - .offset:         48
        .size:           8
        .value_kind:     by_value
      - .address_space:  global
        .offset:         56
        .size:           8
        .value_kind:     global_buffer
      - .offset:         64
        .size:           8
        .value_kind:     by_value
      - .offset:         72
        .size:           8
        .value_kind:     by_value
      - .offset:         80
        .size:           8
        .value_kind:     by_value
      - .address_space:  global
        .offset:         88
        .size:           8
        .value_kind:     global_buffer
      - .offset:         96
        .size:           8
        .value_kind:     by_value
      - .offset:         104
        .size:           8
        .value_kind:     by_value
      - .address_space:  global
        .offset:         112
        .size:           8
        .value_kind:     global_buffer
      - .offset:         120
        .size:           8
        .value_kind:     by_value
      - .offset:         128
        .size:           8
        .value_kind:     by_value
      - .offset:         136
        .size:           4
        .value_kind:     by_value
    .group_segment_fixed_size: 4096
    .kernarg_segment_align: 8
    .kernarg_segment_size: 140
    .language:       OpenCL C
    .language_version:
      - 2
      - 0
    .max_flat_workgroup_size: 256
    .name:           _ZN12_GLOBAL__N_135rocblas_gemm_batched_general_kernelI19rocblas_complex_numIfELi16ELi16ELi32ELi32ELi8ELi32ELi8ELi8ELi32ELc67ELc78EKPKS2_S5_KPS2_EEvlllT_PT11_llSA_llS8_PT12_llPT13_lli
    .private_segment_fixed_size: 0
    .sgpr_count:     48
    .sgpr_spill_count: 0
    .symbol:         _ZN12_GLOBAL__N_135rocblas_gemm_batched_general_kernelI19rocblas_complex_numIfELi16ELi16ELi32ELi32ELi8ELi32ELi8ELi8ELi32ELc67ELc78EKPKS2_S5_KPS2_EEvlllT_PT11_llSA_llS8_PT12_llPT13_lli.kd
    .uniform_work_group_size: 1
    .uses_dynamic_stack: false
    .vgpr_count:     59
    .vgpr_spill_count: 0
    .wavefront_size: 32
    .workgroup_processor_mode: 1
  - .args:
      - .offset:         0
        .size:           8
        .value_kind:     by_value
      - .offset:         8
        .size:           8
        .value_kind:     by_value
      - .offset:         16
        .size:           8
        .value_kind:     by_value
      - .offset:         24
        .size:           8
        .value_kind:     by_value
      - .address_space:  global
        .offset:         32
        .size:           8
        .value_kind:     global_buffer
      - .offset:         40
        .size:           8
        .value_kind:     by_value
      - .offset:         48
        .size:           8
        .value_kind:     by_value
      - .address_space:  global
        .offset:         56
        .size:           8
        .value_kind:     global_buffer
      - .offset:         64
        .size:           8
        .value_kind:     by_value
      - .offset:         72
        .size:           8
        .value_kind:     by_value
      - .offset:         80
        .size:           8
        .value_kind:     by_value
      - .address_space:  global
        .offset:         88
        .size:           8
        .value_kind:     global_buffer
      - .offset:         96
        .size:           8
        .value_kind:     by_value
      - .offset:         104
        .size:           8
        .value_kind:     by_value
      - .address_space:  global
        .offset:         112
        .size:           8
        .value_kind:     global_buffer
      - .offset:         120
        .size:           8
        .value_kind:     by_value
      - .offset:         128
        .size:           8
        .value_kind:     by_value
      - .offset:         136
        .size:           4
        .value_kind:     by_value
    .group_segment_fixed_size: 4096
    .kernarg_segment_align: 8
    .kernarg_segment_size: 140
    .language:       OpenCL C
    .language_version:
      - 2
      - 0
    .max_flat_workgroup_size: 256
    .name:           _ZN12_GLOBAL__N_135rocblas_gemm_batched_general_kernelI19rocblas_complex_numIfELi16ELi16ELi32ELi32ELi8ELi32ELi8ELi8ELi32ELc67ELc84EKPKS2_S5_KPS2_EEvlllT_PT11_llSA_llS8_PT12_llPT13_lli
    .private_segment_fixed_size: 0
    .sgpr_count:     48
    .sgpr_spill_count: 0
    .symbol:         _ZN12_GLOBAL__N_135rocblas_gemm_batched_general_kernelI19rocblas_complex_numIfELi16ELi16ELi32ELi32ELi8ELi32ELi8ELi8ELi32ELc67ELc84EKPKS2_S5_KPS2_EEvlllT_PT11_llSA_llS8_PT12_llPT13_lli.kd
    .uniform_work_group_size: 1
    .uses_dynamic_stack: false
    .vgpr_count:     59
    .vgpr_spill_count: 0
    .wavefront_size: 32
    .workgroup_processor_mode: 1
  - .args:
      - .offset:         0
        .size:           8
        .value_kind:     by_value
      - .offset:         8
        .size:           8
        .value_kind:     by_value
      - .offset:         16
        .size:           8
        .value_kind:     by_value
      - .offset:         24
        .size:           8
        .value_kind:     by_value
      - .address_space:  global
        .offset:         32
        .size:           8
        .value_kind:     global_buffer
      - .offset:         40
        .size:           8
        .value_kind:     by_value
      - .offset:         48
        .size:           8
        .value_kind:     by_value
      - .address_space:  global
        .offset:         56
        .size:           8
        .value_kind:     global_buffer
      - .offset:         64
        .size:           8
        .value_kind:     by_value
      - .offset:         72
        .size:           8
        .value_kind:     by_value
      - .offset:         80
        .size:           8
        .value_kind:     by_value
      - .address_space:  global
        .offset:         88
        .size:           8
        .value_kind:     global_buffer
      - .offset:         96
        .size:           8
        .value_kind:     by_value
      - .offset:         104
        .size:           8
        .value_kind:     by_value
      - .address_space:  global
        .offset:         112
        .size:           8
        .value_kind:     global_buffer
      - .offset:         120
        .size:           8
        .value_kind:     by_value
      - .offset:         128
        .size:           8
        .value_kind:     by_value
      - .offset:         136
        .size:           4
        .value_kind:     by_value
    .group_segment_fixed_size: 4096
    .kernarg_segment_align: 8
    .kernarg_segment_size: 140
    .language:       OpenCL C
    .language_version:
      - 2
      - 0
    .max_flat_workgroup_size: 256
    .name:           _ZN12_GLOBAL__N_135rocblas_gemm_batched_general_kernelI19rocblas_complex_numIfELi16ELi16ELi32ELi32ELi8ELi32ELi8ELi8ELi32ELc78ELc67EKPKS2_S5_KPS2_EEvlllT_PT11_llSA_llS8_PT12_llPT13_lli
    .private_segment_fixed_size: 0
    .sgpr_count:     50
    .sgpr_spill_count: 0
    .symbol:         _ZN12_GLOBAL__N_135rocblas_gemm_batched_general_kernelI19rocblas_complex_numIfELi16ELi16ELi32ELi32ELi8ELi32ELi8ELi8ELi32ELc78ELc67EKPKS2_S5_KPS2_EEvlllT_PT11_llSA_llS8_PT12_llPT13_lli.kd
    .uniform_work_group_size: 1
    .uses_dynamic_stack: false
    .vgpr_count:     59
    .vgpr_spill_count: 0
    .wavefront_size: 32
    .workgroup_processor_mode: 1
  - .args:
      - .offset:         0
        .size:           8
        .value_kind:     by_value
      - .offset:         8
        .size:           8
        .value_kind:     by_value
      - .offset:         16
        .size:           8
        .value_kind:     by_value
      - .offset:         24
        .size:           8
        .value_kind:     by_value
      - .address_space:  global
        .offset:         32
        .size:           8
        .value_kind:     global_buffer
      - .offset:         40
        .size:           8
        .value_kind:     by_value
      - .offset:         48
        .size:           8
        .value_kind:     by_value
      - .address_space:  global
        .offset:         56
        .size:           8
        .value_kind:     global_buffer
      - .offset:         64
        .size:           8
        .value_kind:     by_value
      - .offset:         72
        .size:           8
        .value_kind:     by_value
      - .offset:         80
        .size:           8
        .value_kind:     by_value
      - .address_space:  global
        .offset:         88
        .size:           8
        .value_kind:     global_buffer
      - .offset:         96
        .size:           8
        .value_kind:     by_value
      - .offset:         104
        .size:           8
        .value_kind:     by_value
      - .address_space:  global
        .offset:         112
        .size:           8
        .value_kind:     global_buffer
      - .offset:         120
        .size:           8
        .value_kind:     by_value
      - .offset:         128
        .size:           8
        .value_kind:     by_value
      - .offset:         136
        .size:           4
        .value_kind:     by_value
    .group_segment_fixed_size: 4096
    .kernarg_segment_align: 8
    .kernarg_segment_size: 140
    .language:       OpenCL C
    .language_version:
      - 2
      - 0
    .max_flat_workgroup_size: 256
    .name:           _ZN12_GLOBAL__N_135rocblas_gemm_batched_general_kernelI19rocblas_complex_numIfELi16ELi16ELi32ELi32ELi8ELi32ELi8ELi8ELi32ELc84ELc67EKPKS2_S5_KPS2_EEvlllT_PT11_llSA_llS8_PT12_llPT13_lli
    .private_segment_fixed_size: 0
    .sgpr_count:     48
    .sgpr_spill_count: 0
    .symbol:         _ZN12_GLOBAL__N_135rocblas_gemm_batched_general_kernelI19rocblas_complex_numIfELi16ELi16ELi32ELi32ELi8ELi32ELi8ELi8ELi32ELc84ELc67EKPKS2_S5_KPS2_EEvlllT_PT11_llSA_llS8_PT12_llPT13_lli.kd
    .uniform_work_group_size: 1
    .uses_dynamic_stack: false
    .vgpr_count:     59
    .vgpr_spill_count: 0
    .wavefront_size: 32
    .workgroup_processor_mode: 1
  - .args:
      - .offset:         0
        .size:           4
        .value_kind:     by_value
      - .offset:         4
        .size:           4
        .value_kind:     by_value
      - .offset:         8
        .size:           16
        .value_kind:     by_value
      - .address_space:  global
        .offset:         24
        .size:           8
        .value_kind:     global_buffer
      - .offset:         32
        .size:           8
        .value_kind:     by_value
      - .offset:         40
        .size:           8
        .value_kind:     by_value
      - .offset:         48
        .size:           8
        .value_kind:     by_value
      - .address_space:  global
        .offset:         56
        .size:           8
        .value_kind:     global_buffer
      - .offset:         64
        .size:           8
        .value_kind:     by_value
      - .offset:         72
        .size:           8
        .value_kind:     by_value
      - .offset:         80
        .size:           8
        .value_kind:     by_value
      - .offset:         88
        .size:           4
        .value_kind:     by_value
    .group_segment_fixed_size: 0
    .kernarg_segment_align: 8
    .kernarg_segment_size: 92
    .language:       OpenCL C
    .language_version:
      - 2
      - 0
    .max_flat_workgroup_size: 1024
    .name:           _ZN12_GLOBAL__N_120gemm_ex_scale_kernelILi32ELi32E19rocblas_complex_numIdEPKPKS2_PKPS2_EEviiT1_T2_lllT3_llli
    .private_segment_fixed_size: 0
    .sgpr_count:     25
    .sgpr_spill_count: 0
    .symbol:         _ZN12_GLOBAL__N_120gemm_ex_scale_kernelILi32ELi32E19rocblas_complex_numIdEPKPKS2_PKPS2_EEviiT1_T2_lllT3_llli.kd
    .uniform_work_group_size: 1
    .uses_dynamic_stack: false
    .vgpr_count:     11
    .vgpr_spill_count: 0
    .wavefront_size: 32
    .workgroup_processor_mode: 1
  - .args:
      - .offset:         0
        .size:           8
        .value_kind:     by_value
      - .offset:         8
        .size:           8
        .value_kind:     by_value
      - .offset:         16
        .size:           8
        .value_kind:     by_value
      - .offset:         24
        .size:           16
        .value_kind:     by_value
      - .address_space:  global
        .offset:         40
        .size:           8
        .value_kind:     global_buffer
      - .offset:         48
        .size:           8
        .value_kind:     by_value
      - .offset:         56
        .size:           8
        .value_kind:     by_value
      - .address_space:  global
        .offset:         64
        .size:           8
        .value_kind:     global_buffer
      - .offset:         72
        .size:           8
        .value_kind:     by_value
      - .offset:         80
        .size:           8
        .value_kind:     by_value
      - .offset:         88
        .size:           16
        .value_kind:     by_value
      - .address_space:  global
        .offset:         104
        .size:           8
        .value_kind:     global_buffer
      - .offset:         112
        .size:           8
        .value_kind:     by_value
      - .offset:         120
        .size:           8
        .value_kind:     by_value
      - .address_space:  global
        .offset:         128
        .size:           8
        .value_kind:     global_buffer
      - .offset:         136
        .size:           8
        .value_kind:     by_value
      - .offset:         144
        .size:           8
        .value_kind:     by_value
      - .offset:         152
        .size:           4
        .value_kind:     by_value
    .group_segment_fixed_size: 8192
    .kernarg_segment_align: 8
    .kernarg_segment_size: 156
    .language:       OpenCL C
    .language_version:
      - 2
      - 0
    .max_flat_workgroup_size: 256
    .name:           _ZN12_GLOBAL__N_127rocblas_gemm_batched_kernelI19rocblas_complex_numIdELi16ELi16ELi64ELi64ELi4ELi64ELi4ELi4ELi64ELc78ELc78EKPKS2_S5_KPS2_EEvlllT_PT11_llSA_llS8_PT12_llPT13_lli
    .private_segment_fixed_size: 0
    .sgpr_count:     54
    .sgpr_spill_count: 0
    .symbol:         _ZN12_GLOBAL__N_127rocblas_gemm_batched_kernelI19rocblas_complex_numIdELi16ELi16ELi64ELi64ELi4ELi64ELi4ELi4ELi64ELc78ELc78EKPKS2_S5_KPS2_EEvlllT_PT11_llSA_llS8_PT12_llPT13_lli.kd
    .uniform_work_group_size: 1
    .uses_dynamic_stack: false
    .vgpr_count:     138
    .vgpr_spill_count: 0
    .wavefront_size: 32
    .workgroup_processor_mode: 1
  - .args:
      - .offset:         0
        .size:           8
        .value_kind:     by_value
      - .offset:         8
        .size:           8
        .value_kind:     by_value
      - .offset:         16
        .size:           8
        .value_kind:     by_value
      - .offset:         24
        .size:           16
        .value_kind:     by_value
      - .address_space:  global
        .offset:         40
        .size:           8
        .value_kind:     global_buffer
      - .offset:         48
        .size:           8
        .value_kind:     by_value
      - .offset:         56
        .size:           8
        .value_kind:     by_value
      - .address_space:  global
        .offset:         64
        .size:           8
        .value_kind:     global_buffer
      - .offset:         72
        .size:           8
        .value_kind:     by_value
      - .offset:         80
        .size:           8
        .value_kind:     by_value
      - .offset:         88
        .size:           16
        .value_kind:     by_value
      - .address_space:  global
        .offset:         104
        .size:           8
        .value_kind:     global_buffer
      - .offset:         112
        .size:           8
        .value_kind:     by_value
      - .offset:         120
        .size:           8
        .value_kind:     by_value
      - .address_space:  global
        .offset:         128
        .size:           8
        .value_kind:     global_buffer
      - .offset:         136
        .size:           8
        .value_kind:     by_value
      - .offset:         144
        .size:           8
        .value_kind:     by_value
      - .offset:         152
        .size:           4
        .value_kind:     by_value
    .group_segment_fixed_size: 8192
    .kernarg_segment_align: 8
    .kernarg_segment_size: 156
    .language:       OpenCL C
    .language_version:
      - 2
      - 0
    .max_flat_workgroup_size: 256
    .name:           _ZN12_GLOBAL__N_127rocblas_gemm_batched_kernelI19rocblas_complex_numIdELi16ELi16ELi64ELi64ELi4ELi64ELi4ELi4ELi64ELc84ELc78EKPKS2_S5_KPS2_EEvlllT_PT11_llSA_llS8_PT12_llPT13_lli
    .private_segment_fixed_size: 0
    .sgpr_count:     54
    .sgpr_spill_count: 0
    .symbol:         _ZN12_GLOBAL__N_127rocblas_gemm_batched_kernelI19rocblas_complex_numIdELi16ELi16ELi64ELi64ELi4ELi64ELi4ELi4ELi64ELc84ELc78EKPKS2_S5_KPS2_EEvlllT_PT11_llSA_llS8_PT12_llPT13_lli.kd
    .uniform_work_group_size: 1
    .uses_dynamic_stack: false
    .vgpr_count:     138
    .vgpr_spill_count: 0
    .wavefront_size: 32
    .workgroup_processor_mode: 1
  - .args:
      - .offset:         0
        .size:           8
        .value_kind:     by_value
      - .offset:         8
        .size:           8
        .value_kind:     by_value
      - .offset:         16
        .size:           8
        .value_kind:     by_value
      - .offset:         24
        .size:           16
        .value_kind:     by_value
      - .address_space:  global
        .offset:         40
        .size:           8
        .value_kind:     global_buffer
      - .offset:         48
        .size:           8
        .value_kind:     by_value
      - .offset:         56
        .size:           8
        .value_kind:     by_value
      - .address_space:  global
        .offset:         64
        .size:           8
        .value_kind:     global_buffer
      - .offset:         72
        .size:           8
        .value_kind:     by_value
      - .offset:         80
        .size:           8
        .value_kind:     by_value
      - .offset:         88
        .size:           16
        .value_kind:     by_value
      - .address_space:  global
        .offset:         104
        .size:           8
        .value_kind:     global_buffer
      - .offset:         112
        .size:           8
        .value_kind:     by_value
      - .offset:         120
        .size:           8
        .value_kind:     by_value
      - .address_space:  global
        .offset:         128
        .size:           8
        .value_kind:     global_buffer
      - .offset:         136
        .size:           8
        .value_kind:     by_value
      - .offset:         144
        .size:           8
        .value_kind:     by_value
      - .offset:         152
        .size:           4
        .value_kind:     by_value
    .group_segment_fixed_size: 8192
    .kernarg_segment_align: 8
    .kernarg_segment_size: 156
    .language:       OpenCL C
    .language_version:
      - 2
      - 0
    .max_flat_workgroup_size: 256
    .name:           _ZN12_GLOBAL__N_127rocblas_gemm_batched_kernelI19rocblas_complex_numIdELi16ELi16ELi64ELi64ELi4ELi64ELi4ELi4ELi64ELc78ELc84EKPKS2_S5_KPS2_EEvlllT_PT11_llSA_llS8_PT12_llPT13_lli
    .private_segment_fixed_size: 0
    .sgpr_count:     54
    .sgpr_spill_count: 0
    .symbol:         _ZN12_GLOBAL__N_127rocblas_gemm_batched_kernelI19rocblas_complex_numIdELi16ELi16ELi64ELi64ELi4ELi64ELi4ELi4ELi64ELc78ELc84EKPKS2_S5_KPS2_EEvlllT_PT11_llSA_llS8_PT12_llPT13_lli.kd
    .uniform_work_group_size: 1
    .uses_dynamic_stack: false
    .vgpr_count:     138
    .vgpr_spill_count: 0
    .wavefront_size: 32
    .workgroup_processor_mode: 1
  - .args:
      - .offset:         0
        .size:           8
        .value_kind:     by_value
      - .offset:         8
        .size:           8
        .value_kind:     by_value
      - .offset:         16
        .size:           8
        .value_kind:     by_value
      - .offset:         24
        .size:           16
        .value_kind:     by_value
      - .address_space:  global
        .offset:         40
        .size:           8
        .value_kind:     global_buffer
      - .offset:         48
        .size:           8
        .value_kind:     by_value
      - .offset:         56
        .size:           8
        .value_kind:     by_value
      - .address_space:  global
        .offset:         64
        .size:           8
        .value_kind:     global_buffer
      - .offset:         72
        .size:           8
        .value_kind:     by_value
      - .offset:         80
        .size:           8
        .value_kind:     by_value
      - .offset:         88
        .size:           16
        .value_kind:     by_value
      - .address_space:  global
        .offset:         104
        .size:           8
        .value_kind:     global_buffer
      - .offset:         112
        .size:           8
        .value_kind:     by_value
      - .offset:         120
        .size:           8
        .value_kind:     by_value
      - .address_space:  global
        .offset:         128
        .size:           8
        .value_kind:     global_buffer
      - .offset:         136
        .size:           8
        .value_kind:     by_value
      - .offset:         144
        .size:           8
        .value_kind:     by_value
      - .offset:         152
        .size:           4
        .value_kind:     by_value
    .group_segment_fixed_size: 8192
    .kernarg_segment_align: 8
    .kernarg_segment_size: 156
    .language:       OpenCL C
    .language_version:
      - 2
      - 0
    .max_flat_workgroup_size: 256
    .name:           _ZN12_GLOBAL__N_127rocblas_gemm_batched_kernelI19rocblas_complex_numIdELi16ELi16ELi64ELi64ELi4ELi64ELi4ELi4ELi64ELc84ELc84EKPKS2_S5_KPS2_EEvlllT_PT11_llSA_llS8_PT12_llPT13_lli
    .private_segment_fixed_size: 0
    .sgpr_count:     54
    .sgpr_spill_count: 0
    .symbol:         _ZN12_GLOBAL__N_127rocblas_gemm_batched_kernelI19rocblas_complex_numIdELi16ELi16ELi64ELi64ELi4ELi64ELi4ELi4ELi64ELc84ELc84EKPKS2_S5_KPS2_EEvlllT_PT11_llSA_llS8_PT12_llPT13_lli.kd
    .uniform_work_group_size: 1
    .uses_dynamic_stack: false
    .vgpr_count:     138
    .vgpr_spill_count: 0
    .wavefront_size: 32
    .workgroup_processor_mode: 1
  - .args:
      - .offset:         0
        .size:           8
        .value_kind:     by_value
      - .offset:         8
        .size:           8
        .value_kind:     by_value
      - .offset:         16
        .size:           8
        .value_kind:     by_value
      - .offset:         24
        .size:           16
        .value_kind:     by_value
      - .address_space:  global
        .offset:         40
        .size:           8
        .value_kind:     global_buffer
      - .offset:         48
        .size:           8
        .value_kind:     by_value
      - .offset:         56
        .size:           8
        .value_kind:     by_value
      - .address_space:  global
        .offset:         64
        .size:           8
        .value_kind:     global_buffer
      - .offset:         72
        .size:           8
        .value_kind:     by_value
      - .offset:         80
        .size:           8
        .value_kind:     by_value
      - .offset:         88
        .size:           16
        .value_kind:     by_value
      - .address_space:  global
        .offset:         104
        .size:           8
        .value_kind:     global_buffer
      - .offset:         112
        .size:           8
        .value_kind:     by_value
      - .offset:         120
        .size:           8
        .value_kind:     by_value
      - .address_space:  global
        .offset:         128
        .size:           8
        .value_kind:     global_buffer
      - .offset:         136
        .size:           8
        .value_kind:     by_value
      - .offset:         144
        .size:           8
        .value_kind:     by_value
      - .offset:         152
        .size:           4
        .value_kind:     by_value
    .group_segment_fixed_size: 8192
    .kernarg_segment_align: 8
    .kernarg_segment_size: 156
    .language:       OpenCL C
    .language_version:
      - 2
      - 0
    .max_flat_workgroup_size: 256
    .name:           _ZN12_GLOBAL__N_127rocblas_gemm_batched_kernelI19rocblas_complex_numIdELi16ELi16ELi64ELi64ELi4ELi64ELi4ELi4ELi64ELc67ELc67EKPKS2_S5_KPS2_EEvlllT_PT11_llSA_llS8_PT12_llPT13_lli
    .private_segment_fixed_size: 0
    .sgpr_count:     54
    .sgpr_spill_count: 0
    .symbol:         _ZN12_GLOBAL__N_127rocblas_gemm_batched_kernelI19rocblas_complex_numIdELi16ELi16ELi64ELi64ELi4ELi64ELi4ELi4ELi64ELc67ELc67EKPKS2_S5_KPS2_EEvlllT_PT11_llSA_llS8_PT12_llPT13_lli.kd
    .uniform_work_group_size: 1
    .uses_dynamic_stack: false
    .vgpr_count:     138
    .vgpr_spill_count: 0
    .wavefront_size: 32
    .workgroup_processor_mode: 1
  - .args:
      - .offset:         0
        .size:           8
        .value_kind:     by_value
      - .offset:         8
        .size:           8
        .value_kind:     by_value
      - .offset:         16
        .size:           8
        .value_kind:     by_value
      - .offset:         24
        .size:           16
        .value_kind:     by_value
      - .address_space:  global
        .offset:         40
        .size:           8
        .value_kind:     global_buffer
      - .offset:         48
        .size:           8
        .value_kind:     by_value
      - .offset:         56
        .size:           8
        .value_kind:     by_value
      - .address_space:  global
        .offset:         64
        .size:           8
        .value_kind:     global_buffer
      - .offset:         72
        .size:           8
        .value_kind:     by_value
      - .offset:         80
        .size:           8
        .value_kind:     by_value
      - .offset:         88
        .size:           16
        .value_kind:     by_value
      - .address_space:  global
        .offset:         104
        .size:           8
        .value_kind:     global_buffer
      - .offset:         112
        .size:           8
        .value_kind:     by_value
      - .offset:         120
        .size:           8
        .value_kind:     by_value
      - .address_space:  global
        .offset:         128
        .size:           8
        .value_kind:     global_buffer
      - .offset:         136
        .size:           8
        .value_kind:     by_value
      - .offset:         144
        .size:           8
        .value_kind:     by_value
      - .offset:         152
        .size:           4
        .value_kind:     by_value
    .group_segment_fixed_size: 8192
    .kernarg_segment_align: 8
    .kernarg_segment_size: 156
    .language:       OpenCL C
    .language_version:
      - 2
      - 0
    .max_flat_workgroup_size: 256
    .name:           _ZN12_GLOBAL__N_127rocblas_gemm_batched_kernelI19rocblas_complex_numIdELi16ELi16ELi64ELi64ELi4ELi64ELi4ELi4ELi64ELc67ELc78EKPKS2_S5_KPS2_EEvlllT_PT11_llSA_llS8_PT12_llPT13_lli
    .private_segment_fixed_size: 0
    .sgpr_count:     54
    .sgpr_spill_count: 0
    .symbol:         _ZN12_GLOBAL__N_127rocblas_gemm_batched_kernelI19rocblas_complex_numIdELi16ELi16ELi64ELi64ELi4ELi64ELi4ELi4ELi64ELc67ELc78EKPKS2_S5_KPS2_EEvlllT_PT11_llSA_llS8_PT12_llPT13_lli.kd
    .uniform_work_group_size: 1
    .uses_dynamic_stack: false
    .vgpr_count:     138
    .vgpr_spill_count: 0
    .wavefront_size: 32
    .workgroup_processor_mode: 1
  - .args:
      - .offset:         0
        .size:           8
        .value_kind:     by_value
      - .offset:         8
        .size:           8
        .value_kind:     by_value
      - .offset:         16
        .size:           8
        .value_kind:     by_value
      - .offset:         24
        .size:           16
        .value_kind:     by_value
      - .address_space:  global
        .offset:         40
        .size:           8
        .value_kind:     global_buffer
      - .offset:         48
        .size:           8
        .value_kind:     by_value
      - .offset:         56
        .size:           8
        .value_kind:     by_value
      - .address_space:  global
        .offset:         64
        .size:           8
        .value_kind:     global_buffer
      - .offset:         72
        .size:           8
        .value_kind:     by_value
      - .offset:         80
        .size:           8
        .value_kind:     by_value
      - .offset:         88
        .size:           16
        .value_kind:     by_value
      - .address_space:  global
        .offset:         104
        .size:           8
        .value_kind:     global_buffer
      - .offset:         112
        .size:           8
        .value_kind:     by_value
      - .offset:         120
        .size:           8
        .value_kind:     by_value
      - .address_space:  global
        .offset:         128
        .size:           8
        .value_kind:     global_buffer
      - .offset:         136
        .size:           8
        .value_kind:     by_value
      - .offset:         144
        .size:           8
        .value_kind:     by_value
      - .offset:         152
        .size:           4
        .value_kind:     by_value
    .group_segment_fixed_size: 8192
    .kernarg_segment_align: 8
    .kernarg_segment_size: 156
    .language:       OpenCL C
    .language_version:
      - 2
      - 0
    .max_flat_workgroup_size: 256
    .name:           _ZN12_GLOBAL__N_127rocblas_gemm_batched_kernelI19rocblas_complex_numIdELi16ELi16ELi64ELi64ELi4ELi64ELi4ELi4ELi64ELc67ELc84EKPKS2_S5_KPS2_EEvlllT_PT11_llSA_llS8_PT12_llPT13_lli
    .private_segment_fixed_size: 0
    .sgpr_count:     54
    .sgpr_spill_count: 0
    .symbol:         _ZN12_GLOBAL__N_127rocblas_gemm_batched_kernelI19rocblas_complex_numIdELi16ELi16ELi64ELi64ELi4ELi64ELi4ELi4ELi64ELc67ELc84EKPKS2_S5_KPS2_EEvlllT_PT11_llSA_llS8_PT12_llPT13_lli.kd
    .uniform_work_group_size: 1
    .uses_dynamic_stack: false
    .vgpr_count:     138
    .vgpr_spill_count: 0
    .wavefront_size: 32
    .workgroup_processor_mode: 1
  - .args:
      - .offset:         0
        .size:           8
        .value_kind:     by_value
      - .offset:         8
        .size:           8
        .value_kind:     by_value
      - .offset:         16
        .size:           8
        .value_kind:     by_value
      - .offset:         24
        .size:           16
        .value_kind:     by_value
      - .address_space:  global
        .offset:         40
        .size:           8
        .value_kind:     global_buffer
      - .offset:         48
        .size:           8
        .value_kind:     by_value
      - .offset:         56
        .size:           8
        .value_kind:     by_value
      - .address_space:  global
        .offset:         64
        .size:           8
        .value_kind:     global_buffer
      - .offset:         72
        .size:           8
        .value_kind:     by_value
      - .offset:         80
        .size:           8
        .value_kind:     by_value
      - .offset:         88
        .size:           16
        .value_kind:     by_value
      - .address_space:  global
        .offset:         104
        .size:           8
        .value_kind:     global_buffer
      - .offset:         112
        .size:           8
        .value_kind:     by_value
      - .offset:         120
        .size:           8
        .value_kind:     by_value
      - .address_space:  global
        .offset:         128
        .size:           8
        .value_kind:     global_buffer
      - .offset:         136
        .size:           8
        .value_kind:     by_value
      - .offset:         144
        .size:           8
        .value_kind:     by_value
      - .offset:         152
        .size:           4
        .value_kind:     by_value
    .group_segment_fixed_size: 8192
    .kernarg_segment_align: 8
    .kernarg_segment_size: 156
    .language:       OpenCL C
    .language_version:
      - 2
      - 0
    .max_flat_workgroup_size: 256
    .name:           _ZN12_GLOBAL__N_127rocblas_gemm_batched_kernelI19rocblas_complex_numIdELi16ELi16ELi64ELi64ELi4ELi64ELi4ELi4ELi64ELc78ELc67EKPKS2_S5_KPS2_EEvlllT_PT11_llSA_llS8_PT12_llPT13_lli
    .private_segment_fixed_size: 0
    .sgpr_count:     54
    .sgpr_spill_count: 0
    .symbol:         _ZN12_GLOBAL__N_127rocblas_gemm_batched_kernelI19rocblas_complex_numIdELi16ELi16ELi64ELi64ELi4ELi64ELi4ELi4ELi64ELc78ELc67EKPKS2_S5_KPS2_EEvlllT_PT11_llSA_llS8_PT12_llPT13_lli.kd
    .uniform_work_group_size: 1
    .uses_dynamic_stack: false
    .vgpr_count:     138
    .vgpr_spill_count: 0
    .wavefront_size: 32
    .workgroup_processor_mode: 1
  - .args:
      - .offset:         0
        .size:           8
        .value_kind:     by_value
      - .offset:         8
        .size:           8
        .value_kind:     by_value
      - .offset:         16
        .size:           8
        .value_kind:     by_value
      - .offset:         24
        .size:           16
        .value_kind:     by_value
      - .address_space:  global
        .offset:         40
        .size:           8
        .value_kind:     global_buffer
      - .offset:         48
        .size:           8
        .value_kind:     by_value
      - .offset:         56
        .size:           8
        .value_kind:     by_value
      - .address_space:  global
        .offset:         64
        .size:           8
        .value_kind:     global_buffer
      - .offset:         72
        .size:           8
        .value_kind:     by_value
      - .offset:         80
        .size:           8
        .value_kind:     by_value
      - .offset:         88
        .size:           16
        .value_kind:     by_value
      - .address_space:  global
        .offset:         104
        .size:           8
        .value_kind:     global_buffer
      - .offset:         112
        .size:           8
        .value_kind:     by_value
      - .offset:         120
        .size:           8
        .value_kind:     by_value
      - .address_space:  global
        .offset:         128
        .size:           8
        .value_kind:     global_buffer
      - .offset:         136
        .size:           8
        .value_kind:     by_value
      - .offset:         144
        .size:           8
        .value_kind:     by_value
      - .offset:         152
        .size:           4
        .value_kind:     by_value
    .group_segment_fixed_size: 8192
    .kernarg_segment_align: 8
    .kernarg_segment_size: 156
    .language:       OpenCL C
    .language_version:
      - 2
      - 0
    .max_flat_workgroup_size: 256
    .name:           _ZN12_GLOBAL__N_127rocblas_gemm_batched_kernelI19rocblas_complex_numIdELi16ELi16ELi64ELi64ELi4ELi64ELi4ELi4ELi64ELc84ELc67EKPKS2_S5_KPS2_EEvlllT_PT11_llSA_llS8_PT12_llPT13_lli
    .private_segment_fixed_size: 0
    .sgpr_count:     54
    .sgpr_spill_count: 0
    .symbol:         _ZN12_GLOBAL__N_127rocblas_gemm_batched_kernelI19rocblas_complex_numIdELi16ELi16ELi64ELi64ELi4ELi64ELi4ELi4ELi64ELc84ELc67EKPKS2_S5_KPS2_EEvlllT_PT11_llSA_llS8_PT12_llPT13_lli.kd
    .uniform_work_group_size: 1
    .uses_dynamic_stack: false
    .vgpr_count:     138
    .vgpr_spill_count: 0
    .wavefront_size: 32
    .workgroup_processor_mode: 1
  - .args:
      - .offset:         0
        .size:           8
        .value_kind:     by_value
      - .offset:         8
        .size:           8
        .value_kind:     by_value
      - .offset:         16
        .size:           8
        .value_kind:     by_value
      - .offset:         24
        .size:           16
        .value_kind:     by_value
      - .address_space:  global
        .offset:         40
        .size:           8
        .value_kind:     global_buffer
      - .offset:         48
        .size:           8
        .value_kind:     by_value
      - .offset:         56
        .size:           8
        .value_kind:     by_value
      - .address_space:  global
        .offset:         64
        .size:           8
        .value_kind:     global_buffer
      - .offset:         72
        .size:           8
        .value_kind:     by_value
      - .offset:         80
        .size:           8
        .value_kind:     by_value
      - .offset:         88
        .size:           16
        .value_kind:     by_value
      - .address_space:  global
        .offset:         104
        .size:           8
        .value_kind:     global_buffer
      - .offset:         112
        .size:           8
        .value_kind:     by_value
      - .offset:         120
        .size:           8
        .value_kind:     by_value
      - .address_space:  global
        .offset:         128
        .size:           8
        .value_kind:     global_buffer
      - .offset:         136
        .size:           8
        .value_kind:     by_value
      - .offset:         144
        .size:           8
        .value_kind:     by_value
      - .offset:         152
        .size:           4
        .value_kind:     by_value
    .group_segment_fixed_size: 8192
    .kernarg_segment_align: 8
    .kernarg_segment_size: 156
    .language:       OpenCL C
    .language_version:
      - 2
      - 0
    .max_flat_workgroup_size: 256
    .name:           _ZN12_GLOBAL__N_127rocblas_gemm_batched_kernelI19rocblas_complex_numIdELi16ELi16ELi32ELi32ELi8ELi32ELi8ELi8ELi32ELc78ELc78EKPKS2_S5_KPS2_EEvlllT_PT11_llSA_llS8_PT12_llPT13_lli
    .private_segment_fixed_size: 0
    .sgpr_count:     54
    .sgpr_spill_count: 0
    .symbol:         _ZN12_GLOBAL__N_127rocblas_gemm_batched_kernelI19rocblas_complex_numIdELi16ELi16ELi32ELi32ELi8ELi32ELi8ELi8ELi32ELc78ELc78EKPKS2_S5_KPS2_EEvlllT_PT11_llSA_llS8_PT12_llPT13_lli.kd
    .uniform_work_group_size: 1
    .uses_dynamic_stack: false
    .vgpr_count:     162
    .vgpr_spill_count: 0
    .wavefront_size: 32
    .workgroup_processor_mode: 1
  - .args:
      - .offset:         0
        .size:           8
        .value_kind:     by_value
      - .offset:         8
        .size:           8
        .value_kind:     by_value
      - .offset:         16
        .size:           8
        .value_kind:     by_value
      - .offset:         24
        .size:           16
        .value_kind:     by_value
      - .address_space:  global
        .offset:         40
        .size:           8
        .value_kind:     global_buffer
      - .offset:         48
        .size:           8
        .value_kind:     by_value
      - .offset:         56
        .size:           8
        .value_kind:     by_value
      - .address_space:  global
        .offset:         64
        .size:           8
        .value_kind:     global_buffer
      - .offset:         72
        .size:           8
        .value_kind:     by_value
      - .offset:         80
        .size:           8
        .value_kind:     by_value
      - .offset:         88
        .size:           16
        .value_kind:     by_value
      - .address_space:  global
        .offset:         104
        .size:           8
        .value_kind:     global_buffer
      - .offset:         112
        .size:           8
        .value_kind:     by_value
      - .offset:         120
        .size:           8
        .value_kind:     by_value
      - .address_space:  global
        .offset:         128
        .size:           8
        .value_kind:     global_buffer
      - .offset:         136
        .size:           8
        .value_kind:     by_value
      - .offset:         144
        .size:           8
        .value_kind:     by_value
      - .offset:         152
        .size:           4
        .value_kind:     by_value
    .group_segment_fixed_size: 8192
    .kernarg_segment_align: 8
    .kernarg_segment_size: 156
    .language:       OpenCL C
    .language_version:
      - 2
      - 0
    .max_flat_workgroup_size: 256
    .name:           _ZN12_GLOBAL__N_127rocblas_gemm_batched_kernelI19rocblas_complex_numIdELi16ELi16ELi32ELi32ELi8ELi32ELi8ELi8ELi32ELc84ELc78EKPKS2_S5_KPS2_EEvlllT_PT11_llSA_llS8_PT12_llPT13_lli
    .private_segment_fixed_size: 0
    .sgpr_count:     54
    .sgpr_spill_count: 0
    .symbol:         _ZN12_GLOBAL__N_127rocblas_gemm_batched_kernelI19rocblas_complex_numIdELi16ELi16ELi32ELi32ELi8ELi32ELi8ELi8ELi32ELc84ELc78EKPKS2_S5_KPS2_EEvlllT_PT11_llSA_llS8_PT12_llPT13_lli.kd
    .uniform_work_group_size: 1
    .uses_dynamic_stack: false
    .vgpr_count:     162
    .vgpr_spill_count: 0
    .wavefront_size: 32
    .workgroup_processor_mode: 1
  - .args:
      - .offset:         0
        .size:           8
        .value_kind:     by_value
      - .offset:         8
        .size:           8
        .value_kind:     by_value
      - .offset:         16
        .size:           8
        .value_kind:     by_value
      - .offset:         24
        .size:           16
        .value_kind:     by_value
      - .address_space:  global
        .offset:         40
        .size:           8
        .value_kind:     global_buffer
      - .offset:         48
        .size:           8
        .value_kind:     by_value
      - .offset:         56
        .size:           8
        .value_kind:     by_value
      - .address_space:  global
        .offset:         64
        .size:           8
        .value_kind:     global_buffer
      - .offset:         72
        .size:           8
        .value_kind:     by_value
      - .offset:         80
        .size:           8
        .value_kind:     by_value
      - .offset:         88
        .size:           16
        .value_kind:     by_value
      - .address_space:  global
        .offset:         104
        .size:           8
        .value_kind:     global_buffer
      - .offset:         112
        .size:           8
        .value_kind:     by_value
      - .offset:         120
        .size:           8
        .value_kind:     by_value
      - .address_space:  global
        .offset:         128
        .size:           8
        .value_kind:     global_buffer
      - .offset:         136
        .size:           8
        .value_kind:     by_value
      - .offset:         144
        .size:           8
        .value_kind:     by_value
      - .offset:         152
        .size:           4
        .value_kind:     by_value
    .group_segment_fixed_size: 8192
    .kernarg_segment_align: 8
    .kernarg_segment_size: 156
    .language:       OpenCL C
    .language_version:
      - 2
      - 0
    .max_flat_workgroup_size: 256
    .name:           _ZN12_GLOBAL__N_127rocblas_gemm_batched_kernelI19rocblas_complex_numIdELi16ELi16ELi32ELi32ELi8ELi32ELi8ELi8ELi32ELc78ELc84EKPKS2_S5_KPS2_EEvlllT_PT11_llSA_llS8_PT12_llPT13_lli
    .private_segment_fixed_size: 0
    .sgpr_count:     54
    .sgpr_spill_count: 0
    .symbol:         _ZN12_GLOBAL__N_127rocblas_gemm_batched_kernelI19rocblas_complex_numIdELi16ELi16ELi32ELi32ELi8ELi32ELi8ELi8ELi32ELc78ELc84EKPKS2_S5_KPS2_EEvlllT_PT11_llSA_llS8_PT12_llPT13_lli.kd
    .uniform_work_group_size: 1
    .uses_dynamic_stack: false
    .vgpr_count:     162
    .vgpr_spill_count: 0
    .wavefront_size: 32
    .workgroup_processor_mode: 1
  - .args:
      - .offset:         0
        .size:           8
        .value_kind:     by_value
      - .offset:         8
        .size:           8
        .value_kind:     by_value
      - .offset:         16
        .size:           8
        .value_kind:     by_value
      - .offset:         24
        .size:           16
        .value_kind:     by_value
      - .address_space:  global
        .offset:         40
        .size:           8
        .value_kind:     global_buffer
      - .offset:         48
        .size:           8
        .value_kind:     by_value
      - .offset:         56
        .size:           8
        .value_kind:     by_value
      - .address_space:  global
        .offset:         64
        .size:           8
        .value_kind:     global_buffer
      - .offset:         72
        .size:           8
        .value_kind:     by_value
      - .offset:         80
        .size:           8
        .value_kind:     by_value
      - .offset:         88
        .size:           16
        .value_kind:     by_value
      - .address_space:  global
        .offset:         104
        .size:           8
        .value_kind:     global_buffer
      - .offset:         112
        .size:           8
        .value_kind:     by_value
      - .offset:         120
        .size:           8
        .value_kind:     by_value
      - .address_space:  global
        .offset:         128
        .size:           8
        .value_kind:     global_buffer
      - .offset:         136
        .size:           8
        .value_kind:     by_value
      - .offset:         144
        .size:           8
        .value_kind:     by_value
      - .offset:         152
        .size:           4
        .value_kind:     by_value
    .group_segment_fixed_size: 8192
    .kernarg_segment_align: 8
    .kernarg_segment_size: 156
    .language:       OpenCL C
    .language_version:
      - 2
      - 0
    .max_flat_workgroup_size: 256
    .name:           _ZN12_GLOBAL__N_127rocblas_gemm_batched_kernelI19rocblas_complex_numIdELi16ELi16ELi32ELi32ELi8ELi32ELi8ELi8ELi32ELc84ELc84EKPKS2_S5_KPS2_EEvlllT_PT11_llSA_llS8_PT12_llPT13_lli
    .private_segment_fixed_size: 0
    .sgpr_count:     54
    .sgpr_spill_count: 0
    .symbol:         _ZN12_GLOBAL__N_127rocblas_gemm_batched_kernelI19rocblas_complex_numIdELi16ELi16ELi32ELi32ELi8ELi32ELi8ELi8ELi32ELc84ELc84EKPKS2_S5_KPS2_EEvlllT_PT11_llSA_llS8_PT12_llPT13_lli.kd
    .uniform_work_group_size: 1
    .uses_dynamic_stack: false
    .vgpr_count:     162
    .vgpr_spill_count: 0
    .wavefront_size: 32
    .workgroup_processor_mode: 1
  - .args:
      - .offset:         0
        .size:           8
        .value_kind:     by_value
      - .offset:         8
        .size:           8
        .value_kind:     by_value
      - .offset:         16
        .size:           8
        .value_kind:     by_value
      - .offset:         24
        .size:           16
        .value_kind:     by_value
      - .address_space:  global
        .offset:         40
        .size:           8
        .value_kind:     global_buffer
      - .offset:         48
        .size:           8
        .value_kind:     by_value
      - .offset:         56
        .size:           8
        .value_kind:     by_value
      - .address_space:  global
        .offset:         64
        .size:           8
        .value_kind:     global_buffer
      - .offset:         72
        .size:           8
        .value_kind:     by_value
      - .offset:         80
        .size:           8
        .value_kind:     by_value
      - .offset:         88
        .size:           16
        .value_kind:     by_value
      - .address_space:  global
        .offset:         104
        .size:           8
        .value_kind:     global_buffer
      - .offset:         112
        .size:           8
        .value_kind:     by_value
      - .offset:         120
        .size:           8
        .value_kind:     by_value
      - .address_space:  global
        .offset:         128
        .size:           8
        .value_kind:     global_buffer
      - .offset:         136
        .size:           8
        .value_kind:     by_value
      - .offset:         144
        .size:           8
        .value_kind:     by_value
      - .offset:         152
        .size:           4
        .value_kind:     by_value
    .group_segment_fixed_size: 8192
    .kernarg_segment_align: 8
    .kernarg_segment_size: 156
    .language:       OpenCL C
    .language_version:
      - 2
      - 0
    .max_flat_workgroup_size: 256
    .name:           _ZN12_GLOBAL__N_127rocblas_gemm_batched_kernelI19rocblas_complex_numIdELi16ELi16ELi32ELi32ELi8ELi32ELi8ELi8ELi32ELc67ELc67EKPKS2_S5_KPS2_EEvlllT_PT11_llSA_llS8_PT12_llPT13_lli
    .private_segment_fixed_size: 0
    .sgpr_count:     54
    .sgpr_spill_count: 0
    .symbol:         _ZN12_GLOBAL__N_127rocblas_gemm_batched_kernelI19rocblas_complex_numIdELi16ELi16ELi32ELi32ELi8ELi32ELi8ELi8ELi32ELc67ELc67EKPKS2_S5_KPS2_EEvlllT_PT11_llSA_llS8_PT12_llPT13_lli.kd
    .uniform_work_group_size: 1
    .uses_dynamic_stack: false
    .vgpr_count:     162
    .vgpr_spill_count: 0
    .wavefront_size: 32
    .workgroup_processor_mode: 1
  - .args:
      - .offset:         0
        .size:           8
        .value_kind:     by_value
      - .offset:         8
        .size:           8
        .value_kind:     by_value
      - .offset:         16
        .size:           8
        .value_kind:     by_value
      - .offset:         24
        .size:           16
        .value_kind:     by_value
      - .address_space:  global
        .offset:         40
        .size:           8
        .value_kind:     global_buffer
      - .offset:         48
        .size:           8
        .value_kind:     by_value
      - .offset:         56
        .size:           8
        .value_kind:     by_value
      - .address_space:  global
        .offset:         64
        .size:           8
        .value_kind:     global_buffer
      - .offset:         72
        .size:           8
        .value_kind:     by_value
      - .offset:         80
        .size:           8
        .value_kind:     by_value
      - .offset:         88
        .size:           16
        .value_kind:     by_value
      - .address_space:  global
        .offset:         104
        .size:           8
        .value_kind:     global_buffer
      - .offset:         112
        .size:           8
        .value_kind:     by_value
      - .offset:         120
        .size:           8
        .value_kind:     by_value
      - .address_space:  global
        .offset:         128
        .size:           8
        .value_kind:     global_buffer
      - .offset:         136
        .size:           8
        .value_kind:     by_value
      - .offset:         144
        .size:           8
        .value_kind:     by_value
      - .offset:         152
        .size:           4
        .value_kind:     by_value
    .group_segment_fixed_size: 8192
    .kernarg_segment_align: 8
    .kernarg_segment_size: 156
    .language:       OpenCL C
    .language_version:
      - 2
      - 0
    .max_flat_workgroup_size: 256
    .name:           _ZN12_GLOBAL__N_127rocblas_gemm_batched_kernelI19rocblas_complex_numIdELi16ELi16ELi32ELi32ELi8ELi32ELi8ELi8ELi32ELc67ELc78EKPKS2_S5_KPS2_EEvlllT_PT11_llSA_llS8_PT12_llPT13_lli
    .private_segment_fixed_size: 0
    .sgpr_count:     54
    .sgpr_spill_count: 0
    .symbol:         _ZN12_GLOBAL__N_127rocblas_gemm_batched_kernelI19rocblas_complex_numIdELi16ELi16ELi32ELi32ELi8ELi32ELi8ELi8ELi32ELc67ELc78EKPKS2_S5_KPS2_EEvlllT_PT11_llSA_llS8_PT12_llPT13_lli.kd
    .uniform_work_group_size: 1
    .uses_dynamic_stack: false
    .vgpr_count:     162
    .vgpr_spill_count: 0
    .wavefront_size: 32
    .workgroup_processor_mode: 1
  - .args:
      - .offset:         0
        .size:           8
        .value_kind:     by_value
      - .offset:         8
        .size:           8
        .value_kind:     by_value
      - .offset:         16
        .size:           8
        .value_kind:     by_value
      - .offset:         24
        .size:           16
        .value_kind:     by_value
      - .address_space:  global
        .offset:         40
        .size:           8
        .value_kind:     global_buffer
      - .offset:         48
        .size:           8
        .value_kind:     by_value
      - .offset:         56
        .size:           8
        .value_kind:     by_value
      - .address_space:  global
        .offset:         64
        .size:           8
        .value_kind:     global_buffer
      - .offset:         72
        .size:           8
        .value_kind:     by_value
      - .offset:         80
        .size:           8
        .value_kind:     by_value
      - .offset:         88
        .size:           16
        .value_kind:     by_value
      - .address_space:  global
        .offset:         104
        .size:           8
        .value_kind:     global_buffer
      - .offset:         112
        .size:           8
        .value_kind:     by_value
      - .offset:         120
        .size:           8
        .value_kind:     by_value
      - .address_space:  global
        .offset:         128
        .size:           8
        .value_kind:     global_buffer
      - .offset:         136
        .size:           8
        .value_kind:     by_value
      - .offset:         144
        .size:           8
        .value_kind:     by_value
      - .offset:         152
        .size:           4
        .value_kind:     by_value
    .group_segment_fixed_size: 8192
    .kernarg_segment_align: 8
    .kernarg_segment_size: 156
    .language:       OpenCL C
    .language_version:
      - 2
      - 0
    .max_flat_workgroup_size: 256
    .name:           _ZN12_GLOBAL__N_127rocblas_gemm_batched_kernelI19rocblas_complex_numIdELi16ELi16ELi32ELi32ELi8ELi32ELi8ELi8ELi32ELc67ELc84EKPKS2_S5_KPS2_EEvlllT_PT11_llSA_llS8_PT12_llPT13_lli
    .private_segment_fixed_size: 0
    .sgpr_count:     54
    .sgpr_spill_count: 0
    .symbol:         _ZN12_GLOBAL__N_127rocblas_gemm_batched_kernelI19rocblas_complex_numIdELi16ELi16ELi32ELi32ELi8ELi32ELi8ELi8ELi32ELc67ELc84EKPKS2_S5_KPS2_EEvlllT_PT11_llSA_llS8_PT12_llPT13_lli.kd
    .uniform_work_group_size: 1
    .uses_dynamic_stack: false
    .vgpr_count:     162
    .vgpr_spill_count: 0
    .wavefront_size: 32
    .workgroup_processor_mode: 1
  - .args:
      - .offset:         0
        .size:           8
        .value_kind:     by_value
      - .offset:         8
        .size:           8
        .value_kind:     by_value
      - .offset:         16
        .size:           8
        .value_kind:     by_value
      - .offset:         24
        .size:           16
        .value_kind:     by_value
      - .address_space:  global
        .offset:         40
        .size:           8
        .value_kind:     global_buffer
      - .offset:         48
        .size:           8
        .value_kind:     by_value
      - .offset:         56
        .size:           8
        .value_kind:     by_value
      - .address_space:  global
        .offset:         64
        .size:           8
        .value_kind:     global_buffer
      - .offset:         72
        .size:           8
        .value_kind:     by_value
      - .offset:         80
        .size:           8
        .value_kind:     by_value
      - .offset:         88
        .size:           16
        .value_kind:     by_value
      - .address_space:  global
        .offset:         104
        .size:           8
        .value_kind:     global_buffer
      - .offset:         112
        .size:           8
        .value_kind:     by_value
      - .offset:         120
        .size:           8
        .value_kind:     by_value
      - .address_space:  global
        .offset:         128
        .size:           8
        .value_kind:     global_buffer
      - .offset:         136
        .size:           8
        .value_kind:     by_value
      - .offset:         144
        .size:           8
        .value_kind:     by_value
      - .offset:         152
        .size:           4
        .value_kind:     by_value
    .group_segment_fixed_size: 8192
    .kernarg_segment_align: 8
    .kernarg_segment_size: 156
    .language:       OpenCL C
    .language_version:
      - 2
      - 0
    .max_flat_workgroup_size: 256
    .name:           _ZN12_GLOBAL__N_127rocblas_gemm_batched_kernelI19rocblas_complex_numIdELi16ELi16ELi32ELi32ELi8ELi32ELi8ELi8ELi32ELc78ELc67EKPKS2_S5_KPS2_EEvlllT_PT11_llSA_llS8_PT12_llPT13_lli
    .private_segment_fixed_size: 0
    .sgpr_count:     54
    .sgpr_spill_count: 0
    .symbol:         _ZN12_GLOBAL__N_127rocblas_gemm_batched_kernelI19rocblas_complex_numIdELi16ELi16ELi32ELi32ELi8ELi32ELi8ELi8ELi32ELc78ELc67EKPKS2_S5_KPS2_EEvlllT_PT11_llSA_llS8_PT12_llPT13_lli.kd
    .uniform_work_group_size: 1
    .uses_dynamic_stack: false
    .vgpr_count:     162
    .vgpr_spill_count: 0
    .wavefront_size: 32
    .workgroup_processor_mode: 1
  - .args:
      - .offset:         0
        .size:           8
        .value_kind:     by_value
      - .offset:         8
        .size:           8
        .value_kind:     by_value
      - .offset:         16
        .size:           8
        .value_kind:     by_value
      - .offset:         24
        .size:           16
        .value_kind:     by_value
      - .address_space:  global
        .offset:         40
        .size:           8
        .value_kind:     global_buffer
      - .offset:         48
        .size:           8
        .value_kind:     by_value
      - .offset:         56
        .size:           8
        .value_kind:     by_value
      - .address_space:  global
        .offset:         64
        .size:           8
        .value_kind:     global_buffer
      - .offset:         72
        .size:           8
        .value_kind:     by_value
      - .offset:         80
        .size:           8
        .value_kind:     by_value
      - .offset:         88
        .size:           16
        .value_kind:     by_value
      - .address_space:  global
        .offset:         104
        .size:           8
        .value_kind:     global_buffer
      - .offset:         112
        .size:           8
        .value_kind:     by_value
      - .offset:         120
        .size:           8
        .value_kind:     by_value
      - .address_space:  global
        .offset:         128
        .size:           8
        .value_kind:     global_buffer
      - .offset:         136
        .size:           8
        .value_kind:     by_value
      - .offset:         144
        .size:           8
        .value_kind:     by_value
      - .offset:         152
        .size:           4
        .value_kind:     by_value
    .group_segment_fixed_size: 8192
    .kernarg_segment_align: 8
    .kernarg_segment_size: 156
    .language:       OpenCL C
    .language_version:
      - 2
      - 0
    .max_flat_workgroup_size: 256
    .name:           _ZN12_GLOBAL__N_127rocblas_gemm_batched_kernelI19rocblas_complex_numIdELi16ELi16ELi32ELi32ELi8ELi32ELi8ELi8ELi32ELc84ELc67EKPKS2_S5_KPS2_EEvlllT_PT11_llSA_llS8_PT12_llPT13_lli
    .private_segment_fixed_size: 0
    .sgpr_count:     54
    .sgpr_spill_count: 0
    .symbol:         _ZN12_GLOBAL__N_127rocblas_gemm_batched_kernelI19rocblas_complex_numIdELi16ELi16ELi32ELi32ELi8ELi32ELi8ELi8ELi32ELc84ELc67EKPKS2_S5_KPS2_EEvlllT_PT11_llSA_llS8_PT12_llPT13_lli.kd
    .uniform_work_group_size: 1
    .uses_dynamic_stack: false
    .vgpr_count:     162
    .vgpr_spill_count: 0
    .wavefront_size: 32
    .workgroup_processor_mode: 1
  - .args:
      - .offset:         0
        .size:           8
        .value_kind:     by_value
      - .offset:         8
        .size:           8
        .value_kind:     by_value
      - .offset:         16
        .size:           8
        .value_kind:     by_value
      - .offset:         24
        .size:           16
        .value_kind:     by_value
      - .address_space:  global
        .offset:         40
        .size:           8
        .value_kind:     global_buffer
      - .offset:         48
        .size:           8
        .value_kind:     by_value
      - .offset:         56
        .size:           8
        .value_kind:     by_value
      - .address_space:  global
        .offset:         64
        .size:           8
        .value_kind:     global_buffer
      - .offset:         72
        .size:           8
        .value_kind:     by_value
      - .offset:         80
        .size:           8
        .value_kind:     by_value
      - .offset:         88
        .size:           16
        .value_kind:     by_value
      - .address_space:  global
        .offset:         104
        .size:           8
        .value_kind:     global_buffer
      - .offset:         112
        .size:           8
        .value_kind:     by_value
      - .offset:         120
        .size:           8
        .value_kind:     by_value
      - .address_space:  global
        .offset:         128
        .size:           8
        .value_kind:     global_buffer
      - .offset:         136
        .size:           8
        .value_kind:     by_value
      - .offset:         144
        .size:           8
        .value_kind:     by_value
      - .offset:         152
        .size:           4
        .value_kind:     by_value
    .group_segment_fixed_size: 8192
    .kernarg_segment_align: 8
    .kernarg_segment_size: 156
    .language:       OpenCL C
    .language_version:
      - 2
      - 0
    .max_flat_workgroup_size: 256
    .name:           _ZN12_GLOBAL__N_135rocblas_gemm_batched_general_kernelI19rocblas_complex_numIdELi16ELi16ELi32ELi32ELi8ELi32ELi8ELi8ELi32ELc78ELc78EKPKS2_S5_KPS2_EEvlllT_PT11_llSA_llS8_PT12_llPT13_lli
    .private_segment_fixed_size: 0
    .sgpr_count:     54
    .sgpr_spill_count: 0
    .symbol:         _ZN12_GLOBAL__N_135rocblas_gemm_batched_general_kernelI19rocblas_complex_numIdELi16ELi16ELi32ELi32ELi8ELi32ELi8ELi8ELi32ELc78ELc78EKPKS2_S5_KPS2_EEvlllT_PT11_llSA_llS8_PT12_llPT13_lli.kd
    .uniform_work_group_size: 1
    .uses_dynamic_stack: false
    .vgpr_count:     128
    .vgpr_spill_count: 0
    .wavefront_size: 32
    .workgroup_processor_mode: 1
  - .args:
      - .offset:         0
        .size:           8
        .value_kind:     by_value
      - .offset:         8
        .size:           8
        .value_kind:     by_value
      - .offset:         16
        .size:           8
        .value_kind:     by_value
      - .offset:         24
        .size:           16
        .value_kind:     by_value
      - .address_space:  global
        .offset:         40
        .size:           8
        .value_kind:     global_buffer
      - .offset:         48
        .size:           8
        .value_kind:     by_value
      - .offset:         56
        .size:           8
        .value_kind:     by_value
      - .address_space:  global
        .offset:         64
        .size:           8
        .value_kind:     global_buffer
      - .offset:         72
        .size:           8
        .value_kind:     by_value
      - .offset:         80
        .size:           8
        .value_kind:     by_value
      - .offset:         88
        .size:           16
        .value_kind:     by_value
      - .address_space:  global
        .offset:         104
        .size:           8
        .value_kind:     global_buffer
      - .offset:         112
        .size:           8
        .value_kind:     by_value
      - .offset:         120
        .size:           8
        .value_kind:     by_value
      - .address_space:  global
        .offset:         128
        .size:           8
        .value_kind:     global_buffer
      - .offset:         136
        .size:           8
        .value_kind:     by_value
      - .offset:         144
        .size:           8
        .value_kind:     by_value
      - .offset:         152
        .size:           4
        .value_kind:     by_value
    .group_segment_fixed_size: 8192
    .kernarg_segment_align: 8
    .kernarg_segment_size: 156
    .language:       OpenCL C
    .language_version:
      - 2
      - 0
    .max_flat_workgroup_size: 256
    .name:           _ZN12_GLOBAL__N_135rocblas_gemm_batched_general_kernelI19rocblas_complex_numIdELi16ELi16ELi32ELi32ELi8ELi32ELi8ELi8ELi32ELc84ELc78EKPKS2_S5_KPS2_EEvlllT_PT11_llSA_llS8_PT12_llPT13_lli
    .private_segment_fixed_size: 0
    .sgpr_count:     54
    .sgpr_spill_count: 0
    .symbol:         _ZN12_GLOBAL__N_135rocblas_gemm_batched_general_kernelI19rocblas_complex_numIdELi16ELi16ELi32ELi32ELi8ELi32ELi8ELi8ELi32ELc84ELc78EKPKS2_S5_KPS2_EEvlllT_PT11_llSA_llS8_PT12_llPT13_lli.kd
    .uniform_work_group_size: 1
    .uses_dynamic_stack: false
    .vgpr_count:     128
    .vgpr_spill_count: 0
    .wavefront_size: 32
    .workgroup_processor_mode: 1
  - .args:
      - .offset:         0
        .size:           8
        .value_kind:     by_value
      - .offset:         8
        .size:           8
        .value_kind:     by_value
      - .offset:         16
        .size:           8
        .value_kind:     by_value
      - .offset:         24
        .size:           16
        .value_kind:     by_value
      - .address_space:  global
        .offset:         40
        .size:           8
        .value_kind:     global_buffer
      - .offset:         48
        .size:           8
        .value_kind:     by_value
      - .offset:         56
        .size:           8
        .value_kind:     by_value
      - .address_space:  global
        .offset:         64
        .size:           8
        .value_kind:     global_buffer
      - .offset:         72
        .size:           8
        .value_kind:     by_value
      - .offset:         80
        .size:           8
        .value_kind:     by_value
      - .offset:         88
        .size:           16
        .value_kind:     by_value
      - .address_space:  global
        .offset:         104
        .size:           8
        .value_kind:     global_buffer
      - .offset:         112
        .size:           8
        .value_kind:     by_value
      - .offset:         120
        .size:           8
        .value_kind:     by_value
      - .address_space:  global
        .offset:         128
        .size:           8
        .value_kind:     global_buffer
      - .offset:         136
        .size:           8
        .value_kind:     by_value
      - .offset:         144
        .size:           8
        .value_kind:     by_value
      - .offset:         152
        .size:           4
        .value_kind:     by_value
    .group_segment_fixed_size: 8192
    .kernarg_segment_align: 8
    .kernarg_segment_size: 156
    .language:       OpenCL C
    .language_version:
      - 2
      - 0
    .max_flat_workgroup_size: 256
    .name:           _ZN12_GLOBAL__N_135rocblas_gemm_batched_general_kernelI19rocblas_complex_numIdELi16ELi16ELi32ELi32ELi8ELi32ELi8ELi8ELi32ELc78ELc84EKPKS2_S5_KPS2_EEvlllT_PT11_llSA_llS8_PT12_llPT13_lli
    .private_segment_fixed_size: 0
    .sgpr_count:     54
    .sgpr_spill_count: 0
    .symbol:         _ZN12_GLOBAL__N_135rocblas_gemm_batched_general_kernelI19rocblas_complex_numIdELi16ELi16ELi32ELi32ELi8ELi32ELi8ELi8ELi32ELc78ELc84EKPKS2_S5_KPS2_EEvlllT_PT11_llSA_llS8_PT12_llPT13_lli.kd
    .uniform_work_group_size: 1
    .uses_dynamic_stack: false
    .vgpr_count:     128
    .vgpr_spill_count: 0
    .wavefront_size: 32
    .workgroup_processor_mode: 1
  - .args:
      - .offset:         0
        .size:           8
        .value_kind:     by_value
      - .offset:         8
        .size:           8
        .value_kind:     by_value
      - .offset:         16
        .size:           8
        .value_kind:     by_value
      - .offset:         24
        .size:           16
        .value_kind:     by_value
      - .address_space:  global
        .offset:         40
        .size:           8
        .value_kind:     global_buffer
      - .offset:         48
        .size:           8
        .value_kind:     by_value
      - .offset:         56
        .size:           8
        .value_kind:     by_value
      - .address_space:  global
        .offset:         64
        .size:           8
        .value_kind:     global_buffer
      - .offset:         72
        .size:           8
        .value_kind:     by_value
      - .offset:         80
        .size:           8
        .value_kind:     by_value
      - .offset:         88
        .size:           16
        .value_kind:     by_value
      - .address_space:  global
        .offset:         104
        .size:           8
        .value_kind:     global_buffer
      - .offset:         112
        .size:           8
        .value_kind:     by_value
      - .offset:         120
        .size:           8
        .value_kind:     by_value
      - .address_space:  global
        .offset:         128
        .size:           8
        .value_kind:     global_buffer
      - .offset:         136
        .size:           8
        .value_kind:     by_value
      - .offset:         144
        .size:           8
        .value_kind:     by_value
      - .offset:         152
        .size:           4
        .value_kind:     by_value
    .group_segment_fixed_size: 8192
    .kernarg_segment_align: 8
    .kernarg_segment_size: 156
    .language:       OpenCL C
    .language_version:
      - 2
      - 0
    .max_flat_workgroup_size: 256
    .name:           _ZN12_GLOBAL__N_135rocblas_gemm_batched_general_kernelI19rocblas_complex_numIdELi16ELi16ELi32ELi32ELi8ELi32ELi8ELi8ELi32ELc84ELc84EKPKS2_S5_KPS2_EEvlllT_PT11_llSA_llS8_PT12_llPT13_lli
    .private_segment_fixed_size: 0
    .sgpr_count:     54
    .sgpr_spill_count: 0
    .symbol:         _ZN12_GLOBAL__N_135rocblas_gemm_batched_general_kernelI19rocblas_complex_numIdELi16ELi16ELi32ELi32ELi8ELi32ELi8ELi8ELi32ELc84ELc84EKPKS2_S5_KPS2_EEvlllT_PT11_llSA_llS8_PT12_llPT13_lli.kd
    .uniform_work_group_size: 1
    .uses_dynamic_stack: false
    .vgpr_count:     128
    .vgpr_spill_count: 0
    .wavefront_size: 32
    .workgroup_processor_mode: 1
  - .args:
      - .offset:         0
        .size:           8
        .value_kind:     by_value
      - .offset:         8
        .size:           8
        .value_kind:     by_value
      - .offset:         16
        .size:           8
        .value_kind:     by_value
      - .offset:         24
        .size:           16
        .value_kind:     by_value
      - .address_space:  global
        .offset:         40
        .size:           8
        .value_kind:     global_buffer
      - .offset:         48
        .size:           8
        .value_kind:     by_value
      - .offset:         56
        .size:           8
        .value_kind:     by_value
      - .address_space:  global
        .offset:         64
        .size:           8
        .value_kind:     global_buffer
      - .offset:         72
        .size:           8
        .value_kind:     by_value
      - .offset:         80
        .size:           8
        .value_kind:     by_value
      - .offset:         88
        .size:           16
        .value_kind:     by_value
      - .address_space:  global
        .offset:         104
        .size:           8
        .value_kind:     global_buffer
      - .offset:         112
        .size:           8
        .value_kind:     by_value
      - .offset:         120
        .size:           8
        .value_kind:     by_value
      - .address_space:  global
        .offset:         128
        .size:           8
        .value_kind:     global_buffer
      - .offset:         136
        .size:           8
        .value_kind:     by_value
      - .offset:         144
        .size:           8
        .value_kind:     by_value
      - .offset:         152
        .size:           4
        .value_kind:     by_value
    .group_segment_fixed_size: 8192
    .kernarg_segment_align: 8
    .kernarg_segment_size: 156
    .language:       OpenCL C
    .language_version:
      - 2
      - 0
    .max_flat_workgroup_size: 256
    .name:           _ZN12_GLOBAL__N_135rocblas_gemm_batched_general_kernelI19rocblas_complex_numIdELi16ELi16ELi32ELi32ELi8ELi32ELi8ELi8ELi32ELc67ELc67EKPKS2_S5_KPS2_EEvlllT_PT11_llSA_llS8_PT12_llPT13_lli
    .private_segment_fixed_size: 0
    .sgpr_count:     54
    .sgpr_spill_count: 0
    .symbol:         _ZN12_GLOBAL__N_135rocblas_gemm_batched_general_kernelI19rocblas_complex_numIdELi16ELi16ELi32ELi32ELi8ELi32ELi8ELi8ELi32ELc67ELc67EKPKS2_S5_KPS2_EEvlllT_PT11_llSA_llS8_PT12_llPT13_lli.kd
    .uniform_work_group_size: 1
    .uses_dynamic_stack: false
    .vgpr_count:     126
    .vgpr_spill_count: 0
    .wavefront_size: 32
    .workgroup_processor_mode: 1
  - .args:
      - .offset:         0
        .size:           8
        .value_kind:     by_value
      - .offset:         8
        .size:           8
        .value_kind:     by_value
      - .offset:         16
        .size:           8
        .value_kind:     by_value
      - .offset:         24
        .size:           16
        .value_kind:     by_value
      - .address_space:  global
        .offset:         40
        .size:           8
        .value_kind:     global_buffer
      - .offset:         48
        .size:           8
        .value_kind:     by_value
      - .offset:         56
        .size:           8
        .value_kind:     by_value
      - .address_space:  global
        .offset:         64
        .size:           8
        .value_kind:     global_buffer
      - .offset:         72
        .size:           8
        .value_kind:     by_value
      - .offset:         80
        .size:           8
        .value_kind:     by_value
      - .offset:         88
        .size:           16
        .value_kind:     by_value
      - .address_space:  global
        .offset:         104
        .size:           8
        .value_kind:     global_buffer
      - .offset:         112
        .size:           8
        .value_kind:     by_value
      - .offset:         120
        .size:           8
        .value_kind:     by_value
      - .address_space:  global
        .offset:         128
        .size:           8
        .value_kind:     global_buffer
      - .offset:         136
        .size:           8
        .value_kind:     by_value
      - .offset:         144
        .size:           8
        .value_kind:     by_value
      - .offset:         152
        .size:           4
        .value_kind:     by_value
    .group_segment_fixed_size: 8192
    .kernarg_segment_align: 8
    .kernarg_segment_size: 156
    .language:       OpenCL C
    .language_version:
      - 2
      - 0
    .max_flat_workgroup_size: 256
    .name:           _ZN12_GLOBAL__N_135rocblas_gemm_batched_general_kernelI19rocblas_complex_numIdELi16ELi16ELi32ELi32ELi8ELi32ELi8ELi8ELi32ELc67ELc78EKPKS2_S5_KPS2_EEvlllT_PT11_llSA_llS8_PT12_llPT13_lli
    .private_segment_fixed_size: 0
    .sgpr_count:     54
    .sgpr_spill_count: 0
    .symbol:         _ZN12_GLOBAL__N_135rocblas_gemm_batched_general_kernelI19rocblas_complex_numIdELi16ELi16ELi32ELi32ELi8ELi32ELi8ELi8ELi32ELc67ELc78EKPKS2_S5_KPS2_EEvlllT_PT11_llSA_llS8_PT12_llPT13_lli.kd
    .uniform_work_group_size: 1
    .uses_dynamic_stack: false
    .vgpr_count:     127
    .vgpr_spill_count: 0
    .wavefront_size: 32
    .workgroup_processor_mode: 1
  - .args:
      - .offset:         0
        .size:           8
        .value_kind:     by_value
      - .offset:         8
        .size:           8
        .value_kind:     by_value
      - .offset:         16
        .size:           8
        .value_kind:     by_value
      - .offset:         24
        .size:           16
        .value_kind:     by_value
      - .address_space:  global
        .offset:         40
        .size:           8
        .value_kind:     global_buffer
      - .offset:         48
        .size:           8
        .value_kind:     by_value
      - .offset:         56
        .size:           8
        .value_kind:     by_value
      - .address_space:  global
        .offset:         64
        .size:           8
        .value_kind:     global_buffer
      - .offset:         72
        .size:           8
        .value_kind:     by_value
      - .offset:         80
        .size:           8
        .value_kind:     by_value
      - .offset:         88
        .size:           16
        .value_kind:     by_value
      - .address_space:  global
        .offset:         104
        .size:           8
        .value_kind:     global_buffer
      - .offset:         112
        .size:           8
        .value_kind:     by_value
      - .offset:         120
        .size:           8
        .value_kind:     by_value
      - .address_space:  global
        .offset:         128
        .size:           8
        .value_kind:     global_buffer
      - .offset:         136
        .size:           8
        .value_kind:     by_value
      - .offset:         144
        .size:           8
        .value_kind:     by_value
      - .offset:         152
        .size:           4
        .value_kind:     by_value
    .group_segment_fixed_size: 8192
    .kernarg_segment_align: 8
    .kernarg_segment_size: 156
    .language:       OpenCL C
    .language_version:
      - 2
      - 0
    .max_flat_workgroup_size: 256
    .name:           _ZN12_GLOBAL__N_135rocblas_gemm_batched_general_kernelI19rocblas_complex_numIdELi16ELi16ELi32ELi32ELi8ELi32ELi8ELi8ELi32ELc67ELc84EKPKS2_S5_KPS2_EEvlllT_PT11_llSA_llS8_PT12_llPT13_lli
    .private_segment_fixed_size: 0
    .sgpr_count:     54
    .sgpr_spill_count: 0
    .symbol:         _ZN12_GLOBAL__N_135rocblas_gemm_batched_general_kernelI19rocblas_complex_numIdELi16ELi16ELi32ELi32ELi8ELi32ELi8ELi8ELi32ELc67ELc84EKPKS2_S5_KPS2_EEvlllT_PT11_llSA_llS8_PT12_llPT13_lli.kd
    .uniform_work_group_size: 1
    .uses_dynamic_stack: false
    .vgpr_count:     127
    .vgpr_spill_count: 0
    .wavefront_size: 32
    .workgroup_processor_mode: 1
  - .args:
      - .offset:         0
        .size:           8
        .value_kind:     by_value
      - .offset:         8
        .size:           8
        .value_kind:     by_value
      - .offset:         16
        .size:           8
        .value_kind:     by_value
      - .offset:         24
        .size:           16
        .value_kind:     by_value
      - .address_space:  global
        .offset:         40
        .size:           8
        .value_kind:     global_buffer
      - .offset:         48
        .size:           8
        .value_kind:     by_value
      - .offset:         56
        .size:           8
        .value_kind:     by_value
      - .address_space:  global
        .offset:         64
        .size:           8
        .value_kind:     global_buffer
      - .offset:         72
        .size:           8
        .value_kind:     by_value
      - .offset:         80
        .size:           8
        .value_kind:     by_value
      - .offset:         88
        .size:           16
        .value_kind:     by_value
      - .address_space:  global
        .offset:         104
        .size:           8
        .value_kind:     global_buffer
      - .offset:         112
        .size:           8
        .value_kind:     by_value
      - .offset:         120
        .size:           8
        .value_kind:     by_value
      - .address_space:  global
        .offset:         128
        .size:           8
        .value_kind:     global_buffer
      - .offset:         136
        .size:           8
        .value_kind:     by_value
      - .offset:         144
        .size:           8
        .value_kind:     by_value
      - .offset:         152
        .size:           4
        .value_kind:     by_value
    .group_segment_fixed_size: 8192
    .kernarg_segment_align: 8
    .kernarg_segment_size: 156
    .language:       OpenCL C
    .language_version:
      - 2
      - 0
    .max_flat_workgroup_size: 256
    .name:           _ZN12_GLOBAL__N_135rocblas_gemm_batched_general_kernelI19rocblas_complex_numIdELi16ELi16ELi32ELi32ELi8ELi32ELi8ELi8ELi32ELc78ELc67EKPKS2_S5_KPS2_EEvlllT_PT11_llSA_llS8_PT12_llPT13_lli
    .private_segment_fixed_size: 0
    .sgpr_count:     54
    .sgpr_spill_count: 0
    .symbol:         _ZN12_GLOBAL__N_135rocblas_gemm_batched_general_kernelI19rocblas_complex_numIdELi16ELi16ELi32ELi32ELi8ELi32ELi8ELi8ELi32ELc78ELc67EKPKS2_S5_KPS2_EEvlllT_PT11_llSA_llS8_PT12_llPT13_lli.kd
    .uniform_work_group_size: 1
    .uses_dynamic_stack: false
    .vgpr_count:     127
    .vgpr_spill_count: 0
    .wavefront_size: 32
    .workgroup_processor_mode: 1
  - .args:
      - .offset:         0
        .size:           8
        .value_kind:     by_value
      - .offset:         8
        .size:           8
        .value_kind:     by_value
      - .offset:         16
        .size:           8
        .value_kind:     by_value
      - .offset:         24
        .size:           16
        .value_kind:     by_value
      - .address_space:  global
        .offset:         40
        .size:           8
        .value_kind:     global_buffer
      - .offset:         48
        .size:           8
        .value_kind:     by_value
      - .offset:         56
        .size:           8
        .value_kind:     by_value
      - .address_space:  global
        .offset:         64
        .size:           8
        .value_kind:     global_buffer
      - .offset:         72
        .size:           8
        .value_kind:     by_value
      - .offset:         80
        .size:           8
        .value_kind:     by_value
      - .offset:         88
        .size:           16
        .value_kind:     by_value
      - .address_space:  global
        .offset:         104
        .size:           8
        .value_kind:     global_buffer
      - .offset:         112
        .size:           8
        .value_kind:     by_value
      - .offset:         120
        .size:           8
        .value_kind:     by_value
      - .address_space:  global
        .offset:         128
        .size:           8
        .value_kind:     global_buffer
      - .offset:         136
        .size:           8
        .value_kind:     by_value
      - .offset:         144
        .size:           8
        .value_kind:     by_value
      - .offset:         152
        .size:           4
        .value_kind:     by_value
    .group_segment_fixed_size: 8192
    .kernarg_segment_align: 8
    .kernarg_segment_size: 156
    .language:       OpenCL C
    .language_version:
      - 2
      - 0
    .max_flat_workgroup_size: 256
    .name:           _ZN12_GLOBAL__N_135rocblas_gemm_batched_general_kernelI19rocblas_complex_numIdELi16ELi16ELi32ELi32ELi8ELi32ELi8ELi8ELi32ELc84ELc67EKPKS2_S5_KPS2_EEvlllT_PT11_llSA_llS8_PT12_llPT13_lli
    .private_segment_fixed_size: 0
    .sgpr_count:     54
    .sgpr_spill_count: 0
    .symbol:         _ZN12_GLOBAL__N_135rocblas_gemm_batched_general_kernelI19rocblas_complex_numIdELi16ELi16ELi32ELi32ELi8ELi32ELi8ELi8ELi32ELc84ELc67EKPKS2_S5_KPS2_EEvlllT_PT11_llSA_llS8_PT12_llPT13_lli.kd
    .uniform_work_group_size: 1
    .uses_dynamic_stack: false
    .vgpr_count:     127
    .vgpr_spill_count: 0
    .wavefront_size: 32
    .workgroup_processor_mode: 1
  - .args:
      - .offset:         0
        .size:           4
        .value_kind:     by_value
      - .offset:         4
        .size:           4
        .value_kind:     by_value
      - .offset:         8
        .size:           8
        .value_kind:     by_value
      - .address_space:  global
        .offset:         16
        .size:           8
        .value_kind:     global_buffer
      - .offset:         24
        .size:           8
        .value_kind:     by_value
      - .offset:         32
        .size:           8
        .value_kind:     by_value
      - .offset:         40
        .size:           8
        .value_kind:     by_value
      - .address_space:  global
        .offset:         48
        .size:           8
        .value_kind:     global_buffer
      - .offset:         56
        .size:           8
        .value_kind:     by_value
      - .offset:         64
        .size:           8
        .value_kind:     by_value
      - .offset:         72
        .size:           8
        .value_kind:     by_value
      - .offset:         80
        .size:           4
        .value_kind:     by_value
    .group_segment_fixed_size: 0
    .kernarg_segment_align: 8
    .kernarg_segment_size: 84
    .language:       OpenCL C
    .language_version:
      - 2
      - 0
    .max_flat_workgroup_size: 1024
    .name:           _ZN12_GLOBAL__N_120gemm_ex_scale_kernelILi32ELi32EdPKdPdEEviiT1_T2_lllT3_llli
    .private_segment_fixed_size: 0
    .sgpr_count:     30
    .sgpr_spill_count: 0
    .symbol:         _ZN12_GLOBAL__N_120gemm_ex_scale_kernelILi32ELi32EdPKdPdEEviiT1_T2_lllT3_llli.kd
    .uniform_work_group_size: 1
    .uses_dynamic_stack: false
    .vgpr_count:     8
    .vgpr_spill_count: 0
    .wavefront_size: 32
    .workgroup_processor_mode: 1
  - .args:
      - .offset:         0
        .size:           8
        .value_kind:     by_value
      - .offset:         8
        .size:           8
        .value_kind:     by_value
      - .offset:         16
        .size:           8
        .value_kind:     by_value
      - .offset:         24
        .size:           8
        .value_kind:     by_value
      - .address_space:  global
        .offset:         32
        .size:           8
        .value_kind:     global_buffer
      - .offset:         40
        .size:           8
        .value_kind:     by_value
      - .offset:         48
        .size:           8
        .value_kind:     by_value
      - .address_space:  global
        .offset:         56
        .size:           8
        .value_kind:     global_buffer
      - .offset:         64
        .size:           8
        .value_kind:     by_value
      - .offset:         72
        .size:           8
        .value_kind:     by_value
      - .offset:         80
        .size:           8
        .value_kind:     by_value
      - .address_space:  global
        .offset:         88
        .size:           8
        .value_kind:     global_buffer
      - .offset:         96
        .size:           8
        .value_kind:     by_value
      - .offset:         104
        .size:           8
        .value_kind:     by_value
      - .address_space:  global
        .offset:         112
        .size:           8
        .value_kind:     global_buffer
      - .offset:         120
        .size:           8
        .value_kind:     by_value
      - .offset:         128
        .size:           8
        .value_kind:     by_value
      - .offset:         136
        .size:           4
        .value_kind:     by_value
    .group_segment_fixed_size: 4096
    .kernarg_segment_align: 8
    .kernarg_segment_size: 140
    .language:       OpenCL C
    .language_version:
      - 2
      - 0
    .max_flat_workgroup_size: 256
    .name:           _ZN12_GLOBAL__N_127rocblas_gemm_batched_kernelIdLi16ELi16ELi64ELi64ELi4ELi64ELi4ELi4ELi64ELc78ELc78EKdS1_dEEvlllT_PT11_llS4_llS2_PT12_llPT13_lli
    .private_segment_fixed_size: 0
    .sgpr_count:     32
    .sgpr_spill_count: 0
    .symbol:         _ZN12_GLOBAL__N_127rocblas_gemm_batched_kernelIdLi16ELi16ELi64ELi64ELi4ELi64ELi4ELi4ELi64ELc78ELc78EKdS1_dEEvlllT_PT11_llS4_llS2_PT12_llPT13_lli.kd
    .uniform_work_group_size: 1
    .uses_dynamic_stack: false
    .vgpr_count:     78
    .vgpr_spill_count: 0
    .wavefront_size: 32
    .workgroup_processor_mode: 1
  - .args:
      - .offset:         0
        .size:           8
        .value_kind:     by_value
      - .offset:         8
        .size:           8
        .value_kind:     by_value
      - .offset:         16
        .size:           8
        .value_kind:     by_value
      - .offset:         24
        .size:           8
        .value_kind:     by_value
      - .address_space:  global
        .offset:         32
        .size:           8
        .value_kind:     global_buffer
      - .offset:         40
        .size:           8
        .value_kind:     by_value
      - .offset:         48
        .size:           8
        .value_kind:     by_value
      - .address_space:  global
        .offset:         56
        .size:           8
        .value_kind:     global_buffer
      - .offset:         64
        .size:           8
        .value_kind:     by_value
      - .offset:         72
        .size:           8
        .value_kind:     by_value
      - .offset:         80
        .size:           8
        .value_kind:     by_value
      - .address_space:  global
        .offset:         88
        .size:           8
        .value_kind:     global_buffer
      - .offset:         96
        .size:           8
        .value_kind:     by_value
      - .offset:         104
        .size:           8
        .value_kind:     by_value
      - .address_space:  global
        .offset:         112
        .size:           8
        .value_kind:     global_buffer
      - .offset:         120
        .size:           8
        .value_kind:     by_value
      - .offset:         128
        .size:           8
        .value_kind:     by_value
      - .offset:         136
        .size:           4
        .value_kind:     by_value
    .group_segment_fixed_size: 4096
    .kernarg_segment_align: 8
    .kernarg_segment_size: 140
    .language:       OpenCL C
    .language_version:
      - 2
      - 0
    .max_flat_workgroup_size: 256
    .name:           _ZN12_GLOBAL__N_127rocblas_gemm_batched_kernelIdLi16ELi16ELi64ELi64ELi4ELi64ELi4ELi4ELi64ELc84ELc78EKdS1_dEEvlllT_PT11_llS4_llS2_PT12_llPT13_lli
    .private_segment_fixed_size: 0
    .sgpr_count:     32
    .sgpr_spill_count: 0
    .symbol:         _ZN12_GLOBAL__N_127rocblas_gemm_batched_kernelIdLi16ELi16ELi64ELi64ELi4ELi64ELi4ELi4ELi64ELc84ELc78EKdS1_dEEvlllT_PT11_llS4_llS2_PT12_llPT13_lli.kd
    .uniform_work_group_size: 1
    .uses_dynamic_stack: false
    .vgpr_count:     78
    .vgpr_spill_count: 0
    .wavefront_size: 32
    .workgroup_processor_mode: 1
  - .args:
      - .offset:         0
        .size:           8
        .value_kind:     by_value
      - .offset:         8
        .size:           8
        .value_kind:     by_value
      - .offset:         16
        .size:           8
        .value_kind:     by_value
      - .offset:         24
        .size:           8
        .value_kind:     by_value
      - .address_space:  global
        .offset:         32
        .size:           8
        .value_kind:     global_buffer
      - .offset:         40
        .size:           8
        .value_kind:     by_value
      - .offset:         48
        .size:           8
        .value_kind:     by_value
      - .address_space:  global
        .offset:         56
        .size:           8
        .value_kind:     global_buffer
      - .offset:         64
        .size:           8
        .value_kind:     by_value
      - .offset:         72
        .size:           8
        .value_kind:     by_value
      - .offset:         80
        .size:           8
        .value_kind:     by_value
      - .address_space:  global
        .offset:         88
        .size:           8
        .value_kind:     global_buffer
      - .offset:         96
        .size:           8
        .value_kind:     by_value
      - .offset:         104
        .size:           8
        .value_kind:     by_value
      - .address_space:  global
        .offset:         112
        .size:           8
        .value_kind:     global_buffer
      - .offset:         120
        .size:           8
        .value_kind:     by_value
      - .offset:         128
        .size:           8
        .value_kind:     by_value
      - .offset:         136
        .size:           4
        .value_kind:     by_value
    .group_segment_fixed_size: 4096
    .kernarg_segment_align: 8
    .kernarg_segment_size: 140
    .language:       OpenCL C
    .language_version:
      - 2
      - 0
    .max_flat_workgroup_size: 256
    .name:           _ZN12_GLOBAL__N_127rocblas_gemm_batched_kernelIdLi16ELi16ELi64ELi64ELi4ELi64ELi4ELi4ELi64ELc78ELc84EKdS1_dEEvlllT_PT11_llS4_llS2_PT12_llPT13_lli
    .private_segment_fixed_size: 0
    .sgpr_count:     32
    .sgpr_spill_count: 0
    .symbol:         _ZN12_GLOBAL__N_127rocblas_gemm_batched_kernelIdLi16ELi16ELi64ELi64ELi4ELi64ELi4ELi4ELi64ELc78ELc84EKdS1_dEEvlllT_PT11_llS4_llS2_PT12_llPT13_lli.kd
    .uniform_work_group_size: 1
    .uses_dynamic_stack: false
    .vgpr_count:     78
    .vgpr_spill_count: 0
    .wavefront_size: 32
    .workgroup_processor_mode: 1
  - .args:
      - .offset:         0
        .size:           8
        .value_kind:     by_value
      - .offset:         8
        .size:           8
        .value_kind:     by_value
      - .offset:         16
        .size:           8
        .value_kind:     by_value
      - .offset:         24
        .size:           8
        .value_kind:     by_value
      - .address_space:  global
        .offset:         32
        .size:           8
        .value_kind:     global_buffer
      - .offset:         40
        .size:           8
        .value_kind:     by_value
      - .offset:         48
        .size:           8
        .value_kind:     by_value
      - .address_space:  global
        .offset:         56
        .size:           8
        .value_kind:     global_buffer
      - .offset:         64
        .size:           8
        .value_kind:     by_value
      - .offset:         72
        .size:           8
        .value_kind:     by_value
      - .offset:         80
        .size:           8
        .value_kind:     by_value
      - .address_space:  global
        .offset:         88
        .size:           8
        .value_kind:     global_buffer
      - .offset:         96
        .size:           8
        .value_kind:     by_value
      - .offset:         104
        .size:           8
        .value_kind:     by_value
      - .address_space:  global
        .offset:         112
        .size:           8
        .value_kind:     global_buffer
      - .offset:         120
        .size:           8
        .value_kind:     by_value
      - .offset:         128
        .size:           8
        .value_kind:     by_value
      - .offset:         136
        .size:           4
        .value_kind:     by_value
    .group_segment_fixed_size: 4096
    .kernarg_segment_align: 8
    .kernarg_segment_size: 140
    .language:       OpenCL C
    .language_version:
      - 2
      - 0
    .max_flat_workgroup_size: 256
    .name:           _ZN12_GLOBAL__N_127rocblas_gemm_batched_kernelIdLi16ELi16ELi64ELi64ELi4ELi64ELi4ELi4ELi64ELc84ELc84EKdS1_dEEvlllT_PT11_llS4_llS2_PT12_llPT13_lli
    .private_segment_fixed_size: 0
    .sgpr_count:     32
    .sgpr_spill_count: 0
    .symbol:         _ZN12_GLOBAL__N_127rocblas_gemm_batched_kernelIdLi16ELi16ELi64ELi64ELi4ELi64ELi4ELi4ELi64ELc84ELc84EKdS1_dEEvlllT_PT11_llS4_llS2_PT12_llPT13_lli.kd
    .uniform_work_group_size: 1
    .uses_dynamic_stack: false
    .vgpr_count:     78
    .vgpr_spill_count: 0
    .wavefront_size: 32
    .workgroup_processor_mode: 1
  - .args:
      - .offset:         0
        .size:           8
        .value_kind:     by_value
      - .offset:         8
        .size:           8
        .value_kind:     by_value
      - .offset:         16
        .size:           8
        .value_kind:     by_value
      - .offset:         24
        .size:           8
        .value_kind:     by_value
      - .address_space:  global
        .offset:         32
        .size:           8
        .value_kind:     global_buffer
      - .offset:         40
        .size:           8
        .value_kind:     by_value
      - .offset:         48
        .size:           8
        .value_kind:     by_value
      - .address_space:  global
        .offset:         56
        .size:           8
        .value_kind:     global_buffer
      - .offset:         64
        .size:           8
        .value_kind:     by_value
      - .offset:         72
        .size:           8
        .value_kind:     by_value
      - .offset:         80
        .size:           8
        .value_kind:     by_value
      - .address_space:  global
        .offset:         88
        .size:           8
        .value_kind:     global_buffer
      - .offset:         96
        .size:           8
        .value_kind:     by_value
      - .offset:         104
        .size:           8
        .value_kind:     by_value
      - .address_space:  global
        .offset:         112
        .size:           8
        .value_kind:     global_buffer
      - .offset:         120
        .size:           8
        .value_kind:     by_value
      - .offset:         128
        .size:           8
        .value_kind:     by_value
      - .offset:         136
        .size:           4
        .value_kind:     by_value
    .group_segment_fixed_size: 4096
    .kernarg_segment_align: 8
    .kernarg_segment_size: 140
    .language:       OpenCL C
    .language_version:
      - 2
      - 0
    .max_flat_workgroup_size: 256
    .name:           _ZN12_GLOBAL__N_127rocblas_gemm_batched_kernelIdLi16ELi16ELi64ELi64ELi4ELi64ELi4ELi4ELi64ELc67ELc67EKdS1_dEEvlllT_PT11_llS4_llS2_PT12_llPT13_lli
    .private_segment_fixed_size: 0
    .sgpr_count:     32
    .sgpr_spill_count: 0
    .symbol:         _ZN12_GLOBAL__N_127rocblas_gemm_batched_kernelIdLi16ELi16ELi64ELi64ELi4ELi64ELi4ELi4ELi64ELc67ELc67EKdS1_dEEvlllT_PT11_llS4_llS2_PT12_llPT13_lli.kd
    .uniform_work_group_size: 1
    .uses_dynamic_stack: false
    .vgpr_count:     78
    .vgpr_spill_count: 0
    .wavefront_size: 32
    .workgroup_processor_mode: 1
  - .args:
      - .offset:         0
        .size:           8
        .value_kind:     by_value
      - .offset:         8
        .size:           8
        .value_kind:     by_value
      - .offset:         16
        .size:           8
        .value_kind:     by_value
      - .offset:         24
        .size:           8
        .value_kind:     by_value
      - .address_space:  global
        .offset:         32
        .size:           8
        .value_kind:     global_buffer
      - .offset:         40
        .size:           8
        .value_kind:     by_value
      - .offset:         48
        .size:           8
        .value_kind:     by_value
      - .address_space:  global
        .offset:         56
        .size:           8
        .value_kind:     global_buffer
      - .offset:         64
        .size:           8
        .value_kind:     by_value
      - .offset:         72
        .size:           8
        .value_kind:     by_value
      - .offset:         80
        .size:           8
        .value_kind:     by_value
      - .address_space:  global
        .offset:         88
        .size:           8
        .value_kind:     global_buffer
      - .offset:         96
        .size:           8
        .value_kind:     by_value
      - .offset:         104
        .size:           8
        .value_kind:     by_value
      - .address_space:  global
        .offset:         112
        .size:           8
        .value_kind:     global_buffer
      - .offset:         120
        .size:           8
        .value_kind:     by_value
      - .offset:         128
        .size:           8
        .value_kind:     by_value
      - .offset:         136
        .size:           4
        .value_kind:     by_value
    .group_segment_fixed_size: 4096
    .kernarg_segment_align: 8
    .kernarg_segment_size: 140
    .language:       OpenCL C
    .language_version:
      - 2
      - 0
    .max_flat_workgroup_size: 256
    .name:           _ZN12_GLOBAL__N_127rocblas_gemm_batched_kernelIdLi16ELi16ELi64ELi64ELi4ELi64ELi4ELi4ELi64ELc67ELc78EKdS1_dEEvlllT_PT11_llS4_llS2_PT12_llPT13_lli
    .private_segment_fixed_size: 0
    .sgpr_count:     32
    .sgpr_spill_count: 0
    .symbol:         _ZN12_GLOBAL__N_127rocblas_gemm_batched_kernelIdLi16ELi16ELi64ELi64ELi4ELi64ELi4ELi4ELi64ELc67ELc78EKdS1_dEEvlllT_PT11_llS4_llS2_PT12_llPT13_lli.kd
    .uniform_work_group_size: 1
    .uses_dynamic_stack: false
    .vgpr_count:     78
    .vgpr_spill_count: 0
    .wavefront_size: 32
    .workgroup_processor_mode: 1
  - .args:
      - .offset:         0
        .size:           8
        .value_kind:     by_value
      - .offset:         8
        .size:           8
        .value_kind:     by_value
      - .offset:         16
        .size:           8
        .value_kind:     by_value
      - .offset:         24
        .size:           8
        .value_kind:     by_value
      - .address_space:  global
        .offset:         32
        .size:           8
        .value_kind:     global_buffer
      - .offset:         40
        .size:           8
        .value_kind:     by_value
      - .offset:         48
        .size:           8
        .value_kind:     by_value
      - .address_space:  global
        .offset:         56
        .size:           8
        .value_kind:     global_buffer
      - .offset:         64
        .size:           8
        .value_kind:     by_value
      - .offset:         72
        .size:           8
        .value_kind:     by_value
      - .offset:         80
        .size:           8
        .value_kind:     by_value
      - .address_space:  global
        .offset:         88
        .size:           8
        .value_kind:     global_buffer
      - .offset:         96
        .size:           8
        .value_kind:     by_value
      - .offset:         104
        .size:           8
        .value_kind:     by_value
      - .address_space:  global
        .offset:         112
        .size:           8
        .value_kind:     global_buffer
      - .offset:         120
        .size:           8
        .value_kind:     by_value
      - .offset:         128
        .size:           8
        .value_kind:     by_value
      - .offset:         136
        .size:           4
        .value_kind:     by_value
    .group_segment_fixed_size: 4096
    .kernarg_segment_align: 8
    .kernarg_segment_size: 140
    .language:       OpenCL C
    .language_version:
      - 2
      - 0
    .max_flat_workgroup_size: 256
    .name:           _ZN12_GLOBAL__N_127rocblas_gemm_batched_kernelIdLi16ELi16ELi64ELi64ELi4ELi64ELi4ELi4ELi64ELc67ELc84EKdS1_dEEvlllT_PT11_llS4_llS2_PT12_llPT13_lli
    .private_segment_fixed_size: 0
    .sgpr_count:     32
    .sgpr_spill_count: 0
    .symbol:         _ZN12_GLOBAL__N_127rocblas_gemm_batched_kernelIdLi16ELi16ELi64ELi64ELi4ELi64ELi4ELi4ELi64ELc67ELc84EKdS1_dEEvlllT_PT11_llS4_llS2_PT12_llPT13_lli.kd
    .uniform_work_group_size: 1
    .uses_dynamic_stack: false
    .vgpr_count:     78
    .vgpr_spill_count: 0
    .wavefront_size: 32
    .workgroup_processor_mode: 1
  - .args:
      - .offset:         0
        .size:           8
        .value_kind:     by_value
      - .offset:         8
        .size:           8
        .value_kind:     by_value
      - .offset:         16
        .size:           8
        .value_kind:     by_value
      - .offset:         24
        .size:           8
        .value_kind:     by_value
      - .address_space:  global
        .offset:         32
        .size:           8
        .value_kind:     global_buffer
      - .offset:         40
        .size:           8
        .value_kind:     by_value
      - .offset:         48
        .size:           8
        .value_kind:     by_value
      - .address_space:  global
        .offset:         56
        .size:           8
        .value_kind:     global_buffer
      - .offset:         64
        .size:           8
        .value_kind:     by_value
      - .offset:         72
        .size:           8
        .value_kind:     by_value
      - .offset:         80
        .size:           8
        .value_kind:     by_value
      - .address_space:  global
        .offset:         88
        .size:           8
        .value_kind:     global_buffer
      - .offset:         96
        .size:           8
        .value_kind:     by_value
      - .offset:         104
        .size:           8
        .value_kind:     by_value
      - .address_space:  global
        .offset:         112
        .size:           8
        .value_kind:     global_buffer
      - .offset:         120
        .size:           8
        .value_kind:     by_value
      - .offset:         128
        .size:           8
        .value_kind:     by_value
      - .offset:         136
        .size:           4
        .value_kind:     by_value
    .group_segment_fixed_size: 4096
    .kernarg_segment_align: 8
    .kernarg_segment_size: 140
    .language:       OpenCL C
    .language_version:
      - 2
      - 0
    .max_flat_workgroup_size: 256
    .name:           _ZN12_GLOBAL__N_127rocblas_gemm_batched_kernelIdLi16ELi16ELi64ELi64ELi4ELi64ELi4ELi4ELi64ELc78ELc67EKdS1_dEEvlllT_PT11_llS4_llS2_PT12_llPT13_lli
    .private_segment_fixed_size: 0
    .sgpr_count:     32
    .sgpr_spill_count: 0
    .symbol:         _ZN12_GLOBAL__N_127rocblas_gemm_batched_kernelIdLi16ELi16ELi64ELi64ELi4ELi64ELi4ELi4ELi64ELc78ELc67EKdS1_dEEvlllT_PT11_llS4_llS2_PT12_llPT13_lli.kd
    .uniform_work_group_size: 1
    .uses_dynamic_stack: false
    .vgpr_count:     78
    .vgpr_spill_count: 0
    .wavefront_size: 32
    .workgroup_processor_mode: 1
  - .args:
      - .offset:         0
        .size:           8
        .value_kind:     by_value
      - .offset:         8
        .size:           8
        .value_kind:     by_value
      - .offset:         16
        .size:           8
        .value_kind:     by_value
      - .offset:         24
        .size:           8
        .value_kind:     by_value
      - .address_space:  global
        .offset:         32
        .size:           8
        .value_kind:     global_buffer
      - .offset:         40
        .size:           8
        .value_kind:     by_value
      - .offset:         48
        .size:           8
        .value_kind:     by_value
      - .address_space:  global
        .offset:         56
        .size:           8
        .value_kind:     global_buffer
      - .offset:         64
        .size:           8
        .value_kind:     by_value
      - .offset:         72
        .size:           8
        .value_kind:     by_value
      - .offset:         80
        .size:           8
        .value_kind:     by_value
      - .address_space:  global
        .offset:         88
        .size:           8
        .value_kind:     global_buffer
      - .offset:         96
        .size:           8
        .value_kind:     by_value
      - .offset:         104
        .size:           8
        .value_kind:     by_value
      - .address_space:  global
        .offset:         112
        .size:           8
        .value_kind:     global_buffer
      - .offset:         120
        .size:           8
        .value_kind:     by_value
      - .offset:         128
        .size:           8
        .value_kind:     by_value
      - .offset:         136
        .size:           4
        .value_kind:     by_value
    .group_segment_fixed_size: 4096
    .kernarg_segment_align: 8
    .kernarg_segment_size: 140
    .language:       OpenCL C
    .language_version:
      - 2
      - 0
    .max_flat_workgroup_size: 256
    .name:           _ZN12_GLOBAL__N_127rocblas_gemm_batched_kernelIdLi16ELi16ELi64ELi64ELi4ELi64ELi4ELi4ELi64ELc84ELc67EKdS1_dEEvlllT_PT11_llS4_llS2_PT12_llPT13_lli
    .private_segment_fixed_size: 0
    .sgpr_count:     32
    .sgpr_spill_count: 0
    .symbol:         _ZN12_GLOBAL__N_127rocblas_gemm_batched_kernelIdLi16ELi16ELi64ELi64ELi4ELi64ELi4ELi4ELi64ELc84ELc67EKdS1_dEEvlllT_PT11_llS4_llS2_PT12_llPT13_lli.kd
    .uniform_work_group_size: 1
    .uses_dynamic_stack: false
    .vgpr_count:     78
    .vgpr_spill_count: 0
    .wavefront_size: 32
    .workgroup_processor_mode: 1
  - .args:
      - .offset:         0
        .size:           8
        .value_kind:     by_value
      - .offset:         8
        .size:           8
        .value_kind:     by_value
      - .offset:         16
        .size:           8
        .value_kind:     by_value
      - .offset:         24
        .size:           8
        .value_kind:     by_value
      - .address_space:  global
        .offset:         32
        .size:           8
        .value_kind:     global_buffer
      - .offset:         40
        .size:           8
        .value_kind:     by_value
      - .offset:         48
        .size:           8
        .value_kind:     by_value
      - .address_space:  global
        .offset:         56
        .size:           8
        .value_kind:     global_buffer
      - .offset:         64
        .size:           8
        .value_kind:     by_value
      - .offset:         72
        .size:           8
        .value_kind:     by_value
      - .offset:         80
        .size:           8
        .value_kind:     by_value
      - .address_space:  global
        .offset:         88
        .size:           8
        .value_kind:     global_buffer
      - .offset:         96
        .size:           8
        .value_kind:     by_value
      - .offset:         104
        .size:           8
        .value_kind:     by_value
      - .address_space:  global
        .offset:         112
        .size:           8
        .value_kind:     global_buffer
      - .offset:         120
        .size:           8
        .value_kind:     by_value
      - .offset:         128
        .size:           8
        .value_kind:     by_value
      - .offset:         136
        .size:           4
        .value_kind:     by_value
    .group_segment_fixed_size: 4096
    .kernarg_segment_align: 8
    .kernarg_segment_size: 140
    .language:       OpenCL C
    .language_version:
      - 2
      - 0
    .max_flat_workgroup_size: 256
    .name:           _ZN12_GLOBAL__N_127rocblas_gemm_batched_kernelIdLi16ELi16ELi32ELi32ELi8ELi32ELi8ELi8ELi32ELc78ELc78EKdS1_dEEvlllT_PT11_llS4_llS2_PT12_llPT13_lli
    .private_segment_fixed_size: 0
    .sgpr_count:     32
    .sgpr_spill_count: 0
    .symbol:         _ZN12_GLOBAL__N_127rocblas_gemm_batched_kernelIdLi16ELi16ELi32ELi32ELi8ELi32ELi8ELi8ELi32ELc78ELc78EKdS1_dEEvlllT_PT11_llS4_llS2_PT12_llPT13_lli.kd
    .uniform_work_group_size: 1
    .uses_dynamic_stack: false
    .vgpr_count:     38
    .vgpr_spill_count: 0
    .wavefront_size: 32
    .workgroup_processor_mode: 1
  - .args:
      - .offset:         0
        .size:           8
        .value_kind:     by_value
      - .offset:         8
        .size:           8
        .value_kind:     by_value
      - .offset:         16
        .size:           8
        .value_kind:     by_value
      - .offset:         24
        .size:           8
        .value_kind:     by_value
      - .address_space:  global
        .offset:         32
        .size:           8
        .value_kind:     global_buffer
      - .offset:         40
        .size:           8
        .value_kind:     by_value
      - .offset:         48
        .size:           8
        .value_kind:     by_value
      - .address_space:  global
        .offset:         56
        .size:           8
        .value_kind:     global_buffer
      - .offset:         64
        .size:           8
        .value_kind:     by_value
      - .offset:         72
        .size:           8
        .value_kind:     by_value
      - .offset:         80
        .size:           8
        .value_kind:     by_value
      - .address_space:  global
        .offset:         88
        .size:           8
        .value_kind:     global_buffer
      - .offset:         96
        .size:           8
        .value_kind:     by_value
      - .offset:         104
        .size:           8
        .value_kind:     by_value
      - .address_space:  global
        .offset:         112
        .size:           8
        .value_kind:     global_buffer
      - .offset:         120
        .size:           8
        .value_kind:     by_value
      - .offset:         128
        .size:           8
        .value_kind:     by_value
      - .offset:         136
        .size:           4
        .value_kind:     by_value
    .group_segment_fixed_size: 4096
    .kernarg_segment_align: 8
    .kernarg_segment_size: 140
    .language:       OpenCL C
    .language_version:
      - 2
      - 0
    .max_flat_workgroup_size: 256
    .name:           _ZN12_GLOBAL__N_127rocblas_gemm_batched_kernelIdLi16ELi16ELi32ELi32ELi8ELi32ELi8ELi8ELi32ELc84ELc78EKdS1_dEEvlllT_PT11_llS4_llS2_PT12_llPT13_lli
    .private_segment_fixed_size: 0
    .sgpr_count:     32
    .sgpr_spill_count: 0
    .symbol:         _ZN12_GLOBAL__N_127rocblas_gemm_batched_kernelIdLi16ELi16ELi32ELi32ELi8ELi32ELi8ELi8ELi32ELc84ELc78EKdS1_dEEvlllT_PT11_llS4_llS2_PT12_llPT13_lli.kd
    .uniform_work_group_size: 1
    .uses_dynamic_stack: false
    .vgpr_count:     38
    .vgpr_spill_count: 0
    .wavefront_size: 32
    .workgroup_processor_mode: 1
  - .args:
      - .offset:         0
        .size:           8
        .value_kind:     by_value
      - .offset:         8
        .size:           8
        .value_kind:     by_value
      - .offset:         16
        .size:           8
        .value_kind:     by_value
      - .offset:         24
        .size:           8
        .value_kind:     by_value
      - .address_space:  global
        .offset:         32
        .size:           8
        .value_kind:     global_buffer
      - .offset:         40
        .size:           8
        .value_kind:     by_value
      - .offset:         48
        .size:           8
        .value_kind:     by_value
      - .address_space:  global
        .offset:         56
        .size:           8
        .value_kind:     global_buffer
      - .offset:         64
        .size:           8
        .value_kind:     by_value
      - .offset:         72
        .size:           8
        .value_kind:     by_value
      - .offset:         80
        .size:           8
        .value_kind:     by_value
      - .address_space:  global
        .offset:         88
        .size:           8
        .value_kind:     global_buffer
      - .offset:         96
        .size:           8
        .value_kind:     by_value
      - .offset:         104
        .size:           8
        .value_kind:     by_value
      - .address_space:  global
        .offset:         112
        .size:           8
        .value_kind:     global_buffer
      - .offset:         120
        .size:           8
        .value_kind:     by_value
      - .offset:         128
        .size:           8
        .value_kind:     by_value
      - .offset:         136
        .size:           4
        .value_kind:     by_value
    .group_segment_fixed_size: 4096
    .kernarg_segment_align: 8
    .kernarg_segment_size: 140
    .language:       OpenCL C
    .language_version:
      - 2
      - 0
    .max_flat_workgroup_size: 256
    .name:           _ZN12_GLOBAL__N_127rocblas_gemm_batched_kernelIdLi16ELi16ELi32ELi32ELi8ELi32ELi8ELi8ELi32ELc78ELc84EKdS1_dEEvlllT_PT11_llS4_llS2_PT12_llPT13_lli
    .private_segment_fixed_size: 0
    .sgpr_count:     32
    .sgpr_spill_count: 0
    .symbol:         _ZN12_GLOBAL__N_127rocblas_gemm_batched_kernelIdLi16ELi16ELi32ELi32ELi8ELi32ELi8ELi8ELi32ELc78ELc84EKdS1_dEEvlllT_PT11_llS4_llS2_PT12_llPT13_lli.kd
    .uniform_work_group_size: 1
    .uses_dynamic_stack: false
    .vgpr_count:     38
    .vgpr_spill_count: 0
    .wavefront_size: 32
    .workgroup_processor_mode: 1
  - .args:
      - .offset:         0
        .size:           8
        .value_kind:     by_value
      - .offset:         8
        .size:           8
        .value_kind:     by_value
      - .offset:         16
        .size:           8
        .value_kind:     by_value
      - .offset:         24
        .size:           8
        .value_kind:     by_value
      - .address_space:  global
        .offset:         32
        .size:           8
        .value_kind:     global_buffer
      - .offset:         40
        .size:           8
        .value_kind:     by_value
      - .offset:         48
        .size:           8
        .value_kind:     by_value
      - .address_space:  global
        .offset:         56
        .size:           8
        .value_kind:     global_buffer
      - .offset:         64
        .size:           8
        .value_kind:     by_value
      - .offset:         72
        .size:           8
        .value_kind:     by_value
      - .offset:         80
        .size:           8
        .value_kind:     by_value
      - .address_space:  global
        .offset:         88
        .size:           8
        .value_kind:     global_buffer
      - .offset:         96
        .size:           8
        .value_kind:     by_value
      - .offset:         104
        .size:           8
        .value_kind:     by_value
      - .address_space:  global
        .offset:         112
        .size:           8
        .value_kind:     global_buffer
      - .offset:         120
        .size:           8
        .value_kind:     by_value
      - .offset:         128
        .size:           8
        .value_kind:     by_value
      - .offset:         136
        .size:           4
        .value_kind:     by_value
    .group_segment_fixed_size: 4096
    .kernarg_segment_align: 8
    .kernarg_segment_size: 140
    .language:       OpenCL C
    .language_version:
      - 2
      - 0
    .max_flat_workgroup_size: 256
    .name:           _ZN12_GLOBAL__N_127rocblas_gemm_batched_kernelIdLi16ELi16ELi32ELi32ELi8ELi32ELi8ELi8ELi32ELc84ELc84EKdS1_dEEvlllT_PT11_llS4_llS2_PT12_llPT13_lli
    .private_segment_fixed_size: 0
    .sgpr_count:     32
    .sgpr_spill_count: 0
    .symbol:         _ZN12_GLOBAL__N_127rocblas_gemm_batched_kernelIdLi16ELi16ELi32ELi32ELi8ELi32ELi8ELi8ELi32ELc84ELc84EKdS1_dEEvlllT_PT11_llS4_llS2_PT12_llPT13_lli.kd
    .uniform_work_group_size: 1
    .uses_dynamic_stack: false
    .vgpr_count:     38
    .vgpr_spill_count: 0
    .wavefront_size: 32
    .workgroup_processor_mode: 1
  - .args:
      - .offset:         0
        .size:           8
        .value_kind:     by_value
      - .offset:         8
        .size:           8
        .value_kind:     by_value
      - .offset:         16
        .size:           8
        .value_kind:     by_value
      - .offset:         24
        .size:           8
        .value_kind:     by_value
      - .address_space:  global
        .offset:         32
        .size:           8
        .value_kind:     global_buffer
      - .offset:         40
        .size:           8
        .value_kind:     by_value
      - .offset:         48
        .size:           8
        .value_kind:     by_value
      - .address_space:  global
        .offset:         56
        .size:           8
        .value_kind:     global_buffer
      - .offset:         64
        .size:           8
        .value_kind:     by_value
      - .offset:         72
        .size:           8
        .value_kind:     by_value
      - .offset:         80
        .size:           8
        .value_kind:     by_value
      - .address_space:  global
        .offset:         88
        .size:           8
        .value_kind:     global_buffer
      - .offset:         96
        .size:           8
        .value_kind:     by_value
      - .offset:         104
        .size:           8
        .value_kind:     by_value
      - .address_space:  global
        .offset:         112
        .size:           8
        .value_kind:     global_buffer
      - .offset:         120
        .size:           8
        .value_kind:     by_value
      - .offset:         128
        .size:           8
        .value_kind:     by_value
      - .offset:         136
        .size:           4
        .value_kind:     by_value
    .group_segment_fixed_size: 4096
    .kernarg_segment_align: 8
    .kernarg_segment_size: 140
    .language:       OpenCL C
    .language_version:
      - 2
      - 0
    .max_flat_workgroup_size: 256
    .name:           _ZN12_GLOBAL__N_127rocblas_gemm_batched_kernelIdLi16ELi16ELi32ELi32ELi8ELi32ELi8ELi8ELi32ELc67ELc67EKdS1_dEEvlllT_PT11_llS4_llS2_PT12_llPT13_lli
    .private_segment_fixed_size: 0
    .sgpr_count:     32
    .sgpr_spill_count: 0
    .symbol:         _ZN12_GLOBAL__N_127rocblas_gemm_batched_kernelIdLi16ELi16ELi32ELi32ELi8ELi32ELi8ELi8ELi32ELc67ELc67EKdS1_dEEvlllT_PT11_llS4_llS2_PT12_llPT13_lli.kd
    .uniform_work_group_size: 1
    .uses_dynamic_stack: false
    .vgpr_count:     38
    .vgpr_spill_count: 0
    .wavefront_size: 32
    .workgroup_processor_mode: 1
  - .args:
      - .offset:         0
        .size:           8
        .value_kind:     by_value
      - .offset:         8
        .size:           8
        .value_kind:     by_value
      - .offset:         16
        .size:           8
        .value_kind:     by_value
      - .offset:         24
        .size:           8
        .value_kind:     by_value
      - .address_space:  global
        .offset:         32
        .size:           8
        .value_kind:     global_buffer
      - .offset:         40
        .size:           8
        .value_kind:     by_value
      - .offset:         48
        .size:           8
        .value_kind:     by_value
      - .address_space:  global
        .offset:         56
        .size:           8
        .value_kind:     global_buffer
      - .offset:         64
        .size:           8
        .value_kind:     by_value
      - .offset:         72
        .size:           8
        .value_kind:     by_value
      - .offset:         80
        .size:           8
        .value_kind:     by_value
      - .address_space:  global
        .offset:         88
        .size:           8
        .value_kind:     global_buffer
      - .offset:         96
        .size:           8
        .value_kind:     by_value
      - .offset:         104
        .size:           8
        .value_kind:     by_value
      - .address_space:  global
        .offset:         112
        .size:           8
        .value_kind:     global_buffer
      - .offset:         120
        .size:           8
        .value_kind:     by_value
      - .offset:         128
        .size:           8
        .value_kind:     by_value
      - .offset:         136
        .size:           4
        .value_kind:     by_value
    .group_segment_fixed_size: 4096
    .kernarg_segment_align: 8
    .kernarg_segment_size: 140
    .language:       OpenCL C
    .language_version:
      - 2
      - 0
    .max_flat_workgroup_size: 256
    .name:           _ZN12_GLOBAL__N_127rocblas_gemm_batched_kernelIdLi16ELi16ELi32ELi32ELi8ELi32ELi8ELi8ELi32ELc67ELc78EKdS1_dEEvlllT_PT11_llS4_llS2_PT12_llPT13_lli
    .private_segment_fixed_size: 0
    .sgpr_count:     32
    .sgpr_spill_count: 0
    .symbol:         _ZN12_GLOBAL__N_127rocblas_gemm_batched_kernelIdLi16ELi16ELi32ELi32ELi8ELi32ELi8ELi8ELi32ELc67ELc78EKdS1_dEEvlllT_PT11_llS4_llS2_PT12_llPT13_lli.kd
    .uniform_work_group_size: 1
    .uses_dynamic_stack: false
    .vgpr_count:     38
    .vgpr_spill_count: 0
    .wavefront_size: 32
    .workgroup_processor_mode: 1
  - .args:
      - .offset:         0
        .size:           8
        .value_kind:     by_value
      - .offset:         8
        .size:           8
        .value_kind:     by_value
      - .offset:         16
        .size:           8
        .value_kind:     by_value
      - .offset:         24
        .size:           8
        .value_kind:     by_value
      - .address_space:  global
        .offset:         32
        .size:           8
        .value_kind:     global_buffer
      - .offset:         40
        .size:           8
        .value_kind:     by_value
      - .offset:         48
        .size:           8
        .value_kind:     by_value
      - .address_space:  global
        .offset:         56
        .size:           8
        .value_kind:     global_buffer
      - .offset:         64
        .size:           8
        .value_kind:     by_value
      - .offset:         72
        .size:           8
        .value_kind:     by_value
      - .offset:         80
        .size:           8
        .value_kind:     by_value
      - .address_space:  global
        .offset:         88
        .size:           8
        .value_kind:     global_buffer
      - .offset:         96
        .size:           8
        .value_kind:     by_value
      - .offset:         104
        .size:           8
        .value_kind:     by_value
      - .address_space:  global
        .offset:         112
        .size:           8
        .value_kind:     global_buffer
      - .offset:         120
        .size:           8
        .value_kind:     by_value
      - .offset:         128
        .size:           8
        .value_kind:     by_value
      - .offset:         136
        .size:           4
        .value_kind:     by_value
    .group_segment_fixed_size: 4096
    .kernarg_segment_align: 8
    .kernarg_segment_size: 140
    .language:       OpenCL C
    .language_version:
      - 2
      - 0
    .max_flat_workgroup_size: 256
    .name:           _ZN12_GLOBAL__N_127rocblas_gemm_batched_kernelIdLi16ELi16ELi32ELi32ELi8ELi32ELi8ELi8ELi32ELc67ELc84EKdS1_dEEvlllT_PT11_llS4_llS2_PT12_llPT13_lli
    .private_segment_fixed_size: 0
    .sgpr_count:     32
    .sgpr_spill_count: 0
    .symbol:         _ZN12_GLOBAL__N_127rocblas_gemm_batched_kernelIdLi16ELi16ELi32ELi32ELi8ELi32ELi8ELi8ELi32ELc67ELc84EKdS1_dEEvlllT_PT11_llS4_llS2_PT12_llPT13_lli.kd
    .uniform_work_group_size: 1
    .uses_dynamic_stack: false
    .vgpr_count:     38
    .vgpr_spill_count: 0
    .wavefront_size: 32
    .workgroup_processor_mode: 1
  - .args:
      - .offset:         0
        .size:           8
        .value_kind:     by_value
      - .offset:         8
        .size:           8
        .value_kind:     by_value
      - .offset:         16
        .size:           8
        .value_kind:     by_value
      - .offset:         24
        .size:           8
        .value_kind:     by_value
      - .address_space:  global
        .offset:         32
        .size:           8
        .value_kind:     global_buffer
      - .offset:         40
        .size:           8
        .value_kind:     by_value
      - .offset:         48
        .size:           8
        .value_kind:     by_value
      - .address_space:  global
        .offset:         56
        .size:           8
        .value_kind:     global_buffer
      - .offset:         64
        .size:           8
        .value_kind:     by_value
      - .offset:         72
        .size:           8
        .value_kind:     by_value
      - .offset:         80
        .size:           8
        .value_kind:     by_value
      - .address_space:  global
        .offset:         88
        .size:           8
        .value_kind:     global_buffer
      - .offset:         96
        .size:           8
        .value_kind:     by_value
      - .offset:         104
        .size:           8
        .value_kind:     by_value
      - .address_space:  global
        .offset:         112
        .size:           8
        .value_kind:     global_buffer
      - .offset:         120
        .size:           8
        .value_kind:     by_value
      - .offset:         128
        .size:           8
        .value_kind:     by_value
      - .offset:         136
        .size:           4
        .value_kind:     by_value
    .group_segment_fixed_size: 4096
    .kernarg_segment_align: 8
    .kernarg_segment_size: 140
    .language:       OpenCL C
    .language_version:
      - 2
      - 0
    .max_flat_workgroup_size: 256
    .name:           _ZN12_GLOBAL__N_127rocblas_gemm_batched_kernelIdLi16ELi16ELi32ELi32ELi8ELi32ELi8ELi8ELi32ELc78ELc67EKdS1_dEEvlllT_PT11_llS4_llS2_PT12_llPT13_lli
    .private_segment_fixed_size: 0
    .sgpr_count:     32
    .sgpr_spill_count: 0
    .symbol:         _ZN12_GLOBAL__N_127rocblas_gemm_batched_kernelIdLi16ELi16ELi32ELi32ELi8ELi32ELi8ELi8ELi32ELc78ELc67EKdS1_dEEvlllT_PT11_llS4_llS2_PT12_llPT13_lli.kd
    .uniform_work_group_size: 1
    .uses_dynamic_stack: false
    .vgpr_count:     38
    .vgpr_spill_count: 0
    .wavefront_size: 32
    .workgroup_processor_mode: 1
  - .args:
      - .offset:         0
        .size:           8
        .value_kind:     by_value
      - .offset:         8
        .size:           8
        .value_kind:     by_value
      - .offset:         16
        .size:           8
        .value_kind:     by_value
      - .offset:         24
        .size:           8
        .value_kind:     by_value
      - .address_space:  global
        .offset:         32
        .size:           8
        .value_kind:     global_buffer
      - .offset:         40
        .size:           8
        .value_kind:     by_value
      - .offset:         48
        .size:           8
        .value_kind:     by_value
      - .address_space:  global
        .offset:         56
        .size:           8
        .value_kind:     global_buffer
      - .offset:         64
        .size:           8
        .value_kind:     by_value
      - .offset:         72
        .size:           8
        .value_kind:     by_value
      - .offset:         80
        .size:           8
        .value_kind:     by_value
      - .address_space:  global
        .offset:         88
        .size:           8
        .value_kind:     global_buffer
      - .offset:         96
        .size:           8
        .value_kind:     by_value
      - .offset:         104
        .size:           8
        .value_kind:     by_value
      - .address_space:  global
        .offset:         112
        .size:           8
        .value_kind:     global_buffer
      - .offset:         120
        .size:           8
        .value_kind:     by_value
      - .offset:         128
        .size:           8
        .value_kind:     by_value
      - .offset:         136
        .size:           4
        .value_kind:     by_value
    .group_segment_fixed_size: 4096
    .kernarg_segment_align: 8
    .kernarg_segment_size: 140
    .language:       OpenCL C
    .language_version:
      - 2
      - 0
    .max_flat_workgroup_size: 256
    .name:           _ZN12_GLOBAL__N_127rocblas_gemm_batched_kernelIdLi16ELi16ELi32ELi32ELi8ELi32ELi8ELi8ELi32ELc84ELc67EKdS1_dEEvlllT_PT11_llS4_llS2_PT12_llPT13_lli
    .private_segment_fixed_size: 0
    .sgpr_count:     32
    .sgpr_spill_count: 0
    .symbol:         _ZN12_GLOBAL__N_127rocblas_gemm_batched_kernelIdLi16ELi16ELi32ELi32ELi8ELi32ELi8ELi8ELi32ELc84ELc67EKdS1_dEEvlllT_PT11_llS4_llS2_PT12_llPT13_lli.kd
    .uniform_work_group_size: 1
    .uses_dynamic_stack: false
    .vgpr_count:     38
    .vgpr_spill_count: 0
    .wavefront_size: 32
    .workgroup_processor_mode: 1
  - .args:
      - .offset:         0
        .size:           8
        .value_kind:     by_value
      - .offset:         8
        .size:           8
        .value_kind:     by_value
      - .offset:         16
        .size:           8
        .value_kind:     by_value
      - .offset:         24
        .size:           8
        .value_kind:     by_value
      - .address_space:  global
        .offset:         32
        .size:           8
        .value_kind:     global_buffer
      - .offset:         40
        .size:           8
        .value_kind:     by_value
      - .offset:         48
        .size:           8
        .value_kind:     by_value
      - .address_space:  global
        .offset:         56
        .size:           8
        .value_kind:     global_buffer
      - .offset:         64
        .size:           8
        .value_kind:     by_value
      - .offset:         72
        .size:           8
        .value_kind:     by_value
      - .offset:         80
        .size:           8
        .value_kind:     by_value
      - .address_space:  global
        .offset:         88
        .size:           8
        .value_kind:     global_buffer
      - .offset:         96
        .size:           8
        .value_kind:     by_value
      - .offset:         104
        .size:           8
        .value_kind:     by_value
      - .address_space:  global
        .offset:         112
        .size:           8
        .value_kind:     global_buffer
      - .offset:         120
        .size:           8
        .value_kind:     by_value
      - .offset:         128
        .size:           8
        .value_kind:     by_value
      - .offset:         136
        .size:           4
        .value_kind:     by_value
    .group_segment_fixed_size: 4096
    .kernarg_segment_align: 8
    .kernarg_segment_size: 140
    .language:       OpenCL C
    .language_version:
      - 2
      - 0
    .max_flat_workgroup_size: 256
    .name:           _ZN12_GLOBAL__N_135rocblas_gemm_batched_general_kernelIdLi16ELi16ELi32ELi32ELi8ELi32ELi8ELi8ELi32ELc78ELc78EKdS1_dEEvlllT_PT11_llS4_llS2_PT12_llPT13_lli
    .private_segment_fixed_size: 0
    .sgpr_count:     54
    .sgpr_spill_count: 0
    .symbol:         _ZN12_GLOBAL__N_135rocblas_gemm_batched_general_kernelIdLi16ELi16ELi32ELi32ELi8ELi32ELi8ELi8ELi32ELc78ELc78EKdS1_dEEvlllT_PT11_llS4_llS2_PT12_llPT13_lli.kd
    .uniform_work_group_size: 1
    .uses_dynamic_stack: false
    .vgpr_count:     44
    .vgpr_spill_count: 0
    .wavefront_size: 32
    .workgroup_processor_mode: 1
  - .args:
      - .offset:         0
        .size:           8
        .value_kind:     by_value
      - .offset:         8
        .size:           8
        .value_kind:     by_value
      - .offset:         16
        .size:           8
        .value_kind:     by_value
      - .offset:         24
        .size:           8
        .value_kind:     by_value
      - .address_space:  global
        .offset:         32
        .size:           8
        .value_kind:     global_buffer
      - .offset:         40
        .size:           8
        .value_kind:     by_value
      - .offset:         48
        .size:           8
        .value_kind:     by_value
      - .address_space:  global
        .offset:         56
        .size:           8
        .value_kind:     global_buffer
      - .offset:         64
        .size:           8
        .value_kind:     by_value
      - .offset:         72
        .size:           8
        .value_kind:     by_value
      - .offset:         80
        .size:           8
        .value_kind:     by_value
      - .address_space:  global
        .offset:         88
        .size:           8
        .value_kind:     global_buffer
      - .offset:         96
        .size:           8
        .value_kind:     by_value
      - .offset:         104
        .size:           8
        .value_kind:     by_value
      - .address_space:  global
        .offset:         112
        .size:           8
        .value_kind:     global_buffer
      - .offset:         120
        .size:           8
        .value_kind:     by_value
      - .offset:         128
        .size:           8
        .value_kind:     by_value
      - .offset:         136
        .size:           4
        .value_kind:     by_value
    .group_segment_fixed_size: 4096
    .kernarg_segment_align: 8
    .kernarg_segment_size: 140
    .language:       OpenCL C
    .language_version:
      - 2
      - 0
    .max_flat_workgroup_size: 256
    .name:           _ZN12_GLOBAL__N_135rocblas_gemm_batched_general_kernelIdLi16ELi16ELi32ELi32ELi8ELi32ELi8ELi8ELi32ELc84ELc78EKdS1_dEEvlllT_PT11_llS4_llS2_PT12_llPT13_lli
    .private_segment_fixed_size: 0
    .sgpr_count:     54
    .sgpr_spill_count: 0
    .symbol:         _ZN12_GLOBAL__N_135rocblas_gemm_batched_general_kernelIdLi16ELi16ELi32ELi32ELi8ELi32ELi8ELi8ELi32ELc84ELc78EKdS1_dEEvlllT_PT11_llS4_llS2_PT12_llPT13_lli.kd
    .uniform_work_group_size: 1
    .uses_dynamic_stack: false
    .vgpr_count:     44
    .vgpr_spill_count: 0
    .wavefront_size: 32
    .workgroup_processor_mode: 1
  - .args:
      - .offset:         0
        .size:           8
        .value_kind:     by_value
      - .offset:         8
        .size:           8
        .value_kind:     by_value
      - .offset:         16
        .size:           8
        .value_kind:     by_value
      - .offset:         24
        .size:           8
        .value_kind:     by_value
      - .address_space:  global
        .offset:         32
        .size:           8
        .value_kind:     global_buffer
      - .offset:         40
        .size:           8
        .value_kind:     by_value
      - .offset:         48
        .size:           8
        .value_kind:     by_value
      - .address_space:  global
        .offset:         56
        .size:           8
        .value_kind:     global_buffer
      - .offset:         64
        .size:           8
        .value_kind:     by_value
      - .offset:         72
        .size:           8
        .value_kind:     by_value
      - .offset:         80
        .size:           8
        .value_kind:     by_value
      - .address_space:  global
        .offset:         88
        .size:           8
        .value_kind:     global_buffer
      - .offset:         96
        .size:           8
        .value_kind:     by_value
      - .offset:         104
        .size:           8
        .value_kind:     by_value
      - .address_space:  global
        .offset:         112
        .size:           8
        .value_kind:     global_buffer
      - .offset:         120
        .size:           8
        .value_kind:     by_value
      - .offset:         128
        .size:           8
        .value_kind:     by_value
      - .offset:         136
        .size:           4
        .value_kind:     by_value
    .group_segment_fixed_size: 4096
    .kernarg_segment_align: 8
    .kernarg_segment_size: 140
    .language:       OpenCL C
    .language_version:
      - 2
      - 0
    .max_flat_workgroup_size: 256
    .name:           _ZN12_GLOBAL__N_135rocblas_gemm_batched_general_kernelIdLi16ELi16ELi32ELi32ELi8ELi32ELi8ELi8ELi32ELc78ELc84EKdS1_dEEvlllT_PT11_llS4_llS2_PT12_llPT13_lli
    .private_segment_fixed_size: 0
    .sgpr_count:     54
    .sgpr_spill_count: 0
    .symbol:         _ZN12_GLOBAL__N_135rocblas_gemm_batched_general_kernelIdLi16ELi16ELi32ELi32ELi8ELi32ELi8ELi8ELi32ELc78ELc84EKdS1_dEEvlllT_PT11_llS4_llS2_PT12_llPT13_lli.kd
    .uniform_work_group_size: 1
    .uses_dynamic_stack: false
    .vgpr_count:     44
    .vgpr_spill_count: 0
    .wavefront_size: 32
    .workgroup_processor_mode: 1
  - .args:
      - .offset:         0
        .size:           8
        .value_kind:     by_value
      - .offset:         8
        .size:           8
        .value_kind:     by_value
      - .offset:         16
        .size:           8
        .value_kind:     by_value
      - .offset:         24
        .size:           8
        .value_kind:     by_value
      - .address_space:  global
        .offset:         32
        .size:           8
        .value_kind:     global_buffer
      - .offset:         40
        .size:           8
        .value_kind:     by_value
      - .offset:         48
        .size:           8
        .value_kind:     by_value
      - .address_space:  global
        .offset:         56
        .size:           8
        .value_kind:     global_buffer
      - .offset:         64
        .size:           8
        .value_kind:     by_value
      - .offset:         72
        .size:           8
        .value_kind:     by_value
      - .offset:         80
        .size:           8
        .value_kind:     by_value
      - .address_space:  global
        .offset:         88
        .size:           8
        .value_kind:     global_buffer
      - .offset:         96
        .size:           8
        .value_kind:     by_value
      - .offset:         104
        .size:           8
        .value_kind:     by_value
      - .address_space:  global
        .offset:         112
        .size:           8
        .value_kind:     global_buffer
      - .offset:         120
        .size:           8
        .value_kind:     by_value
      - .offset:         128
        .size:           8
        .value_kind:     by_value
      - .offset:         136
        .size:           4
        .value_kind:     by_value
    .group_segment_fixed_size: 4096
    .kernarg_segment_align: 8
    .kernarg_segment_size: 140
    .language:       OpenCL C
    .language_version:
      - 2
      - 0
    .max_flat_workgroup_size: 256
    .name:           _ZN12_GLOBAL__N_135rocblas_gemm_batched_general_kernelIdLi16ELi16ELi32ELi32ELi8ELi32ELi8ELi8ELi32ELc84ELc84EKdS1_dEEvlllT_PT11_llS4_llS2_PT12_llPT13_lli
    .private_segment_fixed_size: 0
    .sgpr_count:     54
    .sgpr_spill_count: 0
    .symbol:         _ZN12_GLOBAL__N_135rocblas_gemm_batched_general_kernelIdLi16ELi16ELi32ELi32ELi8ELi32ELi8ELi8ELi32ELc84ELc84EKdS1_dEEvlllT_PT11_llS4_llS2_PT12_llPT13_lli.kd
    .uniform_work_group_size: 1
    .uses_dynamic_stack: false
    .vgpr_count:     44
    .vgpr_spill_count: 0
    .wavefront_size: 32
    .workgroup_processor_mode: 1
  - .args:
      - .offset:         0
        .size:           8
        .value_kind:     by_value
      - .offset:         8
        .size:           8
        .value_kind:     by_value
      - .offset:         16
        .size:           8
        .value_kind:     by_value
      - .offset:         24
        .size:           8
        .value_kind:     by_value
      - .address_space:  global
        .offset:         32
        .size:           8
        .value_kind:     global_buffer
      - .offset:         40
        .size:           8
        .value_kind:     by_value
      - .offset:         48
        .size:           8
        .value_kind:     by_value
      - .address_space:  global
        .offset:         56
        .size:           8
        .value_kind:     global_buffer
      - .offset:         64
        .size:           8
        .value_kind:     by_value
      - .offset:         72
        .size:           8
        .value_kind:     by_value
      - .offset:         80
        .size:           8
        .value_kind:     by_value
      - .address_space:  global
        .offset:         88
        .size:           8
        .value_kind:     global_buffer
      - .offset:         96
        .size:           8
        .value_kind:     by_value
      - .offset:         104
        .size:           8
        .value_kind:     by_value
      - .address_space:  global
        .offset:         112
        .size:           8
        .value_kind:     global_buffer
      - .offset:         120
        .size:           8
        .value_kind:     by_value
      - .offset:         128
        .size:           8
        .value_kind:     by_value
      - .offset:         136
        .size:           4
        .value_kind:     by_value
    .group_segment_fixed_size: 4096
    .kernarg_segment_align: 8
    .kernarg_segment_size: 140
    .language:       OpenCL C
    .language_version:
      - 2
      - 0
    .max_flat_workgroup_size: 256
    .name:           _ZN12_GLOBAL__N_135rocblas_gemm_batched_general_kernelIdLi16ELi16ELi32ELi32ELi8ELi32ELi8ELi8ELi32ELc67ELc67EKdS1_dEEvlllT_PT11_llS4_llS2_PT12_llPT13_lli
    .private_segment_fixed_size: 0
    .sgpr_count:     54
    .sgpr_spill_count: 0
    .symbol:         _ZN12_GLOBAL__N_135rocblas_gemm_batched_general_kernelIdLi16ELi16ELi32ELi32ELi8ELi32ELi8ELi8ELi32ELc67ELc67EKdS1_dEEvlllT_PT11_llS4_llS2_PT12_llPT13_lli.kd
    .uniform_work_group_size: 1
    .uses_dynamic_stack: false
    .vgpr_count:     44
    .vgpr_spill_count: 0
    .wavefront_size: 32
    .workgroup_processor_mode: 1
  - .args:
      - .offset:         0
        .size:           8
        .value_kind:     by_value
      - .offset:         8
        .size:           8
        .value_kind:     by_value
      - .offset:         16
        .size:           8
        .value_kind:     by_value
      - .offset:         24
        .size:           8
        .value_kind:     by_value
      - .address_space:  global
        .offset:         32
        .size:           8
        .value_kind:     global_buffer
      - .offset:         40
        .size:           8
        .value_kind:     by_value
      - .offset:         48
        .size:           8
        .value_kind:     by_value
      - .address_space:  global
        .offset:         56
        .size:           8
        .value_kind:     global_buffer
      - .offset:         64
        .size:           8
        .value_kind:     by_value
      - .offset:         72
        .size:           8
        .value_kind:     by_value
      - .offset:         80
        .size:           8
        .value_kind:     by_value
      - .address_space:  global
        .offset:         88
        .size:           8
        .value_kind:     global_buffer
      - .offset:         96
        .size:           8
        .value_kind:     by_value
      - .offset:         104
        .size:           8
        .value_kind:     by_value
      - .address_space:  global
        .offset:         112
        .size:           8
        .value_kind:     global_buffer
      - .offset:         120
        .size:           8
        .value_kind:     by_value
      - .offset:         128
        .size:           8
        .value_kind:     by_value
      - .offset:         136
        .size:           4
        .value_kind:     by_value
    .group_segment_fixed_size: 4096
    .kernarg_segment_align: 8
    .kernarg_segment_size: 140
    .language:       OpenCL C
    .language_version:
      - 2
      - 0
    .max_flat_workgroup_size: 256
    .name:           _ZN12_GLOBAL__N_135rocblas_gemm_batched_general_kernelIdLi16ELi16ELi32ELi32ELi8ELi32ELi8ELi8ELi32ELc67ELc78EKdS1_dEEvlllT_PT11_llS4_llS2_PT12_llPT13_lli
    .private_segment_fixed_size: 0
    .sgpr_count:     54
    .sgpr_spill_count: 0
    .symbol:         _ZN12_GLOBAL__N_135rocblas_gemm_batched_general_kernelIdLi16ELi16ELi32ELi32ELi8ELi32ELi8ELi8ELi32ELc67ELc78EKdS1_dEEvlllT_PT11_llS4_llS2_PT12_llPT13_lli.kd
    .uniform_work_group_size: 1
    .uses_dynamic_stack: false
    .vgpr_count:     44
    .vgpr_spill_count: 0
    .wavefront_size: 32
    .workgroup_processor_mode: 1
  - .args:
      - .offset:         0
        .size:           8
        .value_kind:     by_value
      - .offset:         8
        .size:           8
        .value_kind:     by_value
      - .offset:         16
        .size:           8
        .value_kind:     by_value
      - .offset:         24
        .size:           8
        .value_kind:     by_value
      - .address_space:  global
        .offset:         32
        .size:           8
        .value_kind:     global_buffer
      - .offset:         40
        .size:           8
        .value_kind:     by_value
      - .offset:         48
        .size:           8
        .value_kind:     by_value
      - .address_space:  global
        .offset:         56
        .size:           8
        .value_kind:     global_buffer
      - .offset:         64
        .size:           8
        .value_kind:     by_value
      - .offset:         72
        .size:           8
        .value_kind:     by_value
      - .offset:         80
        .size:           8
        .value_kind:     by_value
      - .address_space:  global
        .offset:         88
        .size:           8
        .value_kind:     global_buffer
      - .offset:         96
        .size:           8
        .value_kind:     by_value
      - .offset:         104
        .size:           8
        .value_kind:     by_value
      - .address_space:  global
        .offset:         112
        .size:           8
        .value_kind:     global_buffer
      - .offset:         120
        .size:           8
        .value_kind:     by_value
      - .offset:         128
        .size:           8
        .value_kind:     by_value
      - .offset:         136
        .size:           4
        .value_kind:     by_value
    .group_segment_fixed_size: 4096
    .kernarg_segment_align: 8
    .kernarg_segment_size: 140
    .language:       OpenCL C
    .language_version:
      - 2
      - 0
    .max_flat_workgroup_size: 256
    .name:           _ZN12_GLOBAL__N_135rocblas_gemm_batched_general_kernelIdLi16ELi16ELi32ELi32ELi8ELi32ELi8ELi8ELi32ELc67ELc84EKdS1_dEEvlllT_PT11_llS4_llS2_PT12_llPT13_lli
    .private_segment_fixed_size: 0
    .sgpr_count:     54
    .sgpr_spill_count: 0
    .symbol:         _ZN12_GLOBAL__N_135rocblas_gemm_batched_general_kernelIdLi16ELi16ELi32ELi32ELi8ELi32ELi8ELi8ELi32ELc67ELc84EKdS1_dEEvlllT_PT11_llS4_llS2_PT12_llPT13_lli.kd
    .uniform_work_group_size: 1
    .uses_dynamic_stack: false
    .vgpr_count:     44
    .vgpr_spill_count: 0
    .wavefront_size: 32
    .workgroup_processor_mode: 1
  - .args:
      - .offset:         0
        .size:           8
        .value_kind:     by_value
      - .offset:         8
        .size:           8
        .value_kind:     by_value
      - .offset:         16
        .size:           8
        .value_kind:     by_value
      - .offset:         24
        .size:           8
        .value_kind:     by_value
      - .address_space:  global
        .offset:         32
        .size:           8
        .value_kind:     global_buffer
      - .offset:         40
        .size:           8
        .value_kind:     by_value
      - .offset:         48
        .size:           8
        .value_kind:     by_value
      - .address_space:  global
        .offset:         56
        .size:           8
        .value_kind:     global_buffer
      - .offset:         64
        .size:           8
        .value_kind:     by_value
      - .offset:         72
        .size:           8
        .value_kind:     by_value
      - .offset:         80
        .size:           8
        .value_kind:     by_value
      - .address_space:  global
        .offset:         88
        .size:           8
        .value_kind:     global_buffer
      - .offset:         96
        .size:           8
        .value_kind:     by_value
      - .offset:         104
        .size:           8
        .value_kind:     by_value
      - .address_space:  global
        .offset:         112
        .size:           8
        .value_kind:     global_buffer
      - .offset:         120
        .size:           8
        .value_kind:     by_value
      - .offset:         128
        .size:           8
        .value_kind:     by_value
      - .offset:         136
        .size:           4
        .value_kind:     by_value
    .group_segment_fixed_size: 4096
    .kernarg_segment_align: 8
    .kernarg_segment_size: 140
    .language:       OpenCL C
    .language_version:
      - 2
      - 0
    .max_flat_workgroup_size: 256
    .name:           _ZN12_GLOBAL__N_135rocblas_gemm_batched_general_kernelIdLi16ELi16ELi32ELi32ELi8ELi32ELi8ELi8ELi32ELc78ELc67EKdS1_dEEvlllT_PT11_llS4_llS2_PT12_llPT13_lli
    .private_segment_fixed_size: 0
    .sgpr_count:     54
    .sgpr_spill_count: 0
    .symbol:         _ZN12_GLOBAL__N_135rocblas_gemm_batched_general_kernelIdLi16ELi16ELi32ELi32ELi8ELi32ELi8ELi8ELi32ELc78ELc67EKdS1_dEEvlllT_PT11_llS4_llS2_PT12_llPT13_lli.kd
    .uniform_work_group_size: 1
    .uses_dynamic_stack: false
    .vgpr_count:     44
    .vgpr_spill_count: 0
    .wavefront_size: 32
    .workgroup_processor_mode: 1
  - .args:
      - .offset:         0
        .size:           8
        .value_kind:     by_value
      - .offset:         8
        .size:           8
        .value_kind:     by_value
      - .offset:         16
        .size:           8
        .value_kind:     by_value
      - .offset:         24
        .size:           8
        .value_kind:     by_value
      - .address_space:  global
        .offset:         32
        .size:           8
        .value_kind:     global_buffer
      - .offset:         40
        .size:           8
        .value_kind:     by_value
      - .offset:         48
        .size:           8
        .value_kind:     by_value
      - .address_space:  global
        .offset:         56
        .size:           8
        .value_kind:     global_buffer
      - .offset:         64
        .size:           8
        .value_kind:     by_value
      - .offset:         72
        .size:           8
        .value_kind:     by_value
      - .offset:         80
        .size:           8
        .value_kind:     by_value
      - .address_space:  global
        .offset:         88
        .size:           8
        .value_kind:     global_buffer
      - .offset:         96
        .size:           8
        .value_kind:     by_value
      - .offset:         104
        .size:           8
        .value_kind:     by_value
      - .address_space:  global
        .offset:         112
        .size:           8
        .value_kind:     global_buffer
      - .offset:         120
        .size:           8
        .value_kind:     by_value
      - .offset:         128
        .size:           8
        .value_kind:     by_value
      - .offset:         136
        .size:           4
        .value_kind:     by_value
    .group_segment_fixed_size: 4096
    .kernarg_segment_align: 8
    .kernarg_segment_size: 140
    .language:       OpenCL C
    .language_version:
      - 2
      - 0
    .max_flat_workgroup_size: 256
    .name:           _ZN12_GLOBAL__N_135rocblas_gemm_batched_general_kernelIdLi16ELi16ELi32ELi32ELi8ELi32ELi8ELi8ELi32ELc84ELc67EKdS1_dEEvlllT_PT11_llS4_llS2_PT12_llPT13_lli
    .private_segment_fixed_size: 0
    .sgpr_count:     54
    .sgpr_spill_count: 0
    .symbol:         _ZN12_GLOBAL__N_135rocblas_gemm_batched_general_kernelIdLi16ELi16ELi32ELi32ELi8ELi32ELi8ELi8ELi32ELc84ELc67EKdS1_dEEvlllT_PT11_llS4_llS2_PT12_llPT13_lli.kd
    .uniform_work_group_size: 1
    .uses_dynamic_stack: false
    .vgpr_count:     44
    .vgpr_spill_count: 0
    .wavefront_size: 32
    .workgroup_processor_mode: 1
  - .args:
      - .offset:         0
        .size:           4
        .value_kind:     by_value
      - .offset:         4
        .size:           4
        .value_kind:     by_value
      - .offset:         8
        .size:           4
        .value_kind:     by_value
      - .address_space:  global
        .offset:         16
        .size:           8
        .value_kind:     global_buffer
      - .offset:         24
        .size:           8
        .value_kind:     by_value
      - .offset:         32
        .size:           8
        .value_kind:     by_value
      - .offset:         40
        .size:           8
        .value_kind:     by_value
      - .address_space:  global
        .offset:         48
        .size:           8
        .value_kind:     global_buffer
      - .offset:         56
        .size:           8
        .value_kind:     by_value
      - .offset:         64
        .size:           8
        .value_kind:     by_value
      - .offset:         72
        .size:           8
        .value_kind:     by_value
      - .offset:         80
        .size:           4
        .value_kind:     by_value
    .group_segment_fixed_size: 0
    .kernarg_segment_align: 8
    .kernarg_segment_size: 84
    .language:       OpenCL C
    .language_version:
      - 2
      - 0
    .max_flat_workgroup_size: 1024
    .name:           _ZN12_GLOBAL__N_120gemm_ex_scale_kernelILi32ELi32EfPKfPfEEviiT1_T2_lllT3_llli
    .private_segment_fixed_size: 0
    .sgpr_count:     30
    .sgpr_spill_count: 0
    .symbol:         _ZN12_GLOBAL__N_120gemm_ex_scale_kernelILi32ELi32EfPKfPfEEviiT1_T2_lllT3_llli.kd
    .uniform_work_group_size: 1
    .uses_dynamic_stack: false
    .vgpr_count:     8
    .vgpr_spill_count: 0
    .wavefront_size: 32
    .workgroup_processor_mode: 1
  - .args:
      - .offset:         0
        .size:           8
        .value_kind:     by_value
      - .offset:         8
        .size:           8
        .value_kind:     by_value
      - .offset:         16
        .size:           8
        .value_kind:     by_value
      - .offset:         24
        .size:           4
        .value_kind:     by_value
      - .address_space:  global
        .offset:         32
        .size:           8
        .value_kind:     global_buffer
      - .offset:         40
        .size:           8
        .value_kind:     by_value
      - .offset:         48
        .size:           8
        .value_kind:     by_value
      - .address_space:  global
        .offset:         56
        .size:           8
        .value_kind:     global_buffer
      - .offset:         64
        .size:           8
        .value_kind:     by_value
      - .offset:         72
        .size:           8
        .value_kind:     by_value
      - .offset:         80
        .size:           4
        .value_kind:     by_value
      - .address_space:  global
        .offset:         88
        .size:           8
        .value_kind:     global_buffer
      - .offset:         96
        .size:           8
        .value_kind:     by_value
      - .offset:         104
        .size:           8
        .value_kind:     by_value
      - .address_space:  global
        .offset:         112
        .size:           8
        .value_kind:     global_buffer
      - .offset:         120
        .size:           8
        .value_kind:     by_value
      - .offset:         128
        .size:           8
        .value_kind:     by_value
      - .offset:         136
        .size:           4
        .value_kind:     by_value
    .group_segment_fixed_size: 2048
    .kernarg_segment_align: 8
    .kernarg_segment_size: 140
    .language:       OpenCL C
    .language_version:
      - 2
      - 0
    .max_flat_workgroup_size: 256
    .name:           _ZN12_GLOBAL__N_127rocblas_gemm_batched_kernelIfLi16ELi16ELi64ELi64ELi4ELi64ELi4ELi4ELi64ELc78ELc78EKfS1_fEEvlllT_PT11_llS4_llS2_PT12_llPT13_lli
    .private_segment_fixed_size: 0
    .sgpr_count:     24
    .sgpr_spill_count: 0
    .symbol:         _ZN12_GLOBAL__N_127rocblas_gemm_batched_kernelIfLi16ELi16ELi64ELi64ELi4ELi64ELi4ELi4ELi64ELc78ELc78EKfS1_fEEvlllT_PT11_llS4_llS2_PT12_llPT13_lli.kd
    .uniform_work_group_size: 1
    .uses_dynamic_stack: false
    .vgpr_count:     58
    .vgpr_spill_count: 0
    .wavefront_size: 32
    .workgroup_processor_mode: 1
  - .args:
      - .offset:         0
        .size:           8
        .value_kind:     by_value
      - .offset:         8
        .size:           8
        .value_kind:     by_value
      - .offset:         16
        .size:           8
        .value_kind:     by_value
      - .offset:         24
        .size:           4
        .value_kind:     by_value
      - .address_space:  global
        .offset:         32
        .size:           8
        .value_kind:     global_buffer
      - .offset:         40
        .size:           8
        .value_kind:     by_value
      - .offset:         48
        .size:           8
        .value_kind:     by_value
      - .address_space:  global
        .offset:         56
        .size:           8
        .value_kind:     global_buffer
      - .offset:         64
        .size:           8
        .value_kind:     by_value
      - .offset:         72
        .size:           8
        .value_kind:     by_value
      - .offset:         80
        .size:           4
        .value_kind:     by_value
      - .address_space:  global
        .offset:         88
        .size:           8
        .value_kind:     global_buffer
      - .offset:         96
        .size:           8
        .value_kind:     by_value
      - .offset:         104
        .size:           8
        .value_kind:     by_value
      - .address_space:  global
        .offset:         112
        .size:           8
        .value_kind:     global_buffer
      - .offset:         120
        .size:           8
        .value_kind:     by_value
      - .offset:         128
        .size:           8
        .value_kind:     by_value
      - .offset:         136
        .size:           4
        .value_kind:     by_value
    .group_segment_fixed_size: 2048
    .kernarg_segment_align: 8
    .kernarg_segment_size: 140
    .language:       OpenCL C
    .language_version:
      - 2
      - 0
    .max_flat_workgroup_size: 256
    .name:           _ZN12_GLOBAL__N_127rocblas_gemm_batched_kernelIfLi16ELi16ELi64ELi64ELi4ELi64ELi4ELi4ELi64ELc84ELc78EKfS1_fEEvlllT_PT11_llS4_llS2_PT12_llPT13_lli
    .private_segment_fixed_size: 0
    .sgpr_count:     24
    .sgpr_spill_count: 0
    .symbol:         _ZN12_GLOBAL__N_127rocblas_gemm_batched_kernelIfLi16ELi16ELi64ELi64ELi4ELi64ELi4ELi4ELi64ELc84ELc78EKfS1_fEEvlllT_PT11_llS4_llS2_PT12_llPT13_lli.kd
    .uniform_work_group_size: 1
    .uses_dynamic_stack: false
    .vgpr_count:     58
    .vgpr_spill_count: 0
    .wavefront_size: 32
    .workgroup_processor_mode: 1
  - .args:
      - .offset:         0
        .size:           8
        .value_kind:     by_value
      - .offset:         8
        .size:           8
        .value_kind:     by_value
      - .offset:         16
        .size:           8
        .value_kind:     by_value
      - .offset:         24
        .size:           4
        .value_kind:     by_value
      - .address_space:  global
        .offset:         32
        .size:           8
        .value_kind:     global_buffer
      - .offset:         40
        .size:           8
        .value_kind:     by_value
      - .offset:         48
        .size:           8
        .value_kind:     by_value
      - .address_space:  global
        .offset:         56
        .size:           8
        .value_kind:     global_buffer
      - .offset:         64
        .size:           8
        .value_kind:     by_value
      - .offset:         72
        .size:           8
        .value_kind:     by_value
      - .offset:         80
        .size:           4
        .value_kind:     by_value
      - .address_space:  global
        .offset:         88
        .size:           8
        .value_kind:     global_buffer
      - .offset:         96
        .size:           8
        .value_kind:     by_value
      - .offset:         104
        .size:           8
        .value_kind:     by_value
      - .address_space:  global
        .offset:         112
        .size:           8
        .value_kind:     global_buffer
      - .offset:         120
        .size:           8
        .value_kind:     by_value
      - .offset:         128
        .size:           8
        .value_kind:     by_value
      - .offset:         136
        .size:           4
        .value_kind:     by_value
    .group_segment_fixed_size: 2048
    .kernarg_segment_align: 8
    .kernarg_segment_size: 140
    .language:       OpenCL C
    .language_version:
      - 2
      - 0
    .max_flat_workgroup_size: 256
    .name:           _ZN12_GLOBAL__N_127rocblas_gemm_batched_kernelIfLi16ELi16ELi64ELi64ELi4ELi64ELi4ELi4ELi64ELc78ELc84EKfS1_fEEvlllT_PT11_llS4_llS2_PT12_llPT13_lli
    .private_segment_fixed_size: 0
    .sgpr_count:     25
    .sgpr_spill_count: 0
    .symbol:         _ZN12_GLOBAL__N_127rocblas_gemm_batched_kernelIfLi16ELi16ELi64ELi64ELi4ELi64ELi4ELi4ELi64ELc78ELc84EKfS1_fEEvlllT_PT11_llS4_llS2_PT12_llPT13_lli.kd
    .uniform_work_group_size: 1
    .uses_dynamic_stack: false
    .vgpr_count:     58
    .vgpr_spill_count: 0
    .wavefront_size: 32
    .workgroup_processor_mode: 1
  - .args:
      - .offset:         0
        .size:           8
        .value_kind:     by_value
      - .offset:         8
        .size:           8
        .value_kind:     by_value
      - .offset:         16
        .size:           8
        .value_kind:     by_value
      - .offset:         24
        .size:           4
        .value_kind:     by_value
      - .address_space:  global
        .offset:         32
        .size:           8
        .value_kind:     global_buffer
      - .offset:         40
        .size:           8
        .value_kind:     by_value
      - .offset:         48
        .size:           8
        .value_kind:     by_value
      - .address_space:  global
        .offset:         56
        .size:           8
        .value_kind:     global_buffer
      - .offset:         64
        .size:           8
        .value_kind:     by_value
      - .offset:         72
        .size:           8
        .value_kind:     by_value
      - .offset:         80
        .size:           4
        .value_kind:     by_value
      - .address_space:  global
        .offset:         88
        .size:           8
        .value_kind:     global_buffer
      - .offset:         96
        .size:           8
        .value_kind:     by_value
      - .offset:         104
        .size:           8
        .value_kind:     by_value
      - .address_space:  global
        .offset:         112
        .size:           8
        .value_kind:     global_buffer
      - .offset:         120
        .size:           8
        .value_kind:     by_value
      - .offset:         128
        .size:           8
        .value_kind:     by_value
      - .offset:         136
        .size:           4
        .value_kind:     by_value
    .group_segment_fixed_size: 2048
    .kernarg_segment_align: 8
    .kernarg_segment_size: 140
    .language:       OpenCL C
    .language_version:
      - 2
      - 0
    .max_flat_workgroup_size: 256
    .name:           _ZN12_GLOBAL__N_127rocblas_gemm_batched_kernelIfLi16ELi16ELi64ELi64ELi4ELi64ELi4ELi4ELi64ELc84ELc84EKfS1_fEEvlllT_PT11_llS4_llS2_PT12_llPT13_lli
    .private_segment_fixed_size: 0
    .sgpr_count:     24
    .sgpr_spill_count: 0
    .symbol:         _ZN12_GLOBAL__N_127rocblas_gemm_batched_kernelIfLi16ELi16ELi64ELi64ELi4ELi64ELi4ELi4ELi64ELc84ELc84EKfS1_fEEvlllT_PT11_llS4_llS2_PT12_llPT13_lli.kd
    .uniform_work_group_size: 1
    .uses_dynamic_stack: false
    .vgpr_count:     58
    .vgpr_spill_count: 0
    .wavefront_size: 32
    .workgroup_processor_mode: 1
  - .args:
      - .offset:         0
        .size:           8
        .value_kind:     by_value
      - .offset:         8
        .size:           8
        .value_kind:     by_value
      - .offset:         16
        .size:           8
        .value_kind:     by_value
      - .offset:         24
        .size:           4
        .value_kind:     by_value
      - .address_space:  global
        .offset:         32
        .size:           8
        .value_kind:     global_buffer
      - .offset:         40
        .size:           8
        .value_kind:     by_value
      - .offset:         48
        .size:           8
        .value_kind:     by_value
      - .address_space:  global
        .offset:         56
        .size:           8
        .value_kind:     global_buffer
      - .offset:         64
        .size:           8
        .value_kind:     by_value
      - .offset:         72
        .size:           8
        .value_kind:     by_value
      - .offset:         80
        .size:           4
        .value_kind:     by_value
      - .address_space:  global
        .offset:         88
        .size:           8
        .value_kind:     global_buffer
      - .offset:         96
        .size:           8
        .value_kind:     by_value
      - .offset:         104
        .size:           8
        .value_kind:     by_value
      - .address_space:  global
        .offset:         112
        .size:           8
        .value_kind:     global_buffer
      - .offset:         120
        .size:           8
        .value_kind:     by_value
      - .offset:         128
        .size:           8
        .value_kind:     by_value
      - .offset:         136
        .size:           4
        .value_kind:     by_value
    .group_segment_fixed_size: 2048
    .kernarg_segment_align: 8
    .kernarg_segment_size: 140
    .language:       OpenCL C
    .language_version:
      - 2
      - 0
    .max_flat_workgroup_size: 256
    .name:           _ZN12_GLOBAL__N_127rocblas_gemm_batched_kernelIfLi16ELi16ELi64ELi64ELi4ELi64ELi4ELi4ELi64ELc67ELc67EKfS1_fEEvlllT_PT11_llS4_llS2_PT12_llPT13_lli
    .private_segment_fixed_size: 0
    .sgpr_count:     24
    .sgpr_spill_count: 0
    .symbol:         _ZN12_GLOBAL__N_127rocblas_gemm_batched_kernelIfLi16ELi16ELi64ELi64ELi4ELi64ELi4ELi4ELi64ELc67ELc67EKfS1_fEEvlllT_PT11_llS4_llS2_PT12_llPT13_lli.kd
    .uniform_work_group_size: 1
    .uses_dynamic_stack: false
    .vgpr_count:     58
    .vgpr_spill_count: 0
    .wavefront_size: 32
    .workgroup_processor_mode: 1
  - .args:
      - .offset:         0
        .size:           8
        .value_kind:     by_value
      - .offset:         8
        .size:           8
        .value_kind:     by_value
      - .offset:         16
        .size:           8
        .value_kind:     by_value
      - .offset:         24
        .size:           4
        .value_kind:     by_value
      - .address_space:  global
        .offset:         32
        .size:           8
        .value_kind:     global_buffer
      - .offset:         40
        .size:           8
        .value_kind:     by_value
      - .offset:         48
        .size:           8
        .value_kind:     by_value
      - .address_space:  global
        .offset:         56
        .size:           8
        .value_kind:     global_buffer
      - .offset:         64
        .size:           8
        .value_kind:     by_value
      - .offset:         72
        .size:           8
        .value_kind:     by_value
      - .offset:         80
        .size:           4
        .value_kind:     by_value
      - .address_space:  global
        .offset:         88
        .size:           8
        .value_kind:     global_buffer
      - .offset:         96
        .size:           8
        .value_kind:     by_value
      - .offset:         104
        .size:           8
        .value_kind:     by_value
      - .address_space:  global
        .offset:         112
        .size:           8
        .value_kind:     global_buffer
      - .offset:         120
        .size:           8
        .value_kind:     by_value
      - .offset:         128
        .size:           8
        .value_kind:     by_value
      - .offset:         136
        .size:           4
        .value_kind:     by_value
    .group_segment_fixed_size: 2048
    .kernarg_segment_align: 8
    .kernarg_segment_size: 140
    .language:       OpenCL C
    .language_version:
      - 2
      - 0
    .max_flat_workgroup_size: 256
    .name:           _ZN12_GLOBAL__N_127rocblas_gemm_batched_kernelIfLi16ELi16ELi64ELi64ELi4ELi64ELi4ELi4ELi64ELc67ELc78EKfS1_fEEvlllT_PT11_llS4_llS2_PT12_llPT13_lli
    .private_segment_fixed_size: 0
    .sgpr_count:     24
    .sgpr_spill_count: 0
    .symbol:         _ZN12_GLOBAL__N_127rocblas_gemm_batched_kernelIfLi16ELi16ELi64ELi64ELi4ELi64ELi4ELi4ELi64ELc67ELc78EKfS1_fEEvlllT_PT11_llS4_llS2_PT12_llPT13_lli.kd
    .uniform_work_group_size: 1
    .uses_dynamic_stack: false
    .vgpr_count:     58
    .vgpr_spill_count: 0
    .wavefront_size: 32
    .workgroup_processor_mode: 1
  - .args:
      - .offset:         0
        .size:           8
        .value_kind:     by_value
      - .offset:         8
        .size:           8
        .value_kind:     by_value
      - .offset:         16
        .size:           8
        .value_kind:     by_value
      - .offset:         24
        .size:           4
        .value_kind:     by_value
      - .address_space:  global
        .offset:         32
        .size:           8
        .value_kind:     global_buffer
      - .offset:         40
        .size:           8
        .value_kind:     by_value
      - .offset:         48
        .size:           8
        .value_kind:     by_value
      - .address_space:  global
        .offset:         56
        .size:           8
        .value_kind:     global_buffer
      - .offset:         64
        .size:           8
        .value_kind:     by_value
      - .offset:         72
        .size:           8
        .value_kind:     by_value
      - .offset:         80
        .size:           4
        .value_kind:     by_value
      - .address_space:  global
        .offset:         88
        .size:           8
        .value_kind:     global_buffer
      - .offset:         96
        .size:           8
        .value_kind:     by_value
      - .offset:         104
        .size:           8
        .value_kind:     by_value
      - .address_space:  global
        .offset:         112
        .size:           8
        .value_kind:     global_buffer
      - .offset:         120
        .size:           8
        .value_kind:     by_value
      - .offset:         128
        .size:           8
        .value_kind:     by_value
      - .offset:         136
        .size:           4
        .value_kind:     by_value
    .group_segment_fixed_size: 2048
    .kernarg_segment_align: 8
    .kernarg_segment_size: 140
    .language:       OpenCL C
    .language_version:
      - 2
      - 0
    .max_flat_workgroup_size: 256
    .name:           _ZN12_GLOBAL__N_127rocblas_gemm_batched_kernelIfLi16ELi16ELi64ELi64ELi4ELi64ELi4ELi4ELi64ELc67ELc84EKfS1_fEEvlllT_PT11_llS4_llS2_PT12_llPT13_lli
    .private_segment_fixed_size: 0
    .sgpr_count:     24
    .sgpr_spill_count: 0
    .symbol:         _ZN12_GLOBAL__N_127rocblas_gemm_batched_kernelIfLi16ELi16ELi64ELi64ELi4ELi64ELi4ELi4ELi64ELc67ELc84EKfS1_fEEvlllT_PT11_llS4_llS2_PT12_llPT13_lli.kd
    .uniform_work_group_size: 1
    .uses_dynamic_stack: false
    .vgpr_count:     58
    .vgpr_spill_count: 0
    .wavefront_size: 32
    .workgroup_processor_mode: 1
  - .args:
      - .offset:         0
        .size:           8
        .value_kind:     by_value
      - .offset:         8
        .size:           8
        .value_kind:     by_value
      - .offset:         16
        .size:           8
        .value_kind:     by_value
      - .offset:         24
        .size:           4
        .value_kind:     by_value
      - .address_space:  global
        .offset:         32
        .size:           8
        .value_kind:     global_buffer
      - .offset:         40
        .size:           8
        .value_kind:     by_value
      - .offset:         48
        .size:           8
        .value_kind:     by_value
      - .address_space:  global
        .offset:         56
        .size:           8
        .value_kind:     global_buffer
      - .offset:         64
        .size:           8
        .value_kind:     by_value
      - .offset:         72
        .size:           8
        .value_kind:     by_value
      - .offset:         80
        .size:           4
        .value_kind:     by_value
      - .address_space:  global
        .offset:         88
        .size:           8
        .value_kind:     global_buffer
      - .offset:         96
        .size:           8
        .value_kind:     by_value
      - .offset:         104
        .size:           8
        .value_kind:     by_value
      - .address_space:  global
        .offset:         112
        .size:           8
        .value_kind:     global_buffer
      - .offset:         120
        .size:           8
        .value_kind:     by_value
      - .offset:         128
        .size:           8
        .value_kind:     by_value
      - .offset:         136
        .size:           4
        .value_kind:     by_value
    .group_segment_fixed_size: 2048
    .kernarg_segment_align: 8
    .kernarg_segment_size: 140
    .language:       OpenCL C
    .language_version:
      - 2
      - 0
    .max_flat_workgroup_size: 256
    .name:           _ZN12_GLOBAL__N_127rocblas_gemm_batched_kernelIfLi16ELi16ELi64ELi64ELi4ELi64ELi4ELi4ELi64ELc78ELc67EKfS1_fEEvlllT_PT11_llS4_llS2_PT12_llPT13_lli
    .private_segment_fixed_size: 0
    .sgpr_count:     25
    .sgpr_spill_count: 0
    .symbol:         _ZN12_GLOBAL__N_127rocblas_gemm_batched_kernelIfLi16ELi16ELi64ELi64ELi4ELi64ELi4ELi4ELi64ELc78ELc67EKfS1_fEEvlllT_PT11_llS4_llS2_PT12_llPT13_lli.kd
    .uniform_work_group_size: 1
    .uses_dynamic_stack: false
    .vgpr_count:     58
    .vgpr_spill_count: 0
    .wavefront_size: 32
    .workgroup_processor_mode: 1
  - .args:
      - .offset:         0
        .size:           8
        .value_kind:     by_value
      - .offset:         8
        .size:           8
        .value_kind:     by_value
      - .offset:         16
        .size:           8
        .value_kind:     by_value
      - .offset:         24
        .size:           4
        .value_kind:     by_value
      - .address_space:  global
        .offset:         32
        .size:           8
        .value_kind:     global_buffer
      - .offset:         40
        .size:           8
        .value_kind:     by_value
      - .offset:         48
        .size:           8
        .value_kind:     by_value
      - .address_space:  global
        .offset:         56
        .size:           8
        .value_kind:     global_buffer
      - .offset:         64
        .size:           8
        .value_kind:     by_value
      - .offset:         72
        .size:           8
        .value_kind:     by_value
      - .offset:         80
        .size:           4
        .value_kind:     by_value
      - .address_space:  global
        .offset:         88
        .size:           8
        .value_kind:     global_buffer
      - .offset:         96
        .size:           8
        .value_kind:     by_value
      - .offset:         104
        .size:           8
        .value_kind:     by_value
      - .address_space:  global
        .offset:         112
        .size:           8
        .value_kind:     global_buffer
      - .offset:         120
        .size:           8
        .value_kind:     by_value
      - .offset:         128
        .size:           8
        .value_kind:     by_value
      - .offset:         136
        .size:           4
        .value_kind:     by_value
    .group_segment_fixed_size: 2048
    .kernarg_segment_align: 8
    .kernarg_segment_size: 140
    .language:       OpenCL C
    .language_version:
      - 2
      - 0
    .max_flat_workgroup_size: 256
    .name:           _ZN12_GLOBAL__N_127rocblas_gemm_batched_kernelIfLi16ELi16ELi64ELi64ELi4ELi64ELi4ELi4ELi64ELc84ELc67EKfS1_fEEvlllT_PT11_llS4_llS2_PT12_llPT13_lli
    .private_segment_fixed_size: 0
    .sgpr_count:     24
    .sgpr_spill_count: 0
    .symbol:         _ZN12_GLOBAL__N_127rocblas_gemm_batched_kernelIfLi16ELi16ELi64ELi64ELi4ELi64ELi4ELi4ELi64ELc84ELc67EKfS1_fEEvlllT_PT11_llS4_llS2_PT12_llPT13_lli.kd
    .uniform_work_group_size: 1
    .uses_dynamic_stack: false
    .vgpr_count:     58
    .vgpr_spill_count: 0
    .wavefront_size: 32
    .workgroup_processor_mode: 1
  - .args:
      - .offset:         0
        .size:           8
        .value_kind:     by_value
      - .offset:         8
        .size:           8
        .value_kind:     by_value
      - .offset:         16
        .size:           8
        .value_kind:     by_value
      - .offset:         24
        .size:           4
        .value_kind:     by_value
      - .address_space:  global
        .offset:         32
        .size:           8
        .value_kind:     global_buffer
      - .offset:         40
        .size:           8
        .value_kind:     by_value
      - .offset:         48
        .size:           8
        .value_kind:     by_value
      - .address_space:  global
        .offset:         56
        .size:           8
        .value_kind:     global_buffer
      - .offset:         64
        .size:           8
        .value_kind:     by_value
      - .offset:         72
        .size:           8
        .value_kind:     by_value
      - .offset:         80
        .size:           4
        .value_kind:     by_value
      - .address_space:  global
        .offset:         88
        .size:           8
        .value_kind:     global_buffer
      - .offset:         96
        .size:           8
        .value_kind:     by_value
      - .offset:         104
        .size:           8
        .value_kind:     by_value
      - .address_space:  global
        .offset:         112
        .size:           8
        .value_kind:     global_buffer
      - .offset:         120
        .size:           8
        .value_kind:     by_value
      - .offset:         128
        .size:           8
        .value_kind:     by_value
      - .offset:         136
        .size:           4
        .value_kind:     by_value
    .group_segment_fixed_size: 2048
    .kernarg_segment_align: 8
    .kernarg_segment_size: 140
    .language:       OpenCL C
    .language_version:
      - 2
      - 0
    .max_flat_workgroup_size: 256
    .name:           _ZN12_GLOBAL__N_127rocblas_gemm_batched_kernelIfLi16ELi16ELi32ELi32ELi8ELi32ELi8ELi8ELi32ELc78ELc78EKfS1_fEEvlllT_PT11_llS4_llS2_PT12_llPT13_lli
    .private_segment_fixed_size: 0
    .sgpr_count:     24
    .sgpr_spill_count: 0
    .symbol:         _ZN12_GLOBAL__N_127rocblas_gemm_batched_kernelIfLi16ELi16ELi32ELi32ELi8ELi32ELi8ELi8ELi32ELc78ELc78EKfS1_fEEvlllT_PT11_llS4_llS2_PT12_llPT13_lli.kd
    .uniform_work_group_size: 1
    .uses_dynamic_stack: false
    .vgpr_count:     46
    .vgpr_spill_count: 0
    .wavefront_size: 32
    .workgroup_processor_mode: 1
  - .args:
      - .offset:         0
        .size:           8
        .value_kind:     by_value
      - .offset:         8
        .size:           8
        .value_kind:     by_value
      - .offset:         16
        .size:           8
        .value_kind:     by_value
      - .offset:         24
        .size:           4
        .value_kind:     by_value
      - .address_space:  global
        .offset:         32
        .size:           8
        .value_kind:     global_buffer
      - .offset:         40
        .size:           8
        .value_kind:     by_value
      - .offset:         48
        .size:           8
        .value_kind:     by_value
      - .address_space:  global
        .offset:         56
        .size:           8
        .value_kind:     global_buffer
      - .offset:         64
        .size:           8
        .value_kind:     by_value
      - .offset:         72
        .size:           8
        .value_kind:     by_value
      - .offset:         80
        .size:           4
        .value_kind:     by_value
      - .address_space:  global
        .offset:         88
        .size:           8
        .value_kind:     global_buffer
      - .offset:         96
        .size:           8
        .value_kind:     by_value
      - .offset:         104
        .size:           8
        .value_kind:     by_value
      - .address_space:  global
        .offset:         112
        .size:           8
        .value_kind:     global_buffer
      - .offset:         120
        .size:           8
        .value_kind:     by_value
      - .offset:         128
        .size:           8
        .value_kind:     by_value
      - .offset:         136
        .size:           4
        .value_kind:     by_value
    .group_segment_fixed_size: 2048
    .kernarg_segment_align: 8
    .kernarg_segment_size: 140
    .language:       OpenCL C
    .language_version:
      - 2
      - 0
    .max_flat_workgroup_size: 256
    .name:           _ZN12_GLOBAL__N_127rocblas_gemm_batched_kernelIfLi16ELi16ELi32ELi32ELi8ELi32ELi8ELi8ELi32ELc84ELc78EKfS1_fEEvlllT_PT11_llS4_llS2_PT12_llPT13_lli
    .private_segment_fixed_size: 0
    .sgpr_count:     24
    .sgpr_spill_count: 0
    .symbol:         _ZN12_GLOBAL__N_127rocblas_gemm_batched_kernelIfLi16ELi16ELi32ELi32ELi8ELi32ELi8ELi8ELi32ELc84ELc78EKfS1_fEEvlllT_PT11_llS4_llS2_PT12_llPT13_lli.kd
    .uniform_work_group_size: 1
    .uses_dynamic_stack: false
    .vgpr_count:     46
    .vgpr_spill_count: 0
    .wavefront_size: 32
    .workgroup_processor_mode: 1
  - .args:
      - .offset:         0
        .size:           8
        .value_kind:     by_value
      - .offset:         8
        .size:           8
        .value_kind:     by_value
      - .offset:         16
        .size:           8
        .value_kind:     by_value
      - .offset:         24
        .size:           4
        .value_kind:     by_value
      - .address_space:  global
        .offset:         32
        .size:           8
        .value_kind:     global_buffer
      - .offset:         40
        .size:           8
        .value_kind:     by_value
      - .offset:         48
        .size:           8
        .value_kind:     by_value
      - .address_space:  global
        .offset:         56
        .size:           8
        .value_kind:     global_buffer
      - .offset:         64
        .size:           8
        .value_kind:     by_value
      - .offset:         72
        .size:           8
        .value_kind:     by_value
      - .offset:         80
        .size:           4
        .value_kind:     by_value
      - .address_space:  global
        .offset:         88
        .size:           8
        .value_kind:     global_buffer
      - .offset:         96
        .size:           8
        .value_kind:     by_value
      - .offset:         104
        .size:           8
        .value_kind:     by_value
      - .address_space:  global
        .offset:         112
        .size:           8
        .value_kind:     global_buffer
      - .offset:         120
        .size:           8
        .value_kind:     by_value
      - .offset:         128
        .size:           8
        .value_kind:     by_value
      - .offset:         136
        .size:           4
        .value_kind:     by_value
    .group_segment_fixed_size: 2048
    .kernarg_segment_align: 8
    .kernarg_segment_size: 140
    .language:       OpenCL C
    .language_version:
      - 2
      - 0
    .max_flat_workgroup_size: 256
    .name:           _ZN12_GLOBAL__N_127rocblas_gemm_batched_kernelIfLi16ELi16ELi32ELi32ELi8ELi32ELi8ELi8ELi32ELc78ELc84EKfS1_fEEvlllT_PT11_llS4_llS2_PT12_llPT13_lli
    .private_segment_fixed_size: 0
    .sgpr_count:     24
    .sgpr_spill_count: 0
    .symbol:         _ZN12_GLOBAL__N_127rocblas_gemm_batched_kernelIfLi16ELi16ELi32ELi32ELi8ELi32ELi8ELi8ELi32ELc78ELc84EKfS1_fEEvlllT_PT11_llS4_llS2_PT12_llPT13_lli.kd
    .uniform_work_group_size: 1
    .uses_dynamic_stack: false
    .vgpr_count:     46
    .vgpr_spill_count: 0
    .wavefront_size: 32
    .workgroup_processor_mode: 1
  - .args:
      - .offset:         0
        .size:           8
        .value_kind:     by_value
      - .offset:         8
        .size:           8
        .value_kind:     by_value
      - .offset:         16
        .size:           8
        .value_kind:     by_value
      - .offset:         24
        .size:           4
        .value_kind:     by_value
      - .address_space:  global
        .offset:         32
        .size:           8
        .value_kind:     global_buffer
      - .offset:         40
        .size:           8
        .value_kind:     by_value
      - .offset:         48
        .size:           8
        .value_kind:     by_value
      - .address_space:  global
        .offset:         56
        .size:           8
        .value_kind:     global_buffer
      - .offset:         64
        .size:           8
        .value_kind:     by_value
      - .offset:         72
        .size:           8
        .value_kind:     by_value
      - .offset:         80
        .size:           4
        .value_kind:     by_value
      - .address_space:  global
        .offset:         88
        .size:           8
        .value_kind:     global_buffer
      - .offset:         96
        .size:           8
        .value_kind:     by_value
      - .offset:         104
        .size:           8
        .value_kind:     by_value
      - .address_space:  global
        .offset:         112
        .size:           8
        .value_kind:     global_buffer
      - .offset:         120
        .size:           8
        .value_kind:     by_value
      - .offset:         128
        .size:           8
        .value_kind:     by_value
      - .offset:         136
        .size:           4
        .value_kind:     by_value
    .group_segment_fixed_size: 2048
    .kernarg_segment_align: 8
    .kernarg_segment_size: 140
    .language:       OpenCL C
    .language_version:
      - 2
      - 0
    .max_flat_workgroup_size: 256
    .name:           _ZN12_GLOBAL__N_127rocblas_gemm_batched_kernelIfLi16ELi16ELi32ELi32ELi8ELi32ELi8ELi8ELi32ELc84ELc84EKfS1_fEEvlllT_PT11_llS4_llS2_PT12_llPT13_lli
    .private_segment_fixed_size: 0
    .sgpr_count:     24
    .sgpr_spill_count: 0
    .symbol:         _ZN12_GLOBAL__N_127rocblas_gemm_batched_kernelIfLi16ELi16ELi32ELi32ELi8ELi32ELi8ELi8ELi32ELc84ELc84EKfS1_fEEvlllT_PT11_llS4_llS2_PT12_llPT13_lli.kd
    .uniform_work_group_size: 1
    .uses_dynamic_stack: false
    .vgpr_count:     46
    .vgpr_spill_count: 0
    .wavefront_size: 32
    .workgroup_processor_mode: 1
  - .args:
      - .offset:         0
        .size:           8
        .value_kind:     by_value
      - .offset:         8
        .size:           8
        .value_kind:     by_value
      - .offset:         16
        .size:           8
        .value_kind:     by_value
      - .offset:         24
        .size:           4
        .value_kind:     by_value
      - .address_space:  global
        .offset:         32
        .size:           8
        .value_kind:     global_buffer
      - .offset:         40
        .size:           8
        .value_kind:     by_value
      - .offset:         48
        .size:           8
        .value_kind:     by_value
      - .address_space:  global
        .offset:         56
        .size:           8
        .value_kind:     global_buffer
      - .offset:         64
        .size:           8
        .value_kind:     by_value
      - .offset:         72
        .size:           8
        .value_kind:     by_value
      - .offset:         80
        .size:           4
        .value_kind:     by_value
      - .address_space:  global
        .offset:         88
        .size:           8
        .value_kind:     global_buffer
      - .offset:         96
        .size:           8
        .value_kind:     by_value
      - .offset:         104
        .size:           8
        .value_kind:     by_value
      - .address_space:  global
        .offset:         112
        .size:           8
        .value_kind:     global_buffer
      - .offset:         120
        .size:           8
        .value_kind:     by_value
      - .offset:         128
        .size:           8
        .value_kind:     by_value
      - .offset:         136
        .size:           4
        .value_kind:     by_value
    .group_segment_fixed_size: 2048
    .kernarg_segment_align: 8
    .kernarg_segment_size: 140
    .language:       OpenCL C
    .language_version:
      - 2
      - 0
    .max_flat_workgroup_size: 256
    .name:           _ZN12_GLOBAL__N_127rocblas_gemm_batched_kernelIfLi16ELi16ELi32ELi32ELi8ELi32ELi8ELi8ELi32ELc67ELc67EKfS1_fEEvlllT_PT11_llS4_llS2_PT12_llPT13_lli
    .private_segment_fixed_size: 0
    .sgpr_count:     24
    .sgpr_spill_count: 0
    .symbol:         _ZN12_GLOBAL__N_127rocblas_gemm_batched_kernelIfLi16ELi16ELi32ELi32ELi8ELi32ELi8ELi8ELi32ELc67ELc67EKfS1_fEEvlllT_PT11_llS4_llS2_PT12_llPT13_lli.kd
    .uniform_work_group_size: 1
    .uses_dynamic_stack: false
    .vgpr_count:     46
    .vgpr_spill_count: 0
    .wavefront_size: 32
    .workgroup_processor_mode: 1
  - .args:
      - .offset:         0
        .size:           8
        .value_kind:     by_value
      - .offset:         8
        .size:           8
        .value_kind:     by_value
      - .offset:         16
        .size:           8
        .value_kind:     by_value
      - .offset:         24
        .size:           4
        .value_kind:     by_value
      - .address_space:  global
        .offset:         32
        .size:           8
        .value_kind:     global_buffer
      - .offset:         40
        .size:           8
        .value_kind:     by_value
      - .offset:         48
        .size:           8
        .value_kind:     by_value
      - .address_space:  global
        .offset:         56
        .size:           8
        .value_kind:     global_buffer
      - .offset:         64
        .size:           8
        .value_kind:     by_value
      - .offset:         72
        .size:           8
        .value_kind:     by_value
      - .offset:         80
        .size:           4
        .value_kind:     by_value
      - .address_space:  global
        .offset:         88
        .size:           8
        .value_kind:     global_buffer
      - .offset:         96
        .size:           8
        .value_kind:     by_value
      - .offset:         104
        .size:           8
        .value_kind:     by_value
      - .address_space:  global
        .offset:         112
        .size:           8
        .value_kind:     global_buffer
      - .offset:         120
        .size:           8
        .value_kind:     by_value
      - .offset:         128
        .size:           8
        .value_kind:     by_value
      - .offset:         136
        .size:           4
        .value_kind:     by_value
    .group_segment_fixed_size: 2048
    .kernarg_segment_align: 8
    .kernarg_segment_size: 140
    .language:       OpenCL C
    .language_version:
      - 2
      - 0
    .max_flat_workgroup_size: 256
    .name:           _ZN12_GLOBAL__N_127rocblas_gemm_batched_kernelIfLi16ELi16ELi32ELi32ELi8ELi32ELi8ELi8ELi32ELc67ELc78EKfS1_fEEvlllT_PT11_llS4_llS2_PT12_llPT13_lli
    .private_segment_fixed_size: 0
    .sgpr_count:     24
    .sgpr_spill_count: 0
    .symbol:         _ZN12_GLOBAL__N_127rocblas_gemm_batched_kernelIfLi16ELi16ELi32ELi32ELi8ELi32ELi8ELi8ELi32ELc67ELc78EKfS1_fEEvlllT_PT11_llS4_llS2_PT12_llPT13_lli.kd
    .uniform_work_group_size: 1
    .uses_dynamic_stack: false
    .vgpr_count:     46
    .vgpr_spill_count: 0
    .wavefront_size: 32
    .workgroup_processor_mode: 1
  - .args:
      - .offset:         0
        .size:           8
        .value_kind:     by_value
      - .offset:         8
        .size:           8
        .value_kind:     by_value
      - .offset:         16
        .size:           8
        .value_kind:     by_value
      - .offset:         24
        .size:           4
        .value_kind:     by_value
      - .address_space:  global
        .offset:         32
        .size:           8
        .value_kind:     global_buffer
      - .offset:         40
        .size:           8
        .value_kind:     by_value
      - .offset:         48
        .size:           8
        .value_kind:     by_value
      - .address_space:  global
        .offset:         56
        .size:           8
        .value_kind:     global_buffer
      - .offset:         64
        .size:           8
        .value_kind:     by_value
      - .offset:         72
        .size:           8
        .value_kind:     by_value
      - .offset:         80
        .size:           4
        .value_kind:     by_value
      - .address_space:  global
        .offset:         88
        .size:           8
        .value_kind:     global_buffer
      - .offset:         96
        .size:           8
        .value_kind:     by_value
      - .offset:         104
        .size:           8
        .value_kind:     by_value
      - .address_space:  global
        .offset:         112
        .size:           8
        .value_kind:     global_buffer
      - .offset:         120
        .size:           8
        .value_kind:     by_value
      - .offset:         128
        .size:           8
        .value_kind:     by_value
      - .offset:         136
        .size:           4
        .value_kind:     by_value
    .group_segment_fixed_size: 2048
    .kernarg_segment_align: 8
    .kernarg_segment_size: 140
    .language:       OpenCL C
    .language_version:
      - 2
      - 0
    .max_flat_workgroup_size: 256
    .name:           _ZN12_GLOBAL__N_127rocblas_gemm_batched_kernelIfLi16ELi16ELi32ELi32ELi8ELi32ELi8ELi8ELi32ELc67ELc84EKfS1_fEEvlllT_PT11_llS4_llS2_PT12_llPT13_lli
    .private_segment_fixed_size: 0
    .sgpr_count:     24
    .sgpr_spill_count: 0
    .symbol:         _ZN12_GLOBAL__N_127rocblas_gemm_batched_kernelIfLi16ELi16ELi32ELi32ELi8ELi32ELi8ELi8ELi32ELc67ELc84EKfS1_fEEvlllT_PT11_llS4_llS2_PT12_llPT13_lli.kd
    .uniform_work_group_size: 1
    .uses_dynamic_stack: false
    .vgpr_count:     46
    .vgpr_spill_count: 0
    .wavefront_size: 32
    .workgroup_processor_mode: 1
  - .args:
      - .offset:         0
        .size:           8
        .value_kind:     by_value
      - .offset:         8
        .size:           8
        .value_kind:     by_value
      - .offset:         16
        .size:           8
        .value_kind:     by_value
      - .offset:         24
        .size:           4
        .value_kind:     by_value
      - .address_space:  global
        .offset:         32
        .size:           8
        .value_kind:     global_buffer
      - .offset:         40
        .size:           8
        .value_kind:     by_value
      - .offset:         48
        .size:           8
        .value_kind:     by_value
      - .address_space:  global
        .offset:         56
        .size:           8
        .value_kind:     global_buffer
      - .offset:         64
        .size:           8
        .value_kind:     by_value
      - .offset:         72
        .size:           8
        .value_kind:     by_value
      - .offset:         80
        .size:           4
        .value_kind:     by_value
      - .address_space:  global
        .offset:         88
        .size:           8
        .value_kind:     global_buffer
      - .offset:         96
        .size:           8
        .value_kind:     by_value
      - .offset:         104
        .size:           8
        .value_kind:     by_value
      - .address_space:  global
        .offset:         112
        .size:           8
        .value_kind:     global_buffer
      - .offset:         120
        .size:           8
        .value_kind:     by_value
      - .offset:         128
        .size:           8
        .value_kind:     by_value
      - .offset:         136
        .size:           4
        .value_kind:     by_value
    .group_segment_fixed_size: 2048
    .kernarg_segment_align: 8
    .kernarg_segment_size: 140
    .language:       OpenCL C
    .language_version:
      - 2
      - 0
    .max_flat_workgroup_size: 256
    .name:           _ZN12_GLOBAL__N_127rocblas_gemm_batched_kernelIfLi16ELi16ELi32ELi32ELi8ELi32ELi8ELi8ELi32ELc78ELc67EKfS1_fEEvlllT_PT11_llS4_llS2_PT12_llPT13_lli
    .private_segment_fixed_size: 0
    .sgpr_count:     24
    .sgpr_spill_count: 0
    .symbol:         _ZN12_GLOBAL__N_127rocblas_gemm_batched_kernelIfLi16ELi16ELi32ELi32ELi8ELi32ELi8ELi8ELi32ELc78ELc67EKfS1_fEEvlllT_PT11_llS4_llS2_PT12_llPT13_lli.kd
    .uniform_work_group_size: 1
    .uses_dynamic_stack: false
    .vgpr_count:     46
    .vgpr_spill_count: 0
    .wavefront_size: 32
    .workgroup_processor_mode: 1
  - .args:
      - .offset:         0
        .size:           8
        .value_kind:     by_value
      - .offset:         8
        .size:           8
        .value_kind:     by_value
      - .offset:         16
        .size:           8
        .value_kind:     by_value
      - .offset:         24
        .size:           4
        .value_kind:     by_value
      - .address_space:  global
        .offset:         32
        .size:           8
        .value_kind:     global_buffer
      - .offset:         40
        .size:           8
        .value_kind:     by_value
      - .offset:         48
        .size:           8
        .value_kind:     by_value
      - .address_space:  global
        .offset:         56
        .size:           8
        .value_kind:     global_buffer
      - .offset:         64
        .size:           8
        .value_kind:     by_value
      - .offset:         72
        .size:           8
        .value_kind:     by_value
      - .offset:         80
        .size:           4
        .value_kind:     by_value
      - .address_space:  global
        .offset:         88
        .size:           8
        .value_kind:     global_buffer
      - .offset:         96
        .size:           8
        .value_kind:     by_value
      - .offset:         104
        .size:           8
        .value_kind:     by_value
      - .address_space:  global
        .offset:         112
        .size:           8
        .value_kind:     global_buffer
      - .offset:         120
        .size:           8
        .value_kind:     by_value
      - .offset:         128
        .size:           8
        .value_kind:     by_value
      - .offset:         136
        .size:           4
        .value_kind:     by_value
    .group_segment_fixed_size: 2048
    .kernarg_segment_align: 8
    .kernarg_segment_size: 140
    .language:       OpenCL C
    .language_version:
      - 2
      - 0
    .max_flat_workgroup_size: 256
    .name:           _ZN12_GLOBAL__N_127rocblas_gemm_batched_kernelIfLi16ELi16ELi32ELi32ELi8ELi32ELi8ELi8ELi32ELc84ELc67EKfS1_fEEvlllT_PT11_llS4_llS2_PT12_llPT13_lli
    .private_segment_fixed_size: 0
    .sgpr_count:     24
    .sgpr_spill_count: 0
    .symbol:         _ZN12_GLOBAL__N_127rocblas_gemm_batched_kernelIfLi16ELi16ELi32ELi32ELi8ELi32ELi8ELi8ELi32ELc84ELc67EKfS1_fEEvlllT_PT11_llS4_llS2_PT12_llPT13_lli.kd
    .uniform_work_group_size: 1
    .uses_dynamic_stack: false
    .vgpr_count:     46
    .vgpr_spill_count: 0
    .wavefront_size: 32
    .workgroup_processor_mode: 1
  - .args:
      - .offset:         0
        .size:           8
        .value_kind:     by_value
      - .offset:         8
        .size:           8
        .value_kind:     by_value
      - .offset:         16
        .size:           8
        .value_kind:     by_value
      - .offset:         24
        .size:           4
        .value_kind:     by_value
      - .address_space:  global
        .offset:         32
        .size:           8
        .value_kind:     global_buffer
      - .offset:         40
        .size:           8
        .value_kind:     by_value
      - .offset:         48
        .size:           8
        .value_kind:     by_value
      - .address_space:  global
        .offset:         56
        .size:           8
        .value_kind:     global_buffer
      - .offset:         64
        .size:           8
        .value_kind:     by_value
      - .offset:         72
        .size:           8
        .value_kind:     by_value
      - .offset:         80
        .size:           4
        .value_kind:     by_value
      - .address_space:  global
        .offset:         88
        .size:           8
        .value_kind:     global_buffer
      - .offset:         96
        .size:           8
        .value_kind:     by_value
      - .offset:         104
        .size:           8
        .value_kind:     by_value
      - .address_space:  global
        .offset:         112
        .size:           8
        .value_kind:     global_buffer
      - .offset:         120
        .size:           8
        .value_kind:     by_value
      - .offset:         128
        .size:           8
        .value_kind:     by_value
      - .offset:         136
        .size:           4
        .value_kind:     by_value
    .group_segment_fixed_size: 2048
    .kernarg_segment_align: 8
    .kernarg_segment_size: 140
    .language:       OpenCL C
    .language_version:
      - 2
      - 0
    .max_flat_workgroup_size: 256
    .name:           _ZN12_GLOBAL__N_135rocblas_gemm_batched_general_kernelIfLi16ELi16ELi32ELi32ELi8ELi32ELi8ELi8ELi32ELc78ELc78EKfS1_fEEvlllT_PT11_llS4_llS2_PT12_llPT13_lli
    .private_segment_fixed_size: 0
    .sgpr_count:     32
    .sgpr_spill_count: 0
    .symbol:         _ZN12_GLOBAL__N_135rocblas_gemm_batched_general_kernelIfLi16ELi16ELi32ELi32ELi8ELi32ELi8ELi8ELi32ELc78ELc78EKfS1_fEEvlllT_PT11_llS4_llS2_PT12_llPT13_lli.kd
    .uniform_work_group_size: 1
    .uses_dynamic_stack: false
    .vgpr_count:     44
    .vgpr_spill_count: 0
    .wavefront_size: 32
    .workgroup_processor_mode: 1
  - .args:
      - .offset:         0
        .size:           8
        .value_kind:     by_value
      - .offset:         8
        .size:           8
        .value_kind:     by_value
      - .offset:         16
        .size:           8
        .value_kind:     by_value
      - .offset:         24
        .size:           4
        .value_kind:     by_value
      - .address_space:  global
        .offset:         32
        .size:           8
        .value_kind:     global_buffer
      - .offset:         40
        .size:           8
        .value_kind:     by_value
      - .offset:         48
        .size:           8
        .value_kind:     by_value
      - .address_space:  global
        .offset:         56
        .size:           8
        .value_kind:     global_buffer
      - .offset:         64
        .size:           8
        .value_kind:     by_value
      - .offset:         72
        .size:           8
        .value_kind:     by_value
      - .offset:         80
        .size:           4
        .value_kind:     by_value
      - .address_space:  global
        .offset:         88
        .size:           8
        .value_kind:     global_buffer
      - .offset:         96
        .size:           8
        .value_kind:     by_value
      - .offset:         104
        .size:           8
        .value_kind:     by_value
      - .address_space:  global
        .offset:         112
        .size:           8
        .value_kind:     global_buffer
      - .offset:         120
        .size:           8
        .value_kind:     by_value
      - .offset:         128
        .size:           8
        .value_kind:     by_value
      - .offset:         136
        .size:           4
        .value_kind:     by_value
    .group_segment_fixed_size: 2048
    .kernarg_segment_align: 8
    .kernarg_segment_size: 140
    .language:       OpenCL C
    .language_version:
      - 2
      - 0
    .max_flat_workgroup_size: 256
    .name:           _ZN12_GLOBAL__N_135rocblas_gemm_batched_general_kernelIfLi16ELi16ELi32ELi32ELi8ELi32ELi8ELi8ELi32ELc84ELc78EKfS1_fEEvlllT_PT11_llS4_llS2_PT12_llPT13_lli
    .private_segment_fixed_size: 0
    .sgpr_count:     30
    .sgpr_spill_count: 0
    .symbol:         _ZN12_GLOBAL__N_135rocblas_gemm_batched_general_kernelIfLi16ELi16ELi32ELi32ELi8ELi32ELi8ELi8ELi32ELc84ELc78EKfS1_fEEvlllT_PT11_llS4_llS2_PT12_llPT13_lli.kd
    .uniform_work_group_size: 1
    .uses_dynamic_stack: false
    .vgpr_count:     44
    .vgpr_spill_count: 0
    .wavefront_size: 32
    .workgroup_processor_mode: 1
  - .args:
      - .offset:         0
        .size:           8
        .value_kind:     by_value
      - .offset:         8
        .size:           8
        .value_kind:     by_value
      - .offset:         16
        .size:           8
        .value_kind:     by_value
      - .offset:         24
        .size:           4
        .value_kind:     by_value
      - .address_space:  global
        .offset:         32
        .size:           8
        .value_kind:     global_buffer
      - .offset:         40
        .size:           8
        .value_kind:     by_value
      - .offset:         48
        .size:           8
        .value_kind:     by_value
      - .address_space:  global
        .offset:         56
        .size:           8
        .value_kind:     global_buffer
      - .offset:         64
        .size:           8
        .value_kind:     by_value
      - .offset:         72
        .size:           8
        .value_kind:     by_value
      - .offset:         80
        .size:           4
        .value_kind:     by_value
      - .address_space:  global
        .offset:         88
        .size:           8
        .value_kind:     global_buffer
      - .offset:         96
        .size:           8
        .value_kind:     by_value
      - .offset:         104
        .size:           8
        .value_kind:     by_value
      - .address_space:  global
        .offset:         112
        .size:           8
        .value_kind:     global_buffer
      - .offset:         120
        .size:           8
        .value_kind:     by_value
      - .offset:         128
        .size:           8
        .value_kind:     by_value
      - .offset:         136
        .size:           4
        .value_kind:     by_value
    .group_segment_fixed_size: 2048
    .kernarg_segment_align: 8
    .kernarg_segment_size: 140
    .language:       OpenCL C
    .language_version:
      - 2
      - 0
    .max_flat_workgroup_size: 256
    .name:           _ZN12_GLOBAL__N_135rocblas_gemm_batched_general_kernelIfLi16ELi16ELi32ELi32ELi8ELi32ELi8ELi8ELi32ELc78ELc84EKfS1_fEEvlllT_PT11_llS4_llS2_PT12_llPT13_lli
    .private_segment_fixed_size: 0
    .sgpr_count:     36
    .sgpr_spill_count: 0
    .symbol:         _ZN12_GLOBAL__N_135rocblas_gemm_batched_general_kernelIfLi16ELi16ELi32ELi32ELi8ELi32ELi8ELi8ELi32ELc78ELc84EKfS1_fEEvlllT_PT11_llS4_llS2_PT12_llPT13_lli.kd
    .uniform_work_group_size: 1
    .uses_dynamic_stack: false
    .vgpr_count:     44
    .vgpr_spill_count: 0
    .wavefront_size: 32
    .workgroup_processor_mode: 1
  - .args:
      - .offset:         0
        .size:           8
        .value_kind:     by_value
      - .offset:         8
        .size:           8
        .value_kind:     by_value
      - .offset:         16
        .size:           8
        .value_kind:     by_value
      - .offset:         24
        .size:           4
        .value_kind:     by_value
      - .address_space:  global
        .offset:         32
        .size:           8
        .value_kind:     global_buffer
      - .offset:         40
        .size:           8
        .value_kind:     by_value
      - .offset:         48
        .size:           8
        .value_kind:     by_value
      - .address_space:  global
        .offset:         56
        .size:           8
        .value_kind:     global_buffer
      - .offset:         64
        .size:           8
        .value_kind:     by_value
      - .offset:         72
        .size:           8
        .value_kind:     by_value
      - .offset:         80
        .size:           4
        .value_kind:     by_value
      - .address_space:  global
        .offset:         88
        .size:           8
        .value_kind:     global_buffer
      - .offset:         96
        .size:           8
        .value_kind:     by_value
      - .offset:         104
        .size:           8
        .value_kind:     by_value
      - .address_space:  global
        .offset:         112
        .size:           8
        .value_kind:     global_buffer
      - .offset:         120
        .size:           8
        .value_kind:     by_value
      - .offset:         128
        .size:           8
        .value_kind:     by_value
      - .offset:         136
        .size:           4
        .value_kind:     by_value
    .group_segment_fixed_size: 2048
    .kernarg_segment_align: 8
    .kernarg_segment_size: 140
    .language:       OpenCL C
    .language_version:
      - 2
      - 0
    .max_flat_workgroup_size: 256
    .name:           _ZN12_GLOBAL__N_135rocblas_gemm_batched_general_kernelIfLi16ELi16ELi32ELi32ELi8ELi32ELi8ELi8ELi32ELc84ELc84EKfS1_fEEvlllT_PT11_llS4_llS2_PT12_llPT13_lli
    .private_segment_fixed_size: 0
    .sgpr_count:     32
    .sgpr_spill_count: 0
    .symbol:         _ZN12_GLOBAL__N_135rocblas_gemm_batched_general_kernelIfLi16ELi16ELi32ELi32ELi8ELi32ELi8ELi8ELi32ELc84ELc84EKfS1_fEEvlllT_PT11_llS4_llS2_PT12_llPT13_lli.kd
    .uniform_work_group_size: 1
    .uses_dynamic_stack: false
    .vgpr_count:     44
    .vgpr_spill_count: 0
    .wavefront_size: 32
    .workgroup_processor_mode: 1
  - .args:
      - .offset:         0
        .size:           8
        .value_kind:     by_value
      - .offset:         8
        .size:           8
        .value_kind:     by_value
      - .offset:         16
        .size:           8
        .value_kind:     by_value
      - .offset:         24
        .size:           4
        .value_kind:     by_value
      - .address_space:  global
        .offset:         32
        .size:           8
        .value_kind:     global_buffer
      - .offset:         40
        .size:           8
        .value_kind:     by_value
      - .offset:         48
        .size:           8
        .value_kind:     by_value
      - .address_space:  global
        .offset:         56
        .size:           8
        .value_kind:     global_buffer
      - .offset:         64
        .size:           8
        .value_kind:     by_value
      - .offset:         72
        .size:           8
        .value_kind:     by_value
      - .offset:         80
        .size:           4
        .value_kind:     by_value
      - .address_space:  global
        .offset:         88
        .size:           8
        .value_kind:     global_buffer
      - .offset:         96
        .size:           8
        .value_kind:     by_value
      - .offset:         104
        .size:           8
        .value_kind:     by_value
      - .address_space:  global
        .offset:         112
        .size:           8
        .value_kind:     global_buffer
      - .offset:         120
        .size:           8
        .value_kind:     by_value
      - .offset:         128
        .size:           8
        .value_kind:     by_value
      - .offset:         136
        .size:           4
        .value_kind:     by_value
    .group_segment_fixed_size: 2048
    .kernarg_segment_align: 8
    .kernarg_segment_size: 140
    .language:       OpenCL C
    .language_version:
      - 2
      - 0
    .max_flat_workgroup_size: 256
    .name:           _ZN12_GLOBAL__N_135rocblas_gemm_batched_general_kernelIfLi16ELi16ELi32ELi32ELi8ELi32ELi8ELi8ELi32ELc67ELc67EKfS1_fEEvlllT_PT11_llS4_llS2_PT12_llPT13_lli
    .private_segment_fixed_size: 0
    .sgpr_count:     32
    .sgpr_spill_count: 0
    .symbol:         _ZN12_GLOBAL__N_135rocblas_gemm_batched_general_kernelIfLi16ELi16ELi32ELi32ELi8ELi32ELi8ELi8ELi32ELc67ELc67EKfS1_fEEvlllT_PT11_llS4_llS2_PT12_llPT13_lli.kd
    .uniform_work_group_size: 1
    .uses_dynamic_stack: false
    .vgpr_count:     44
    .vgpr_spill_count: 0
    .wavefront_size: 32
    .workgroup_processor_mode: 1
  - .args:
      - .offset:         0
        .size:           8
        .value_kind:     by_value
      - .offset:         8
        .size:           8
        .value_kind:     by_value
      - .offset:         16
        .size:           8
        .value_kind:     by_value
      - .offset:         24
        .size:           4
        .value_kind:     by_value
      - .address_space:  global
        .offset:         32
        .size:           8
        .value_kind:     global_buffer
      - .offset:         40
        .size:           8
        .value_kind:     by_value
      - .offset:         48
        .size:           8
        .value_kind:     by_value
      - .address_space:  global
        .offset:         56
        .size:           8
        .value_kind:     global_buffer
      - .offset:         64
        .size:           8
        .value_kind:     by_value
      - .offset:         72
        .size:           8
        .value_kind:     by_value
      - .offset:         80
        .size:           4
        .value_kind:     by_value
      - .address_space:  global
        .offset:         88
        .size:           8
        .value_kind:     global_buffer
      - .offset:         96
        .size:           8
        .value_kind:     by_value
      - .offset:         104
        .size:           8
        .value_kind:     by_value
      - .address_space:  global
        .offset:         112
        .size:           8
        .value_kind:     global_buffer
      - .offset:         120
        .size:           8
        .value_kind:     by_value
      - .offset:         128
        .size:           8
        .value_kind:     by_value
      - .offset:         136
        .size:           4
        .value_kind:     by_value
    .group_segment_fixed_size: 2048
    .kernarg_segment_align: 8
    .kernarg_segment_size: 140
    .language:       OpenCL C
    .language_version:
      - 2
      - 0
    .max_flat_workgroup_size: 256
    .name:           _ZN12_GLOBAL__N_135rocblas_gemm_batched_general_kernelIfLi16ELi16ELi32ELi32ELi8ELi32ELi8ELi8ELi32ELc67ELc78EKfS1_fEEvlllT_PT11_llS4_llS2_PT12_llPT13_lli
    .private_segment_fixed_size: 0
    .sgpr_count:     30
    .sgpr_spill_count: 0
    .symbol:         _ZN12_GLOBAL__N_135rocblas_gemm_batched_general_kernelIfLi16ELi16ELi32ELi32ELi8ELi32ELi8ELi8ELi32ELc67ELc78EKfS1_fEEvlllT_PT11_llS4_llS2_PT12_llPT13_lli.kd
    .uniform_work_group_size: 1
    .uses_dynamic_stack: false
    .vgpr_count:     44
    .vgpr_spill_count: 0
    .wavefront_size: 32
    .workgroup_processor_mode: 1
  - .args:
      - .offset:         0
        .size:           8
        .value_kind:     by_value
      - .offset:         8
        .size:           8
        .value_kind:     by_value
      - .offset:         16
        .size:           8
        .value_kind:     by_value
      - .offset:         24
        .size:           4
        .value_kind:     by_value
      - .address_space:  global
        .offset:         32
        .size:           8
        .value_kind:     global_buffer
      - .offset:         40
        .size:           8
        .value_kind:     by_value
      - .offset:         48
        .size:           8
        .value_kind:     by_value
      - .address_space:  global
        .offset:         56
        .size:           8
        .value_kind:     global_buffer
      - .offset:         64
        .size:           8
        .value_kind:     by_value
      - .offset:         72
        .size:           8
        .value_kind:     by_value
      - .offset:         80
        .size:           4
        .value_kind:     by_value
      - .address_space:  global
        .offset:         88
        .size:           8
        .value_kind:     global_buffer
      - .offset:         96
        .size:           8
        .value_kind:     by_value
      - .offset:         104
        .size:           8
        .value_kind:     by_value
      - .address_space:  global
        .offset:         112
        .size:           8
        .value_kind:     global_buffer
      - .offset:         120
        .size:           8
        .value_kind:     by_value
      - .offset:         128
        .size:           8
        .value_kind:     by_value
      - .offset:         136
        .size:           4
        .value_kind:     by_value
    .group_segment_fixed_size: 2048
    .kernarg_segment_align: 8
    .kernarg_segment_size: 140
    .language:       OpenCL C
    .language_version:
      - 2
      - 0
    .max_flat_workgroup_size: 256
    .name:           _ZN12_GLOBAL__N_135rocblas_gemm_batched_general_kernelIfLi16ELi16ELi32ELi32ELi8ELi32ELi8ELi8ELi32ELc67ELc84EKfS1_fEEvlllT_PT11_llS4_llS2_PT12_llPT13_lli
    .private_segment_fixed_size: 0
    .sgpr_count:     32
    .sgpr_spill_count: 0
    .symbol:         _ZN12_GLOBAL__N_135rocblas_gemm_batched_general_kernelIfLi16ELi16ELi32ELi32ELi8ELi32ELi8ELi8ELi32ELc67ELc84EKfS1_fEEvlllT_PT11_llS4_llS2_PT12_llPT13_lli.kd
    .uniform_work_group_size: 1
    .uses_dynamic_stack: false
    .vgpr_count:     44
    .vgpr_spill_count: 0
    .wavefront_size: 32
    .workgroup_processor_mode: 1
  - .args:
      - .offset:         0
        .size:           8
        .value_kind:     by_value
      - .offset:         8
        .size:           8
        .value_kind:     by_value
      - .offset:         16
        .size:           8
        .value_kind:     by_value
      - .offset:         24
        .size:           4
        .value_kind:     by_value
      - .address_space:  global
        .offset:         32
        .size:           8
        .value_kind:     global_buffer
      - .offset:         40
        .size:           8
        .value_kind:     by_value
      - .offset:         48
        .size:           8
        .value_kind:     by_value
      - .address_space:  global
        .offset:         56
        .size:           8
        .value_kind:     global_buffer
      - .offset:         64
        .size:           8
        .value_kind:     by_value
      - .offset:         72
        .size:           8
        .value_kind:     by_value
      - .offset:         80
        .size:           4
        .value_kind:     by_value
      - .address_space:  global
        .offset:         88
        .size:           8
        .value_kind:     global_buffer
      - .offset:         96
        .size:           8
        .value_kind:     by_value
      - .offset:         104
        .size:           8
        .value_kind:     by_value
      - .address_space:  global
        .offset:         112
        .size:           8
        .value_kind:     global_buffer
      - .offset:         120
        .size:           8
        .value_kind:     by_value
      - .offset:         128
        .size:           8
        .value_kind:     by_value
      - .offset:         136
        .size:           4
        .value_kind:     by_value
    .group_segment_fixed_size: 2048
    .kernarg_segment_align: 8
    .kernarg_segment_size: 140
    .language:       OpenCL C
    .language_version:
      - 2
      - 0
    .max_flat_workgroup_size: 256
    .name:           _ZN12_GLOBAL__N_135rocblas_gemm_batched_general_kernelIfLi16ELi16ELi32ELi32ELi8ELi32ELi8ELi8ELi32ELc78ELc67EKfS1_fEEvlllT_PT11_llS4_llS2_PT12_llPT13_lli
    .private_segment_fixed_size: 0
    .sgpr_count:     36
    .sgpr_spill_count: 0
    .symbol:         _ZN12_GLOBAL__N_135rocblas_gemm_batched_general_kernelIfLi16ELi16ELi32ELi32ELi8ELi32ELi8ELi8ELi32ELc78ELc67EKfS1_fEEvlllT_PT11_llS4_llS2_PT12_llPT13_lli.kd
    .uniform_work_group_size: 1
    .uses_dynamic_stack: false
    .vgpr_count:     44
    .vgpr_spill_count: 0
    .wavefront_size: 32
    .workgroup_processor_mode: 1
  - .args:
      - .offset:         0
        .size:           8
        .value_kind:     by_value
      - .offset:         8
        .size:           8
        .value_kind:     by_value
      - .offset:         16
        .size:           8
        .value_kind:     by_value
      - .offset:         24
        .size:           4
        .value_kind:     by_value
      - .address_space:  global
        .offset:         32
        .size:           8
        .value_kind:     global_buffer
      - .offset:         40
        .size:           8
        .value_kind:     by_value
      - .offset:         48
        .size:           8
        .value_kind:     by_value
      - .address_space:  global
        .offset:         56
        .size:           8
        .value_kind:     global_buffer
      - .offset:         64
        .size:           8
        .value_kind:     by_value
      - .offset:         72
        .size:           8
        .value_kind:     by_value
      - .offset:         80
        .size:           4
        .value_kind:     by_value
      - .address_space:  global
        .offset:         88
        .size:           8
        .value_kind:     global_buffer
      - .offset:         96
        .size:           8
        .value_kind:     by_value
      - .offset:         104
        .size:           8
        .value_kind:     by_value
      - .address_space:  global
        .offset:         112
        .size:           8
        .value_kind:     global_buffer
      - .offset:         120
        .size:           8
        .value_kind:     by_value
      - .offset:         128
        .size:           8
        .value_kind:     by_value
      - .offset:         136
        .size:           4
        .value_kind:     by_value
    .group_segment_fixed_size: 2048
    .kernarg_segment_align: 8
    .kernarg_segment_size: 140
    .language:       OpenCL C
    .language_version:
      - 2
      - 0
    .max_flat_workgroup_size: 256
    .name:           _ZN12_GLOBAL__N_135rocblas_gemm_batched_general_kernelIfLi16ELi16ELi32ELi32ELi8ELi32ELi8ELi8ELi32ELc84ELc67EKfS1_fEEvlllT_PT11_llS4_llS2_PT12_llPT13_lli
    .private_segment_fixed_size: 0
    .sgpr_count:     32
    .sgpr_spill_count: 0
    .symbol:         _ZN12_GLOBAL__N_135rocblas_gemm_batched_general_kernelIfLi16ELi16ELi32ELi32ELi8ELi32ELi8ELi8ELi32ELc84ELc67EKfS1_fEEvlllT_PT11_llS4_llS2_PT12_llPT13_lli.kd
    .uniform_work_group_size: 1
    .uses_dynamic_stack: false
    .vgpr_count:     44
    .vgpr_spill_count: 0
    .wavefront_size: 32
    .workgroup_processor_mode: 1
  - .args:
      - .offset:         0
        .size:           4
        .value_kind:     by_value
      - .offset:         4
        .size:           4
        .value_kind:     by_value
      - .offset:         8
        .size:           2
        .value_kind:     by_value
      - .address_space:  global
        .offset:         16
        .size:           8
        .value_kind:     global_buffer
      - .offset:         24
        .size:           8
        .value_kind:     by_value
      - .offset:         32
        .size:           8
        .value_kind:     by_value
      - .offset:         40
        .size:           8
        .value_kind:     by_value
      - .address_space:  global
        .offset:         48
        .size:           8
        .value_kind:     global_buffer
      - .offset:         56
        .size:           8
        .value_kind:     by_value
      - .offset:         64
        .size:           8
        .value_kind:     by_value
      - .offset:         72
        .size:           8
        .value_kind:     by_value
      - .offset:         80
        .size:           4
        .value_kind:     by_value
    .group_segment_fixed_size: 0
    .kernarg_segment_align: 8
    .kernarg_segment_size: 84
    .language:       OpenCL C
    .language_version:
      - 2
      - 0
    .max_flat_workgroup_size: 1024
    .name:           _ZN12_GLOBAL__N_120gemm_ex_scale_kernelILi32ELi32EDF16_PKDF16_PDF16_EEviiT1_T2_lllT3_llli
    .private_segment_fixed_size: 0
    .sgpr_count:     30
    .sgpr_spill_count: 0
    .symbol:         _ZN12_GLOBAL__N_120gemm_ex_scale_kernelILi32ELi32EDF16_PKDF16_PDF16_EEviiT1_T2_lllT3_llli.kd
    .uniform_work_group_size: 1
    .uses_dynamic_stack: false
    .vgpr_count:     8
    .vgpr_spill_count: 0
    .wavefront_size: 32
    .workgroup_processor_mode: 1
  - .args:
      - .offset:         0
        .size:           8
        .value_kind:     by_value
      - .offset:         8
        .size:           8
        .value_kind:     by_value
      - .offset:         16
        .size:           8
        .value_kind:     by_value
      - .offset:         24
        .size:           2
        .value_kind:     by_value
      - .address_space:  global
        .offset:         32
        .size:           8
        .value_kind:     global_buffer
      - .offset:         40
        .size:           8
        .value_kind:     by_value
      - .offset:         48
        .size:           8
        .value_kind:     by_value
      - .address_space:  global
        .offset:         56
        .size:           8
        .value_kind:     global_buffer
      - .offset:         64
        .size:           8
        .value_kind:     by_value
      - .offset:         72
        .size:           8
        .value_kind:     by_value
      - .offset:         80
        .size:           2
        .value_kind:     by_value
      - .address_space:  global
        .offset:         88
        .size:           8
        .value_kind:     global_buffer
      - .offset:         96
        .size:           8
        .value_kind:     by_value
      - .offset:         104
        .size:           8
        .value_kind:     by_value
      - .address_space:  global
        .offset:         112
        .size:           8
        .value_kind:     global_buffer
      - .offset:         120
        .size:           8
        .value_kind:     by_value
      - .offset:         128
        .size:           8
        .value_kind:     by_value
      - .offset:         136
        .size:           4
        .value_kind:     by_value
    .group_segment_fixed_size: 1024
    .kernarg_segment_align: 8
    .kernarg_segment_size: 140
    .language:       OpenCL C
    .language_version:
      - 2
      - 0
    .max_flat_workgroup_size: 256
    .name:           _ZN12_GLOBAL__N_127rocblas_gemm_batched_kernelIDF16_Li16ELi16ELi64ELi64ELi4ELi64ELi4ELi4ELi64ELc78ELc78EKDF16_S1_DF16_EEvlllT_PT11_llS4_llS2_PT12_llPT13_lli
    .private_segment_fixed_size: 0
    .sgpr_count:     26
    .sgpr_spill_count: 0
    .symbol:         _ZN12_GLOBAL__N_127rocblas_gemm_batched_kernelIDF16_Li16ELi16ELi64ELi64ELi4ELi64ELi4ELi4ELi64ELc78ELc78EKDF16_S1_DF16_EEvlllT_PT11_llS4_llS2_PT12_llPT13_lli.kd
    .uniform_work_group_size: 1
    .uses_dynamic_stack: false
    .vgpr_count:     36
    .vgpr_spill_count: 0
    .wavefront_size: 32
    .workgroup_processor_mode: 1
  - .args:
      - .offset:         0
        .size:           8
        .value_kind:     by_value
      - .offset:         8
        .size:           8
        .value_kind:     by_value
      - .offset:         16
        .size:           8
        .value_kind:     by_value
      - .offset:         24
        .size:           2
        .value_kind:     by_value
      - .address_space:  global
        .offset:         32
        .size:           8
        .value_kind:     global_buffer
      - .offset:         40
        .size:           8
        .value_kind:     by_value
      - .offset:         48
        .size:           8
        .value_kind:     by_value
      - .address_space:  global
        .offset:         56
        .size:           8
        .value_kind:     global_buffer
      - .offset:         64
        .size:           8
        .value_kind:     by_value
      - .offset:         72
        .size:           8
        .value_kind:     by_value
      - .offset:         80
        .size:           2
        .value_kind:     by_value
      - .address_space:  global
        .offset:         88
        .size:           8
        .value_kind:     global_buffer
      - .offset:         96
        .size:           8
        .value_kind:     by_value
      - .offset:         104
        .size:           8
        .value_kind:     by_value
      - .address_space:  global
        .offset:         112
        .size:           8
        .value_kind:     global_buffer
      - .offset:         120
        .size:           8
        .value_kind:     by_value
      - .offset:         128
        .size:           8
        .value_kind:     by_value
      - .offset:         136
        .size:           4
        .value_kind:     by_value
    .group_segment_fixed_size: 1024
    .kernarg_segment_align: 8
    .kernarg_segment_size: 140
    .language:       OpenCL C
    .language_version:
      - 2
      - 0
    .max_flat_workgroup_size: 256
    .name:           _ZN12_GLOBAL__N_127rocblas_gemm_batched_kernelIDF16_Li16ELi16ELi64ELi64ELi4ELi64ELi4ELi4ELi64ELc84ELc78EKDF16_S1_DF16_EEvlllT_PT11_llS4_llS2_PT12_llPT13_lli
    .private_segment_fixed_size: 0
    .sgpr_count:     26
    .sgpr_spill_count: 0
    .symbol:         _ZN12_GLOBAL__N_127rocblas_gemm_batched_kernelIDF16_Li16ELi16ELi64ELi64ELi4ELi64ELi4ELi4ELi64ELc84ELc78EKDF16_S1_DF16_EEvlllT_PT11_llS4_llS2_PT12_llPT13_lli.kd
    .uniform_work_group_size: 1
    .uses_dynamic_stack: false
    .vgpr_count:     36
    .vgpr_spill_count: 0
    .wavefront_size: 32
    .workgroup_processor_mode: 1
  - .args:
      - .offset:         0
        .size:           8
        .value_kind:     by_value
      - .offset:         8
        .size:           8
        .value_kind:     by_value
      - .offset:         16
        .size:           8
        .value_kind:     by_value
      - .offset:         24
        .size:           2
        .value_kind:     by_value
      - .address_space:  global
        .offset:         32
        .size:           8
        .value_kind:     global_buffer
      - .offset:         40
        .size:           8
        .value_kind:     by_value
      - .offset:         48
        .size:           8
        .value_kind:     by_value
      - .address_space:  global
        .offset:         56
        .size:           8
        .value_kind:     global_buffer
      - .offset:         64
        .size:           8
        .value_kind:     by_value
      - .offset:         72
        .size:           8
        .value_kind:     by_value
      - .offset:         80
        .size:           2
        .value_kind:     by_value
      - .address_space:  global
        .offset:         88
        .size:           8
        .value_kind:     global_buffer
      - .offset:         96
        .size:           8
        .value_kind:     by_value
      - .offset:         104
        .size:           8
        .value_kind:     by_value
      - .address_space:  global
        .offset:         112
        .size:           8
        .value_kind:     global_buffer
      - .offset:         120
        .size:           8
        .value_kind:     by_value
      - .offset:         128
        .size:           8
        .value_kind:     by_value
      - .offset:         136
        .size:           4
        .value_kind:     by_value
    .group_segment_fixed_size: 1024
    .kernarg_segment_align: 8
    .kernarg_segment_size: 140
    .language:       OpenCL C
    .language_version:
      - 2
      - 0
    .max_flat_workgroup_size: 256
    .name:           _ZN12_GLOBAL__N_127rocblas_gemm_batched_kernelIDF16_Li16ELi16ELi64ELi64ELi4ELi64ELi4ELi4ELi64ELc78ELc84EKDF16_S1_DF16_EEvlllT_PT11_llS4_llS2_PT12_llPT13_lli
    .private_segment_fixed_size: 0
    .sgpr_count:     26
    .sgpr_spill_count: 0
    .symbol:         _ZN12_GLOBAL__N_127rocblas_gemm_batched_kernelIDF16_Li16ELi16ELi64ELi64ELi4ELi64ELi4ELi4ELi64ELc78ELc84EKDF16_S1_DF16_EEvlllT_PT11_llS4_llS2_PT12_llPT13_lli.kd
    .uniform_work_group_size: 1
    .uses_dynamic_stack: false
    .vgpr_count:     36
    .vgpr_spill_count: 0
    .wavefront_size: 32
    .workgroup_processor_mode: 1
  - .args:
      - .offset:         0
        .size:           8
        .value_kind:     by_value
      - .offset:         8
        .size:           8
        .value_kind:     by_value
      - .offset:         16
        .size:           8
        .value_kind:     by_value
      - .offset:         24
        .size:           2
        .value_kind:     by_value
      - .address_space:  global
        .offset:         32
        .size:           8
        .value_kind:     global_buffer
      - .offset:         40
        .size:           8
        .value_kind:     by_value
      - .offset:         48
        .size:           8
        .value_kind:     by_value
      - .address_space:  global
        .offset:         56
        .size:           8
        .value_kind:     global_buffer
      - .offset:         64
        .size:           8
        .value_kind:     by_value
      - .offset:         72
        .size:           8
        .value_kind:     by_value
      - .offset:         80
        .size:           2
        .value_kind:     by_value
      - .address_space:  global
        .offset:         88
        .size:           8
        .value_kind:     global_buffer
      - .offset:         96
        .size:           8
        .value_kind:     by_value
      - .offset:         104
        .size:           8
        .value_kind:     by_value
      - .address_space:  global
        .offset:         112
        .size:           8
        .value_kind:     global_buffer
      - .offset:         120
        .size:           8
        .value_kind:     by_value
      - .offset:         128
        .size:           8
        .value_kind:     by_value
      - .offset:         136
        .size:           4
        .value_kind:     by_value
    .group_segment_fixed_size: 1024
    .kernarg_segment_align: 8
    .kernarg_segment_size: 140
    .language:       OpenCL C
    .language_version:
      - 2
      - 0
    .max_flat_workgroup_size: 256
    .name:           _ZN12_GLOBAL__N_127rocblas_gemm_batched_kernelIDF16_Li16ELi16ELi64ELi64ELi4ELi64ELi4ELi4ELi64ELc84ELc84EKDF16_S1_DF16_EEvlllT_PT11_llS4_llS2_PT12_llPT13_lli
    .private_segment_fixed_size: 0
    .sgpr_count:     26
    .sgpr_spill_count: 0
    .symbol:         _ZN12_GLOBAL__N_127rocblas_gemm_batched_kernelIDF16_Li16ELi16ELi64ELi64ELi4ELi64ELi4ELi4ELi64ELc84ELc84EKDF16_S1_DF16_EEvlllT_PT11_llS4_llS2_PT12_llPT13_lli.kd
    .uniform_work_group_size: 1
    .uses_dynamic_stack: false
    .vgpr_count:     36
    .vgpr_spill_count: 0
    .wavefront_size: 32
    .workgroup_processor_mode: 1
  - .args:
      - .offset:         0
        .size:           8
        .value_kind:     by_value
      - .offset:         8
        .size:           8
        .value_kind:     by_value
      - .offset:         16
        .size:           8
        .value_kind:     by_value
      - .offset:         24
        .size:           2
        .value_kind:     by_value
      - .address_space:  global
        .offset:         32
        .size:           8
        .value_kind:     global_buffer
      - .offset:         40
        .size:           8
        .value_kind:     by_value
      - .offset:         48
        .size:           8
        .value_kind:     by_value
      - .address_space:  global
        .offset:         56
        .size:           8
        .value_kind:     global_buffer
      - .offset:         64
        .size:           8
        .value_kind:     by_value
      - .offset:         72
        .size:           8
        .value_kind:     by_value
      - .offset:         80
        .size:           2
        .value_kind:     by_value
      - .address_space:  global
        .offset:         88
        .size:           8
        .value_kind:     global_buffer
      - .offset:         96
        .size:           8
        .value_kind:     by_value
      - .offset:         104
        .size:           8
        .value_kind:     by_value
      - .address_space:  global
        .offset:         112
        .size:           8
        .value_kind:     global_buffer
      - .offset:         120
        .size:           8
        .value_kind:     by_value
      - .offset:         128
        .size:           8
        .value_kind:     by_value
      - .offset:         136
        .size:           4
        .value_kind:     by_value
    .group_segment_fixed_size: 1024
    .kernarg_segment_align: 8
    .kernarg_segment_size: 140
    .language:       OpenCL C
    .language_version:
      - 2
      - 0
    .max_flat_workgroup_size: 256
    .name:           _ZN12_GLOBAL__N_127rocblas_gemm_batched_kernelIDF16_Li16ELi16ELi64ELi64ELi4ELi64ELi4ELi4ELi64ELc67ELc67EKDF16_S1_DF16_EEvlllT_PT11_llS4_llS2_PT12_llPT13_lli
    .private_segment_fixed_size: 0
    .sgpr_count:     26
    .sgpr_spill_count: 0
    .symbol:         _ZN12_GLOBAL__N_127rocblas_gemm_batched_kernelIDF16_Li16ELi16ELi64ELi64ELi4ELi64ELi4ELi4ELi64ELc67ELc67EKDF16_S1_DF16_EEvlllT_PT11_llS4_llS2_PT12_llPT13_lli.kd
    .uniform_work_group_size: 1
    .uses_dynamic_stack: false
    .vgpr_count:     36
    .vgpr_spill_count: 0
    .wavefront_size: 32
    .workgroup_processor_mode: 1
  - .args:
      - .offset:         0
        .size:           8
        .value_kind:     by_value
      - .offset:         8
        .size:           8
        .value_kind:     by_value
      - .offset:         16
        .size:           8
        .value_kind:     by_value
      - .offset:         24
        .size:           2
        .value_kind:     by_value
      - .address_space:  global
        .offset:         32
        .size:           8
        .value_kind:     global_buffer
      - .offset:         40
        .size:           8
        .value_kind:     by_value
      - .offset:         48
        .size:           8
        .value_kind:     by_value
      - .address_space:  global
        .offset:         56
        .size:           8
        .value_kind:     global_buffer
      - .offset:         64
        .size:           8
        .value_kind:     by_value
      - .offset:         72
        .size:           8
        .value_kind:     by_value
      - .offset:         80
        .size:           2
        .value_kind:     by_value
      - .address_space:  global
        .offset:         88
        .size:           8
        .value_kind:     global_buffer
      - .offset:         96
        .size:           8
        .value_kind:     by_value
      - .offset:         104
        .size:           8
        .value_kind:     by_value
      - .address_space:  global
        .offset:         112
        .size:           8
        .value_kind:     global_buffer
      - .offset:         120
        .size:           8
        .value_kind:     by_value
      - .offset:         128
        .size:           8
        .value_kind:     by_value
      - .offset:         136
        .size:           4
        .value_kind:     by_value
    .group_segment_fixed_size: 1024
    .kernarg_segment_align: 8
    .kernarg_segment_size: 140
    .language:       OpenCL C
    .language_version:
      - 2
      - 0
    .max_flat_workgroup_size: 256
    .name:           _ZN12_GLOBAL__N_127rocblas_gemm_batched_kernelIDF16_Li16ELi16ELi64ELi64ELi4ELi64ELi4ELi4ELi64ELc67ELc78EKDF16_S1_DF16_EEvlllT_PT11_llS4_llS2_PT12_llPT13_lli
    .private_segment_fixed_size: 0
    .sgpr_count:     26
    .sgpr_spill_count: 0
    .symbol:         _ZN12_GLOBAL__N_127rocblas_gemm_batched_kernelIDF16_Li16ELi16ELi64ELi64ELi4ELi64ELi4ELi4ELi64ELc67ELc78EKDF16_S1_DF16_EEvlllT_PT11_llS4_llS2_PT12_llPT13_lli.kd
    .uniform_work_group_size: 1
    .uses_dynamic_stack: false
    .vgpr_count:     36
    .vgpr_spill_count: 0
    .wavefront_size: 32
    .workgroup_processor_mode: 1
  - .args:
      - .offset:         0
        .size:           8
        .value_kind:     by_value
      - .offset:         8
        .size:           8
        .value_kind:     by_value
      - .offset:         16
        .size:           8
        .value_kind:     by_value
      - .offset:         24
        .size:           2
        .value_kind:     by_value
      - .address_space:  global
        .offset:         32
        .size:           8
        .value_kind:     global_buffer
      - .offset:         40
        .size:           8
        .value_kind:     by_value
      - .offset:         48
        .size:           8
        .value_kind:     by_value
      - .address_space:  global
        .offset:         56
        .size:           8
        .value_kind:     global_buffer
      - .offset:         64
        .size:           8
        .value_kind:     by_value
      - .offset:         72
        .size:           8
        .value_kind:     by_value
      - .offset:         80
        .size:           2
        .value_kind:     by_value
      - .address_space:  global
        .offset:         88
        .size:           8
        .value_kind:     global_buffer
      - .offset:         96
        .size:           8
        .value_kind:     by_value
      - .offset:         104
        .size:           8
        .value_kind:     by_value
      - .address_space:  global
        .offset:         112
        .size:           8
        .value_kind:     global_buffer
      - .offset:         120
        .size:           8
        .value_kind:     by_value
      - .offset:         128
        .size:           8
        .value_kind:     by_value
      - .offset:         136
        .size:           4
        .value_kind:     by_value
    .group_segment_fixed_size: 1024
    .kernarg_segment_align: 8
    .kernarg_segment_size: 140
    .language:       OpenCL C
    .language_version:
      - 2
      - 0
    .max_flat_workgroup_size: 256
    .name:           _ZN12_GLOBAL__N_127rocblas_gemm_batched_kernelIDF16_Li16ELi16ELi64ELi64ELi4ELi64ELi4ELi4ELi64ELc67ELc84EKDF16_S1_DF16_EEvlllT_PT11_llS4_llS2_PT12_llPT13_lli
    .private_segment_fixed_size: 0
    .sgpr_count:     26
    .sgpr_spill_count: 0
    .symbol:         _ZN12_GLOBAL__N_127rocblas_gemm_batched_kernelIDF16_Li16ELi16ELi64ELi64ELi4ELi64ELi4ELi4ELi64ELc67ELc84EKDF16_S1_DF16_EEvlllT_PT11_llS4_llS2_PT12_llPT13_lli.kd
    .uniform_work_group_size: 1
    .uses_dynamic_stack: false
    .vgpr_count:     36
    .vgpr_spill_count: 0
    .wavefront_size: 32
    .workgroup_processor_mode: 1
  - .args:
      - .offset:         0
        .size:           8
        .value_kind:     by_value
      - .offset:         8
        .size:           8
        .value_kind:     by_value
      - .offset:         16
        .size:           8
        .value_kind:     by_value
      - .offset:         24
        .size:           2
        .value_kind:     by_value
      - .address_space:  global
        .offset:         32
        .size:           8
        .value_kind:     global_buffer
      - .offset:         40
        .size:           8
        .value_kind:     by_value
      - .offset:         48
        .size:           8
        .value_kind:     by_value
      - .address_space:  global
        .offset:         56
        .size:           8
        .value_kind:     global_buffer
      - .offset:         64
        .size:           8
        .value_kind:     by_value
      - .offset:         72
        .size:           8
        .value_kind:     by_value
      - .offset:         80
        .size:           2
        .value_kind:     by_value
      - .address_space:  global
        .offset:         88
        .size:           8
        .value_kind:     global_buffer
      - .offset:         96
        .size:           8
        .value_kind:     by_value
      - .offset:         104
        .size:           8
        .value_kind:     by_value
      - .address_space:  global
        .offset:         112
        .size:           8
        .value_kind:     global_buffer
      - .offset:         120
        .size:           8
        .value_kind:     by_value
      - .offset:         128
        .size:           8
        .value_kind:     by_value
      - .offset:         136
        .size:           4
        .value_kind:     by_value
    .group_segment_fixed_size: 1024
    .kernarg_segment_align: 8
    .kernarg_segment_size: 140
    .language:       OpenCL C
    .language_version:
      - 2
      - 0
    .max_flat_workgroup_size: 256
    .name:           _ZN12_GLOBAL__N_127rocblas_gemm_batched_kernelIDF16_Li16ELi16ELi64ELi64ELi4ELi64ELi4ELi4ELi64ELc78ELc67EKDF16_S1_DF16_EEvlllT_PT11_llS4_llS2_PT12_llPT13_lli
    .private_segment_fixed_size: 0
    .sgpr_count:     26
    .sgpr_spill_count: 0
    .symbol:         _ZN12_GLOBAL__N_127rocblas_gemm_batched_kernelIDF16_Li16ELi16ELi64ELi64ELi4ELi64ELi4ELi4ELi64ELc78ELc67EKDF16_S1_DF16_EEvlllT_PT11_llS4_llS2_PT12_llPT13_lli.kd
    .uniform_work_group_size: 1
    .uses_dynamic_stack: false
    .vgpr_count:     36
    .vgpr_spill_count: 0
    .wavefront_size: 32
    .workgroup_processor_mode: 1
  - .args:
      - .offset:         0
        .size:           8
        .value_kind:     by_value
      - .offset:         8
        .size:           8
        .value_kind:     by_value
      - .offset:         16
        .size:           8
        .value_kind:     by_value
      - .offset:         24
        .size:           2
        .value_kind:     by_value
      - .address_space:  global
        .offset:         32
        .size:           8
        .value_kind:     global_buffer
      - .offset:         40
        .size:           8
        .value_kind:     by_value
      - .offset:         48
        .size:           8
        .value_kind:     by_value
      - .address_space:  global
        .offset:         56
        .size:           8
        .value_kind:     global_buffer
      - .offset:         64
        .size:           8
        .value_kind:     by_value
      - .offset:         72
        .size:           8
        .value_kind:     by_value
      - .offset:         80
        .size:           2
        .value_kind:     by_value
      - .address_space:  global
        .offset:         88
        .size:           8
        .value_kind:     global_buffer
      - .offset:         96
        .size:           8
        .value_kind:     by_value
      - .offset:         104
        .size:           8
        .value_kind:     by_value
      - .address_space:  global
        .offset:         112
        .size:           8
        .value_kind:     global_buffer
      - .offset:         120
        .size:           8
        .value_kind:     by_value
      - .offset:         128
        .size:           8
        .value_kind:     by_value
      - .offset:         136
        .size:           4
        .value_kind:     by_value
    .group_segment_fixed_size: 1024
    .kernarg_segment_align: 8
    .kernarg_segment_size: 140
    .language:       OpenCL C
    .language_version:
      - 2
      - 0
    .max_flat_workgroup_size: 256
    .name:           _ZN12_GLOBAL__N_127rocblas_gemm_batched_kernelIDF16_Li16ELi16ELi64ELi64ELi4ELi64ELi4ELi4ELi64ELc84ELc67EKDF16_S1_DF16_EEvlllT_PT11_llS4_llS2_PT12_llPT13_lli
    .private_segment_fixed_size: 0
    .sgpr_count:     26
    .sgpr_spill_count: 0
    .symbol:         _ZN12_GLOBAL__N_127rocblas_gemm_batched_kernelIDF16_Li16ELi16ELi64ELi64ELi4ELi64ELi4ELi4ELi64ELc84ELc67EKDF16_S1_DF16_EEvlllT_PT11_llS4_llS2_PT12_llPT13_lli.kd
    .uniform_work_group_size: 1
    .uses_dynamic_stack: false
    .vgpr_count:     36
    .vgpr_spill_count: 0
    .wavefront_size: 32
    .workgroup_processor_mode: 1
  - .args:
      - .offset:         0
        .size:           8
        .value_kind:     by_value
      - .offset:         8
        .size:           8
        .value_kind:     by_value
      - .offset:         16
        .size:           8
        .value_kind:     by_value
      - .offset:         24
        .size:           2
        .value_kind:     by_value
      - .address_space:  global
        .offset:         32
        .size:           8
        .value_kind:     global_buffer
      - .offset:         40
        .size:           8
        .value_kind:     by_value
      - .offset:         48
        .size:           8
        .value_kind:     by_value
      - .address_space:  global
        .offset:         56
        .size:           8
        .value_kind:     global_buffer
      - .offset:         64
        .size:           8
        .value_kind:     by_value
      - .offset:         72
        .size:           8
        .value_kind:     by_value
      - .offset:         80
        .size:           2
        .value_kind:     by_value
      - .address_space:  global
        .offset:         88
        .size:           8
        .value_kind:     global_buffer
      - .offset:         96
        .size:           8
        .value_kind:     by_value
      - .offset:         104
        .size:           8
        .value_kind:     by_value
      - .address_space:  global
        .offset:         112
        .size:           8
        .value_kind:     global_buffer
      - .offset:         120
        .size:           8
        .value_kind:     by_value
      - .offset:         128
        .size:           8
        .value_kind:     by_value
      - .offset:         136
        .size:           4
        .value_kind:     by_value
    .group_segment_fixed_size: 1024
    .kernarg_segment_align: 8
    .kernarg_segment_size: 140
    .language:       OpenCL C
    .language_version:
      - 2
      - 0
    .max_flat_workgroup_size: 256
    .name:           _ZN12_GLOBAL__N_127rocblas_gemm_batched_kernelIDF16_Li16ELi16ELi32ELi32ELi8ELi32ELi8ELi8ELi32ELc78ELc78EKDF16_S1_DF16_EEvlllT_PT11_llS4_llS2_PT12_llPT13_lli
    .private_segment_fixed_size: 0
    .sgpr_count:     24
    .sgpr_spill_count: 0
    .symbol:         _ZN12_GLOBAL__N_127rocblas_gemm_batched_kernelIDF16_Li16ELi16ELi32ELi32ELi8ELi32ELi8ELi8ELi32ELc78ELc78EKDF16_S1_DF16_EEvlllT_PT11_llS4_llS2_PT12_llPT13_lli.kd
    .uniform_work_group_size: 1
    .uses_dynamic_stack: false
    .vgpr_count:     28
    .vgpr_spill_count: 0
    .wavefront_size: 32
    .workgroup_processor_mode: 1
  - .args:
      - .offset:         0
        .size:           8
        .value_kind:     by_value
      - .offset:         8
        .size:           8
        .value_kind:     by_value
      - .offset:         16
        .size:           8
        .value_kind:     by_value
      - .offset:         24
        .size:           2
        .value_kind:     by_value
      - .address_space:  global
        .offset:         32
        .size:           8
        .value_kind:     global_buffer
      - .offset:         40
        .size:           8
        .value_kind:     by_value
      - .offset:         48
        .size:           8
        .value_kind:     by_value
      - .address_space:  global
        .offset:         56
        .size:           8
        .value_kind:     global_buffer
      - .offset:         64
        .size:           8
        .value_kind:     by_value
      - .offset:         72
        .size:           8
        .value_kind:     by_value
      - .offset:         80
        .size:           2
        .value_kind:     by_value
      - .address_space:  global
        .offset:         88
        .size:           8
        .value_kind:     global_buffer
      - .offset:         96
        .size:           8
        .value_kind:     by_value
      - .offset:         104
        .size:           8
        .value_kind:     by_value
      - .address_space:  global
        .offset:         112
        .size:           8
        .value_kind:     global_buffer
      - .offset:         120
        .size:           8
        .value_kind:     by_value
      - .offset:         128
        .size:           8
        .value_kind:     by_value
      - .offset:         136
        .size:           4
        .value_kind:     by_value
    .group_segment_fixed_size: 1024
    .kernarg_segment_align: 8
    .kernarg_segment_size: 140
    .language:       OpenCL C
    .language_version:
      - 2
      - 0
    .max_flat_workgroup_size: 256
    .name:           _ZN12_GLOBAL__N_127rocblas_gemm_batched_kernelIDF16_Li16ELi16ELi32ELi32ELi8ELi32ELi8ELi8ELi32ELc84ELc78EKDF16_S1_DF16_EEvlllT_PT11_llS4_llS2_PT12_llPT13_lli
    .private_segment_fixed_size: 0
    .sgpr_count:     24
    .sgpr_spill_count: 0
    .symbol:         _ZN12_GLOBAL__N_127rocblas_gemm_batched_kernelIDF16_Li16ELi16ELi32ELi32ELi8ELi32ELi8ELi8ELi32ELc84ELc78EKDF16_S1_DF16_EEvlllT_PT11_llS4_llS2_PT12_llPT13_lli.kd
    .uniform_work_group_size: 1
    .uses_dynamic_stack: false
    .vgpr_count:     28
    .vgpr_spill_count: 0
    .wavefront_size: 32
    .workgroup_processor_mode: 1
  - .args:
      - .offset:         0
        .size:           8
        .value_kind:     by_value
      - .offset:         8
        .size:           8
        .value_kind:     by_value
      - .offset:         16
        .size:           8
        .value_kind:     by_value
      - .offset:         24
        .size:           2
        .value_kind:     by_value
      - .address_space:  global
        .offset:         32
        .size:           8
        .value_kind:     global_buffer
      - .offset:         40
        .size:           8
        .value_kind:     by_value
      - .offset:         48
        .size:           8
        .value_kind:     by_value
      - .address_space:  global
        .offset:         56
        .size:           8
        .value_kind:     global_buffer
      - .offset:         64
        .size:           8
        .value_kind:     by_value
      - .offset:         72
        .size:           8
        .value_kind:     by_value
      - .offset:         80
        .size:           2
        .value_kind:     by_value
      - .address_space:  global
        .offset:         88
        .size:           8
        .value_kind:     global_buffer
      - .offset:         96
        .size:           8
        .value_kind:     by_value
      - .offset:         104
        .size:           8
        .value_kind:     by_value
      - .address_space:  global
        .offset:         112
        .size:           8
        .value_kind:     global_buffer
      - .offset:         120
        .size:           8
        .value_kind:     by_value
      - .offset:         128
        .size:           8
        .value_kind:     by_value
      - .offset:         136
        .size:           4
        .value_kind:     by_value
    .group_segment_fixed_size: 1024
    .kernarg_segment_align: 8
    .kernarg_segment_size: 140
    .language:       OpenCL C
    .language_version:
      - 2
      - 0
    .max_flat_workgroup_size: 256
    .name:           _ZN12_GLOBAL__N_127rocblas_gemm_batched_kernelIDF16_Li16ELi16ELi32ELi32ELi8ELi32ELi8ELi8ELi32ELc78ELc84EKDF16_S1_DF16_EEvlllT_PT11_llS4_llS2_PT12_llPT13_lli
    .private_segment_fixed_size: 0
    .sgpr_count:     24
    .sgpr_spill_count: 0
    .symbol:         _ZN12_GLOBAL__N_127rocblas_gemm_batched_kernelIDF16_Li16ELi16ELi32ELi32ELi8ELi32ELi8ELi8ELi32ELc78ELc84EKDF16_S1_DF16_EEvlllT_PT11_llS4_llS2_PT12_llPT13_lli.kd
    .uniform_work_group_size: 1
    .uses_dynamic_stack: false
    .vgpr_count:     28
    .vgpr_spill_count: 0
    .wavefront_size: 32
    .workgroup_processor_mode: 1
  - .args:
      - .offset:         0
        .size:           8
        .value_kind:     by_value
      - .offset:         8
        .size:           8
        .value_kind:     by_value
      - .offset:         16
        .size:           8
        .value_kind:     by_value
      - .offset:         24
        .size:           2
        .value_kind:     by_value
      - .address_space:  global
        .offset:         32
        .size:           8
        .value_kind:     global_buffer
      - .offset:         40
        .size:           8
        .value_kind:     by_value
      - .offset:         48
        .size:           8
        .value_kind:     by_value
      - .address_space:  global
        .offset:         56
        .size:           8
        .value_kind:     global_buffer
      - .offset:         64
        .size:           8
        .value_kind:     by_value
      - .offset:         72
        .size:           8
        .value_kind:     by_value
      - .offset:         80
        .size:           2
        .value_kind:     by_value
      - .address_space:  global
        .offset:         88
        .size:           8
        .value_kind:     global_buffer
      - .offset:         96
        .size:           8
        .value_kind:     by_value
      - .offset:         104
        .size:           8
        .value_kind:     by_value
      - .address_space:  global
        .offset:         112
        .size:           8
        .value_kind:     global_buffer
      - .offset:         120
        .size:           8
        .value_kind:     by_value
      - .offset:         128
        .size:           8
        .value_kind:     by_value
      - .offset:         136
        .size:           4
        .value_kind:     by_value
    .group_segment_fixed_size: 1024
    .kernarg_segment_align: 8
    .kernarg_segment_size: 140
    .language:       OpenCL C
    .language_version:
      - 2
      - 0
    .max_flat_workgroup_size: 256
    .name:           _ZN12_GLOBAL__N_127rocblas_gemm_batched_kernelIDF16_Li16ELi16ELi32ELi32ELi8ELi32ELi8ELi8ELi32ELc84ELc84EKDF16_S1_DF16_EEvlllT_PT11_llS4_llS2_PT12_llPT13_lli
    .private_segment_fixed_size: 0
    .sgpr_count:     24
    .sgpr_spill_count: 0
    .symbol:         _ZN12_GLOBAL__N_127rocblas_gemm_batched_kernelIDF16_Li16ELi16ELi32ELi32ELi8ELi32ELi8ELi8ELi32ELc84ELc84EKDF16_S1_DF16_EEvlllT_PT11_llS4_llS2_PT12_llPT13_lli.kd
    .uniform_work_group_size: 1
    .uses_dynamic_stack: false
    .vgpr_count:     28
    .vgpr_spill_count: 0
    .wavefront_size: 32
    .workgroup_processor_mode: 1
  - .args:
      - .offset:         0
        .size:           8
        .value_kind:     by_value
      - .offset:         8
        .size:           8
        .value_kind:     by_value
      - .offset:         16
        .size:           8
        .value_kind:     by_value
      - .offset:         24
        .size:           2
        .value_kind:     by_value
      - .address_space:  global
        .offset:         32
        .size:           8
        .value_kind:     global_buffer
      - .offset:         40
        .size:           8
        .value_kind:     by_value
      - .offset:         48
        .size:           8
        .value_kind:     by_value
      - .address_space:  global
        .offset:         56
        .size:           8
        .value_kind:     global_buffer
      - .offset:         64
        .size:           8
        .value_kind:     by_value
      - .offset:         72
        .size:           8
        .value_kind:     by_value
      - .offset:         80
        .size:           2
        .value_kind:     by_value
      - .address_space:  global
        .offset:         88
        .size:           8
        .value_kind:     global_buffer
      - .offset:         96
        .size:           8
        .value_kind:     by_value
      - .offset:         104
        .size:           8
        .value_kind:     by_value
      - .address_space:  global
        .offset:         112
        .size:           8
        .value_kind:     global_buffer
      - .offset:         120
        .size:           8
        .value_kind:     by_value
      - .offset:         128
        .size:           8
        .value_kind:     by_value
      - .offset:         136
        .size:           4
        .value_kind:     by_value
    .group_segment_fixed_size: 1024
    .kernarg_segment_align: 8
    .kernarg_segment_size: 140
    .language:       OpenCL C
    .language_version:
      - 2
      - 0
    .max_flat_workgroup_size: 256
    .name:           _ZN12_GLOBAL__N_127rocblas_gemm_batched_kernelIDF16_Li16ELi16ELi32ELi32ELi8ELi32ELi8ELi8ELi32ELc67ELc67EKDF16_S1_DF16_EEvlllT_PT11_llS4_llS2_PT12_llPT13_lli
    .private_segment_fixed_size: 0
    .sgpr_count:     24
    .sgpr_spill_count: 0
    .symbol:         _ZN12_GLOBAL__N_127rocblas_gemm_batched_kernelIDF16_Li16ELi16ELi32ELi32ELi8ELi32ELi8ELi8ELi32ELc67ELc67EKDF16_S1_DF16_EEvlllT_PT11_llS4_llS2_PT12_llPT13_lli.kd
    .uniform_work_group_size: 1
    .uses_dynamic_stack: false
    .vgpr_count:     28
    .vgpr_spill_count: 0
    .wavefront_size: 32
    .workgroup_processor_mode: 1
  - .args:
      - .offset:         0
        .size:           8
        .value_kind:     by_value
      - .offset:         8
        .size:           8
        .value_kind:     by_value
      - .offset:         16
        .size:           8
        .value_kind:     by_value
      - .offset:         24
        .size:           2
        .value_kind:     by_value
      - .address_space:  global
        .offset:         32
        .size:           8
        .value_kind:     global_buffer
      - .offset:         40
        .size:           8
        .value_kind:     by_value
      - .offset:         48
        .size:           8
        .value_kind:     by_value
      - .address_space:  global
        .offset:         56
        .size:           8
        .value_kind:     global_buffer
      - .offset:         64
        .size:           8
        .value_kind:     by_value
      - .offset:         72
        .size:           8
        .value_kind:     by_value
      - .offset:         80
        .size:           2
        .value_kind:     by_value
      - .address_space:  global
        .offset:         88
        .size:           8
        .value_kind:     global_buffer
      - .offset:         96
        .size:           8
        .value_kind:     by_value
      - .offset:         104
        .size:           8
        .value_kind:     by_value
      - .address_space:  global
        .offset:         112
        .size:           8
        .value_kind:     global_buffer
      - .offset:         120
        .size:           8
        .value_kind:     by_value
      - .offset:         128
        .size:           8
        .value_kind:     by_value
      - .offset:         136
        .size:           4
        .value_kind:     by_value
    .group_segment_fixed_size: 1024
    .kernarg_segment_align: 8
    .kernarg_segment_size: 140
    .language:       OpenCL C
    .language_version:
      - 2
      - 0
    .max_flat_workgroup_size: 256
    .name:           _ZN12_GLOBAL__N_127rocblas_gemm_batched_kernelIDF16_Li16ELi16ELi32ELi32ELi8ELi32ELi8ELi8ELi32ELc67ELc78EKDF16_S1_DF16_EEvlllT_PT11_llS4_llS2_PT12_llPT13_lli
    .private_segment_fixed_size: 0
    .sgpr_count:     24
    .sgpr_spill_count: 0
    .symbol:         _ZN12_GLOBAL__N_127rocblas_gemm_batched_kernelIDF16_Li16ELi16ELi32ELi32ELi8ELi32ELi8ELi8ELi32ELc67ELc78EKDF16_S1_DF16_EEvlllT_PT11_llS4_llS2_PT12_llPT13_lli.kd
    .uniform_work_group_size: 1
    .uses_dynamic_stack: false
    .vgpr_count:     28
    .vgpr_spill_count: 0
    .wavefront_size: 32
    .workgroup_processor_mode: 1
  - .args:
      - .offset:         0
        .size:           8
        .value_kind:     by_value
      - .offset:         8
        .size:           8
        .value_kind:     by_value
      - .offset:         16
        .size:           8
        .value_kind:     by_value
      - .offset:         24
        .size:           2
        .value_kind:     by_value
      - .address_space:  global
        .offset:         32
        .size:           8
        .value_kind:     global_buffer
      - .offset:         40
        .size:           8
        .value_kind:     by_value
      - .offset:         48
        .size:           8
        .value_kind:     by_value
      - .address_space:  global
        .offset:         56
        .size:           8
        .value_kind:     global_buffer
      - .offset:         64
        .size:           8
        .value_kind:     by_value
      - .offset:         72
        .size:           8
        .value_kind:     by_value
      - .offset:         80
        .size:           2
        .value_kind:     by_value
      - .address_space:  global
        .offset:         88
        .size:           8
        .value_kind:     global_buffer
      - .offset:         96
        .size:           8
        .value_kind:     by_value
      - .offset:         104
        .size:           8
        .value_kind:     by_value
      - .address_space:  global
        .offset:         112
        .size:           8
        .value_kind:     global_buffer
      - .offset:         120
        .size:           8
        .value_kind:     by_value
      - .offset:         128
        .size:           8
        .value_kind:     by_value
      - .offset:         136
        .size:           4
        .value_kind:     by_value
    .group_segment_fixed_size: 1024
    .kernarg_segment_align: 8
    .kernarg_segment_size: 140
    .language:       OpenCL C
    .language_version:
      - 2
      - 0
    .max_flat_workgroup_size: 256
    .name:           _ZN12_GLOBAL__N_127rocblas_gemm_batched_kernelIDF16_Li16ELi16ELi32ELi32ELi8ELi32ELi8ELi8ELi32ELc67ELc84EKDF16_S1_DF16_EEvlllT_PT11_llS4_llS2_PT12_llPT13_lli
    .private_segment_fixed_size: 0
    .sgpr_count:     24
    .sgpr_spill_count: 0
    .symbol:         _ZN12_GLOBAL__N_127rocblas_gemm_batched_kernelIDF16_Li16ELi16ELi32ELi32ELi8ELi32ELi8ELi8ELi32ELc67ELc84EKDF16_S1_DF16_EEvlllT_PT11_llS4_llS2_PT12_llPT13_lli.kd
    .uniform_work_group_size: 1
    .uses_dynamic_stack: false
    .vgpr_count:     28
    .vgpr_spill_count: 0
    .wavefront_size: 32
    .workgroup_processor_mode: 1
  - .args:
      - .offset:         0
        .size:           8
        .value_kind:     by_value
      - .offset:         8
        .size:           8
        .value_kind:     by_value
      - .offset:         16
        .size:           8
        .value_kind:     by_value
      - .offset:         24
        .size:           2
        .value_kind:     by_value
      - .address_space:  global
        .offset:         32
        .size:           8
        .value_kind:     global_buffer
      - .offset:         40
        .size:           8
        .value_kind:     by_value
      - .offset:         48
        .size:           8
        .value_kind:     by_value
      - .address_space:  global
        .offset:         56
        .size:           8
        .value_kind:     global_buffer
      - .offset:         64
        .size:           8
        .value_kind:     by_value
      - .offset:         72
        .size:           8
        .value_kind:     by_value
      - .offset:         80
        .size:           2
        .value_kind:     by_value
      - .address_space:  global
        .offset:         88
        .size:           8
        .value_kind:     global_buffer
      - .offset:         96
        .size:           8
        .value_kind:     by_value
      - .offset:         104
        .size:           8
        .value_kind:     by_value
      - .address_space:  global
        .offset:         112
        .size:           8
        .value_kind:     global_buffer
      - .offset:         120
        .size:           8
        .value_kind:     by_value
      - .offset:         128
        .size:           8
        .value_kind:     by_value
      - .offset:         136
        .size:           4
        .value_kind:     by_value
    .group_segment_fixed_size: 1024
    .kernarg_segment_align: 8
    .kernarg_segment_size: 140
    .language:       OpenCL C
    .language_version:
      - 2
      - 0
    .max_flat_workgroup_size: 256
    .name:           _ZN12_GLOBAL__N_127rocblas_gemm_batched_kernelIDF16_Li16ELi16ELi32ELi32ELi8ELi32ELi8ELi8ELi32ELc78ELc67EKDF16_S1_DF16_EEvlllT_PT11_llS4_llS2_PT12_llPT13_lli
    .private_segment_fixed_size: 0
    .sgpr_count:     24
    .sgpr_spill_count: 0
    .symbol:         _ZN12_GLOBAL__N_127rocblas_gemm_batched_kernelIDF16_Li16ELi16ELi32ELi32ELi8ELi32ELi8ELi8ELi32ELc78ELc67EKDF16_S1_DF16_EEvlllT_PT11_llS4_llS2_PT12_llPT13_lli.kd
    .uniform_work_group_size: 1
    .uses_dynamic_stack: false
    .vgpr_count:     28
    .vgpr_spill_count: 0
    .wavefront_size: 32
    .workgroup_processor_mode: 1
  - .args:
      - .offset:         0
        .size:           8
        .value_kind:     by_value
      - .offset:         8
        .size:           8
        .value_kind:     by_value
      - .offset:         16
        .size:           8
        .value_kind:     by_value
      - .offset:         24
        .size:           2
        .value_kind:     by_value
      - .address_space:  global
        .offset:         32
        .size:           8
        .value_kind:     global_buffer
      - .offset:         40
        .size:           8
        .value_kind:     by_value
      - .offset:         48
        .size:           8
        .value_kind:     by_value
      - .address_space:  global
        .offset:         56
        .size:           8
        .value_kind:     global_buffer
      - .offset:         64
        .size:           8
        .value_kind:     by_value
      - .offset:         72
        .size:           8
        .value_kind:     by_value
      - .offset:         80
        .size:           2
        .value_kind:     by_value
      - .address_space:  global
        .offset:         88
        .size:           8
        .value_kind:     global_buffer
      - .offset:         96
        .size:           8
        .value_kind:     by_value
      - .offset:         104
        .size:           8
        .value_kind:     by_value
      - .address_space:  global
        .offset:         112
        .size:           8
        .value_kind:     global_buffer
      - .offset:         120
        .size:           8
        .value_kind:     by_value
      - .offset:         128
        .size:           8
        .value_kind:     by_value
      - .offset:         136
        .size:           4
        .value_kind:     by_value
    .group_segment_fixed_size: 1024
    .kernarg_segment_align: 8
    .kernarg_segment_size: 140
    .language:       OpenCL C
    .language_version:
      - 2
      - 0
    .max_flat_workgroup_size: 256
    .name:           _ZN12_GLOBAL__N_127rocblas_gemm_batched_kernelIDF16_Li16ELi16ELi32ELi32ELi8ELi32ELi8ELi8ELi32ELc84ELc67EKDF16_S1_DF16_EEvlllT_PT11_llS4_llS2_PT12_llPT13_lli
    .private_segment_fixed_size: 0
    .sgpr_count:     24
    .sgpr_spill_count: 0
    .symbol:         _ZN12_GLOBAL__N_127rocblas_gemm_batched_kernelIDF16_Li16ELi16ELi32ELi32ELi8ELi32ELi8ELi8ELi32ELc84ELc67EKDF16_S1_DF16_EEvlllT_PT11_llS4_llS2_PT12_llPT13_lli.kd
    .uniform_work_group_size: 1
    .uses_dynamic_stack: false
    .vgpr_count:     28
    .vgpr_spill_count: 0
    .wavefront_size: 32
    .workgroup_processor_mode: 1
  - .args:
      - .offset:         0
        .size:           8
        .value_kind:     by_value
      - .offset:         8
        .size:           8
        .value_kind:     by_value
      - .offset:         16
        .size:           8
        .value_kind:     by_value
      - .offset:         24
        .size:           2
        .value_kind:     by_value
      - .address_space:  global
        .offset:         32
        .size:           8
        .value_kind:     global_buffer
      - .offset:         40
        .size:           8
        .value_kind:     by_value
      - .offset:         48
        .size:           8
        .value_kind:     by_value
      - .address_space:  global
        .offset:         56
        .size:           8
        .value_kind:     global_buffer
      - .offset:         64
        .size:           8
        .value_kind:     by_value
      - .offset:         72
        .size:           8
        .value_kind:     by_value
      - .offset:         80
        .size:           2
        .value_kind:     by_value
      - .address_space:  global
        .offset:         88
        .size:           8
        .value_kind:     global_buffer
      - .offset:         96
        .size:           8
        .value_kind:     by_value
      - .offset:         104
        .size:           8
        .value_kind:     by_value
      - .address_space:  global
        .offset:         112
        .size:           8
        .value_kind:     global_buffer
      - .offset:         120
        .size:           8
        .value_kind:     by_value
      - .offset:         128
        .size:           8
        .value_kind:     by_value
      - .offset:         136
        .size:           4
        .value_kind:     by_value
    .group_segment_fixed_size: 1024
    .kernarg_segment_align: 8
    .kernarg_segment_size: 140
    .language:       OpenCL C
    .language_version:
      - 2
      - 0
    .max_flat_workgroup_size: 256
    .name:           _ZN12_GLOBAL__N_135rocblas_gemm_batched_general_kernelIDF16_Li16ELi16ELi32ELi32ELi8ELi32ELi8ELi8ELi32ELc78ELc78EKDF16_S1_DF16_EEvlllT_PT11_llS4_llS2_PT12_llPT13_lli
    .private_segment_fixed_size: 0
    .sgpr_count:     32
    .sgpr_spill_count: 0
    .symbol:         _ZN12_GLOBAL__N_135rocblas_gemm_batched_general_kernelIDF16_Li16ELi16ELi32ELi32ELi8ELi32ELi8ELi8ELi32ELc78ELc78EKDF16_S1_DF16_EEvlllT_PT11_llS4_llS2_PT12_llPT13_lli.kd
    .uniform_work_group_size: 1
    .uses_dynamic_stack: false
    .vgpr_count:     30
    .vgpr_spill_count: 0
    .wavefront_size: 32
    .workgroup_processor_mode: 1
  - .args:
      - .offset:         0
        .size:           8
        .value_kind:     by_value
      - .offset:         8
        .size:           8
        .value_kind:     by_value
      - .offset:         16
        .size:           8
        .value_kind:     by_value
      - .offset:         24
        .size:           2
        .value_kind:     by_value
      - .address_space:  global
        .offset:         32
        .size:           8
        .value_kind:     global_buffer
      - .offset:         40
        .size:           8
        .value_kind:     by_value
      - .offset:         48
        .size:           8
        .value_kind:     by_value
      - .address_space:  global
        .offset:         56
        .size:           8
        .value_kind:     global_buffer
      - .offset:         64
        .size:           8
        .value_kind:     by_value
      - .offset:         72
        .size:           8
        .value_kind:     by_value
      - .offset:         80
        .size:           2
        .value_kind:     by_value
      - .address_space:  global
        .offset:         88
        .size:           8
        .value_kind:     global_buffer
      - .offset:         96
        .size:           8
        .value_kind:     by_value
      - .offset:         104
        .size:           8
        .value_kind:     by_value
      - .address_space:  global
        .offset:         112
        .size:           8
        .value_kind:     global_buffer
      - .offset:         120
        .size:           8
        .value_kind:     by_value
      - .offset:         128
        .size:           8
        .value_kind:     by_value
      - .offset:         136
        .size:           4
        .value_kind:     by_value
    .group_segment_fixed_size: 1024
    .kernarg_segment_align: 8
    .kernarg_segment_size: 140
    .language:       OpenCL C
    .language_version:
      - 2
      - 0
    .max_flat_workgroup_size: 256
    .name:           _ZN12_GLOBAL__N_135rocblas_gemm_batched_general_kernelIDF16_Li16ELi16ELi32ELi32ELi8ELi32ELi8ELi8ELi32ELc84ELc78EKDF16_S1_DF16_EEvlllT_PT11_llS4_llS2_PT12_llPT13_lli
    .private_segment_fixed_size: 0
    .sgpr_count:     30
    .sgpr_spill_count: 0
    .symbol:         _ZN12_GLOBAL__N_135rocblas_gemm_batched_general_kernelIDF16_Li16ELi16ELi32ELi32ELi8ELi32ELi8ELi8ELi32ELc84ELc78EKDF16_S1_DF16_EEvlllT_PT11_llS4_llS2_PT12_llPT13_lli.kd
    .uniform_work_group_size: 1
    .uses_dynamic_stack: false
    .vgpr_count:     30
    .vgpr_spill_count: 0
    .wavefront_size: 32
    .workgroup_processor_mode: 1
  - .args:
      - .offset:         0
        .size:           8
        .value_kind:     by_value
      - .offset:         8
        .size:           8
        .value_kind:     by_value
      - .offset:         16
        .size:           8
        .value_kind:     by_value
      - .offset:         24
        .size:           2
        .value_kind:     by_value
      - .address_space:  global
        .offset:         32
        .size:           8
        .value_kind:     global_buffer
      - .offset:         40
        .size:           8
        .value_kind:     by_value
      - .offset:         48
        .size:           8
        .value_kind:     by_value
      - .address_space:  global
        .offset:         56
        .size:           8
        .value_kind:     global_buffer
      - .offset:         64
        .size:           8
        .value_kind:     by_value
      - .offset:         72
        .size:           8
        .value_kind:     by_value
      - .offset:         80
        .size:           2
        .value_kind:     by_value
      - .address_space:  global
        .offset:         88
        .size:           8
        .value_kind:     global_buffer
      - .offset:         96
        .size:           8
        .value_kind:     by_value
      - .offset:         104
        .size:           8
        .value_kind:     by_value
      - .address_space:  global
        .offset:         112
        .size:           8
        .value_kind:     global_buffer
      - .offset:         120
        .size:           8
        .value_kind:     by_value
      - .offset:         128
        .size:           8
        .value_kind:     by_value
      - .offset:         136
        .size:           4
        .value_kind:     by_value
    .group_segment_fixed_size: 1024
    .kernarg_segment_align: 8
    .kernarg_segment_size: 140
    .language:       OpenCL C
    .language_version:
      - 2
      - 0
    .max_flat_workgroup_size: 256
    .name:           _ZN12_GLOBAL__N_135rocblas_gemm_batched_general_kernelIDF16_Li16ELi16ELi32ELi32ELi8ELi32ELi8ELi8ELi32ELc78ELc84EKDF16_S1_DF16_EEvlllT_PT11_llS4_llS2_PT12_llPT13_lli
    .private_segment_fixed_size: 0
    .sgpr_count:     36
    .sgpr_spill_count: 0
    .symbol:         _ZN12_GLOBAL__N_135rocblas_gemm_batched_general_kernelIDF16_Li16ELi16ELi32ELi32ELi8ELi32ELi8ELi8ELi32ELc78ELc84EKDF16_S1_DF16_EEvlllT_PT11_llS4_llS2_PT12_llPT13_lli.kd
    .uniform_work_group_size: 1
    .uses_dynamic_stack: false
    .vgpr_count:     30
    .vgpr_spill_count: 0
    .wavefront_size: 32
    .workgroup_processor_mode: 1
  - .args:
      - .offset:         0
        .size:           8
        .value_kind:     by_value
      - .offset:         8
        .size:           8
        .value_kind:     by_value
      - .offset:         16
        .size:           8
        .value_kind:     by_value
      - .offset:         24
        .size:           2
        .value_kind:     by_value
      - .address_space:  global
        .offset:         32
        .size:           8
        .value_kind:     global_buffer
      - .offset:         40
        .size:           8
        .value_kind:     by_value
      - .offset:         48
        .size:           8
        .value_kind:     by_value
      - .address_space:  global
        .offset:         56
        .size:           8
        .value_kind:     global_buffer
      - .offset:         64
        .size:           8
        .value_kind:     by_value
      - .offset:         72
        .size:           8
        .value_kind:     by_value
      - .offset:         80
        .size:           2
        .value_kind:     by_value
      - .address_space:  global
        .offset:         88
        .size:           8
        .value_kind:     global_buffer
      - .offset:         96
        .size:           8
        .value_kind:     by_value
      - .offset:         104
        .size:           8
        .value_kind:     by_value
      - .address_space:  global
        .offset:         112
        .size:           8
        .value_kind:     global_buffer
      - .offset:         120
        .size:           8
        .value_kind:     by_value
      - .offset:         128
        .size:           8
        .value_kind:     by_value
      - .offset:         136
        .size:           4
        .value_kind:     by_value
    .group_segment_fixed_size: 1024
    .kernarg_segment_align: 8
    .kernarg_segment_size: 140
    .language:       OpenCL C
    .language_version:
      - 2
      - 0
    .max_flat_workgroup_size: 256
    .name:           _ZN12_GLOBAL__N_135rocblas_gemm_batched_general_kernelIDF16_Li16ELi16ELi32ELi32ELi8ELi32ELi8ELi8ELi32ELc84ELc84EKDF16_S1_DF16_EEvlllT_PT11_llS4_llS2_PT12_llPT13_lli
    .private_segment_fixed_size: 0
    .sgpr_count:     32
    .sgpr_spill_count: 0
    .symbol:         _ZN12_GLOBAL__N_135rocblas_gemm_batched_general_kernelIDF16_Li16ELi16ELi32ELi32ELi8ELi32ELi8ELi8ELi32ELc84ELc84EKDF16_S1_DF16_EEvlllT_PT11_llS4_llS2_PT12_llPT13_lli.kd
    .uniform_work_group_size: 1
    .uses_dynamic_stack: false
    .vgpr_count:     30
    .vgpr_spill_count: 0
    .wavefront_size: 32
    .workgroup_processor_mode: 1
  - .args:
      - .offset:         0
        .size:           8
        .value_kind:     by_value
      - .offset:         8
        .size:           8
        .value_kind:     by_value
      - .offset:         16
        .size:           8
        .value_kind:     by_value
      - .offset:         24
        .size:           2
        .value_kind:     by_value
      - .address_space:  global
        .offset:         32
        .size:           8
        .value_kind:     global_buffer
      - .offset:         40
        .size:           8
        .value_kind:     by_value
      - .offset:         48
        .size:           8
        .value_kind:     by_value
      - .address_space:  global
        .offset:         56
        .size:           8
        .value_kind:     global_buffer
      - .offset:         64
        .size:           8
        .value_kind:     by_value
      - .offset:         72
        .size:           8
        .value_kind:     by_value
      - .offset:         80
        .size:           2
        .value_kind:     by_value
      - .address_space:  global
        .offset:         88
        .size:           8
        .value_kind:     global_buffer
      - .offset:         96
        .size:           8
        .value_kind:     by_value
      - .offset:         104
        .size:           8
        .value_kind:     by_value
      - .address_space:  global
        .offset:         112
        .size:           8
        .value_kind:     global_buffer
      - .offset:         120
        .size:           8
        .value_kind:     by_value
      - .offset:         128
        .size:           8
        .value_kind:     by_value
      - .offset:         136
        .size:           4
        .value_kind:     by_value
    .group_segment_fixed_size: 1024
    .kernarg_segment_align: 8
    .kernarg_segment_size: 140
    .language:       OpenCL C
    .language_version:
      - 2
      - 0
    .max_flat_workgroup_size: 256
    .name:           _ZN12_GLOBAL__N_135rocblas_gemm_batched_general_kernelIDF16_Li16ELi16ELi32ELi32ELi8ELi32ELi8ELi8ELi32ELc67ELc67EKDF16_S1_DF16_EEvlllT_PT11_llS4_llS2_PT12_llPT13_lli
    .private_segment_fixed_size: 0
    .sgpr_count:     32
    .sgpr_spill_count: 0
    .symbol:         _ZN12_GLOBAL__N_135rocblas_gemm_batched_general_kernelIDF16_Li16ELi16ELi32ELi32ELi8ELi32ELi8ELi8ELi32ELc67ELc67EKDF16_S1_DF16_EEvlllT_PT11_llS4_llS2_PT12_llPT13_lli.kd
    .uniform_work_group_size: 1
    .uses_dynamic_stack: false
    .vgpr_count:     30
    .vgpr_spill_count: 0
    .wavefront_size: 32
    .workgroup_processor_mode: 1
  - .args:
      - .offset:         0
        .size:           8
        .value_kind:     by_value
      - .offset:         8
        .size:           8
        .value_kind:     by_value
      - .offset:         16
        .size:           8
        .value_kind:     by_value
      - .offset:         24
        .size:           2
        .value_kind:     by_value
      - .address_space:  global
        .offset:         32
        .size:           8
        .value_kind:     global_buffer
      - .offset:         40
        .size:           8
        .value_kind:     by_value
      - .offset:         48
        .size:           8
        .value_kind:     by_value
      - .address_space:  global
        .offset:         56
        .size:           8
        .value_kind:     global_buffer
      - .offset:         64
        .size:           8
        .value_kind:     by_value
      - .offset:         72
        .size:           8
        .value_kind:     by_value
      - .offset:         80
        .size:           2
        .value_kind:     by_value
      - .address_space:  global
        .offset:         88
        .size:           8
        .value_kind:     global_buffer
      - .offset:         96
        .size:           8
        .value_kind:     by_value
      - .offset:         104
        .size:           8
        .value_kind:     by_value
      - .address_space:  global
        .offset:         112
        .size:           8
        .value_kind:     global_buffer
      - .offset:         120
        .size:           8
        .value_kind:     by_value
      - .offset:         128
        .size:           8
        .value_kind:     by_value
      - .offset:         136
        .size:           4
        .value_kind:     by_value
    .group_segment_fixed_size: 1024
    .kernarg_segment_align: 8
    .kernarg_segment_size: 140
    .language:       OpenCL C
    .language_version:
      - 2
      - 0
    .max_flat_workgroup_size: 256
    .name:           _ZN12_GLOBAL__N_135rocblas_gemm_batched_general_kernelIDF16_Li16ELi16ELi32ELi32ELi8ELi32ELi8ELi8ELi32ELc67ELc78EKDF16_S1_DF16_EEvlllT_PT11_llS4_llS2_PT12_llPT13_lli
    .private_segment_fixed_size: 0
    .sgpr_count:     30
    .sgpr_spill_count: 0
    .symbol:         _ZN12_GLOBAL__N_135rocblas_gemm_batched_general_kernelIDF16_Li16ELi16ELi32ELi32ELi8ELi32ELi8ELi8ELi32ELc67ELc78EKDF16_S1_DF16_EEvlllT_PT11_llS4_llS2_PT12_llPT13_lli.kd
    .uniform_work_group_size: 1
    .uses_dynamic_stack: false
    .vgpr_count:     30
    .vgpr_spill_count: 0
    .wavefront_size: 32
    .workgroup_processor_mode: 1
  - .args:
      - .offset:         0
        .size:           8
        .value_kind:     by_value
      - .offset:         8
        .size:           8
        .value_kind:     by_value
      - .offset:         16
        .size:           8
        .value_kind:     by_value
      - .offset:         24
        .size:           2
        .value_kind:     by_value
      - .address_space:  global
        .offset:         32
        .size:           8
        .value_kind:     global_buffer
      - .offset:         40
        .size:           8
        .value_kind:     by_value
      - .offset:         48
        .size:           8
        .value_kind:     by_value
      - .address_space:  global
        .offset:         56
        .size:           8
        .value_kind:     global_buffer
      - .offset:         64
        .size:           8
        .value_kind:     by_value
      - .offset:         72
        .size:           8
        .value_kind:     by_value
      - .offset:         80
        .size:           2
        .value_kind:     by_value
      - .address_space:  global
        .offset:         88
        .size:           8
        .value_kind:     global_buffer
      - .offset:         96
        .size:           8
        .value_kind:     by_value
      - .offset:         104
        .size:           8
        .value_kind:     by_value
      - .address_space:  global
        .offset:         112
        .size:           8
        .value_kind:     global_buffer
      - .offset:         120
        .size:           8
        .value_kind:     by_value
      - .offset:         128
        .size:           8
        .value_kind:     by_value
      - .offset:         136
        .size:           4
        .value_kind:     by_value
    .group_segment_fixed_size: 1024
    .kernarg_segment_align: 8
    .kernarg_segment_size: 140
    .language:       OpenCL C
    .language_version:
      - 2
      - 0
    .max_flat_workgroup_size: 256
    .name:           _ZN12_GLOBAL__N_135rocblas_gemm_batched_general_kernelIDF16_Li16ELi16ELi32ELi32ELi8ELi32ELi8ELi8ELi32ELc67ELc84EKDF16_S1_DF16_EEvlllT_PT11_llS4_llS2_PT12_llPT13_lli
    .private_segment_fixed_size: 0
    .sgpr_count:     32
    .sgpr_spill_count: 0
    .symbol:         _ZN12_GLOBAL__N_135rocblas_gemm_batched_general_kernelIDF16_Li16ELi16ELi32ELi32ELi8ELi32ELi8ELi8ELi32ELc67ELc84EKDF16_S1_DF16_EEvlllT_PT11_llS4_llS2_PT12_llPT13_lli.kd
    .uniform_work_group_size: 1
    .uses_dynamic_stack: false
    .vgpr_count:     30
    .vgpr_spill_count: 0
    .wavefront_size: 32
    .workgroup_processor_mode: 1
  - .args:
      - .offset:         0
        .size:           8
        .value_kind:     by_value
      - .offset:         8
        .size:           8
        .value_kind:     by_value
      - .offset:         16
        .size:           8
        .value_kind:     by_value
      - .offset:         24
        .size:           2
        .value_kind:     by_value
      - .address_space:  global
        .offset:         32
        .size:           8
        .value_kind:     global_buffer
      - .offset:         40
        .size:           8
        .value_kind:     by_value
      - .offset:         48
        .size:           8
        .value_kind:     by_value
      - .address_space:  global
        .offset:         56
        .size:           8
        .value_kind:     global_buffer
      - .offset:         64
        .size:           8
        .value_kind:     by_value
      - .offset:         72
        .size:           8
        .value_kind:     by_value
      - .offset:         80
        .size:           2
        .value_kind:     by_value
      - .address_space:  global
        .offset:         88
        .size:           8
        .value_kind:     global_buffer
      - .offset:         96
        .size:           8
        .value_kind:     by_value
      - .offset:         104
        .size:           8
        .value_kind:     by_value
      - .address_space:  global
        .offset:         112
        .size:           8
        .value_kind:     global_buffer
      - .offset:         120
        .size:           8
        .value_kind:     by_value
      - .offset:         128
        .size:           8
        .value_kind:     by_value
      - .offset:         136
        .size:           4
        .value_kind:     by_value
    .group_segment_fixed_size: 1024
    .kernarg_segment_align: 8
    .kernarg_segment_size: 140
    .language:       OpenCL C
    .language_version:
      - 2
      - 0
    .max_flat_workgroup_size: 256
    .name:           _ZN12_GLOBAL__N_135rocblas_gemm_batched_general_kernelIDF16_Li16ELi16ELi32ELi32ELi8ELi32ELi8ELi8ELi32ELc78ELc67EKDF16_S1_DF16_EEvlllT_PT11_llS4_llS2_PT12_llPT13_lli
    .private_segment_fixed_size: 0
    .sgpr_count:     36
    .sgpr_spill_count: 0
    .symbol:         _ZN12_GLOBAL__N_135rocblas_gemm_batched_general_kernelIDF16_Li16ELi16ELi32ELi32ELi8ELi32ELi8ELi8ELi32ELc78ELc67EKDF16_S1_DF16_EEvlllT_PT11_llS4_llS2_PT12_llPT13_lli.kd
    .uniform_work_group_size: 1
    .uses_dynamic_stack: false
    .vgpr_count:     30
    .vgpr_spill_count: 0
    .wavefront_size: 32
    .workgroup_processor_mode: 1
  - .args:
      - .offset:         0
        .size:           8
        .value_kind:     by_value
      - .offset:         8
        .size:           8
        .value_kind:     by_value
      - .offset:         16
        .size:           8
        .value_kind:     by_value
      - .offset:         24
        .size:           2
        .value_kind:     by_value
      - .address_space:  global
        .offset:         32
        .size:           8
        .value_kind:     global_buffer
      - .offset:         40
        .size:           8
        .value_kind:     by_value
      - .offset:         48
        .size:           8
        .value_kind:     by_value
      - .address_space:  global
        .offset:         56
        .size:           8
        .value_kind:     global_buffer
      - .offset:         64
        .size:           8
        .value_kind:     by_value
      - .offset:         72
        .size:           8
        .value_kind:     by_value
      - .offset:         80
        .size:           2
        .value_kind:     by_value
      - .address_space:  global
        .offset:         88
        .size:           8
        .value_kind:     global_buffer
      - .offset:         96
        .size:           8
        .value_kind:     by_value
      - .offset:         104
        .size:           8
        .value_kind:     by_value
      - .address_space:  global
        .offset:         112
        .size:           8
        .value_kind:     global_buffer
      - .offset:         120
        .size:           8
        .value_kind:     by_value
      - .offset:         128
        .size:           8
        .value_kind:     by_value
      - .offset:         136
        .size:           4
        .value_kind:     by_value
    .group_segment_fixed_size: 1024
    .kernarg_segment_align: 8
    .kernarg_segment_size: 140
    .language:       OpenCL C
    .language_version:
      - 2
      - 0
    .max_flat_workgroup_size: 256
    .name:           _ZN12_GLOBAL__N_135rocblas_gemm_batched_general_kernelIDF16_Li16ELi16ELi32ELi32ELi8ELi32ELi8ELi8ELi32ELc84ELc67EKDF16_S1_DF16_EEvlllT_PT11_llS4_llS2_PT12_llPT13_lli
    .private_segment_fixed_size: 0
    .sgpr_count:     32
    .sgpr_spill_count: 0
    .symbol:         _ZN12_GLOBAL__N_135rocblas_gemm_batched_general_kernelIDF16_Li16ELi16ELi32ELi32ELi8ELi32ELi8ELi8ELi32ELc84ELc67EKDF16_S1_DF16_EEvlllT_PT11_llS4_llS2_PT12_llPT13_lli.kd
    .uniform_work_group_size: 1
    .uses_dynamic_stack: false
    .vgpr_count:     30
    .vgpr_spill_count: 0
    .wavefront_size: 32
    .workgroup_processor_mode: 1
  - .args:
      - .offset:         0
        .size:           4
        .value_kind:     by_value
      - .offset:         4
        .size:           4
        .value_kind:     by_value
      - .offset:         8
        .size:           4
        .value_kind:     by_value
      - .address_space:  global
        .offset:         16
        .size:           8
        .value_kind:     global_buffer
      - .offset:         24
        .size:           8
        .value_kind:     by_value
      - .offset:         32
        .size:           8
        .value_kind:     by_value
      - .offset:         40
        .size:           8
        .value_kind:     by_value
      - .address_space:  global
        .offset:         48
        .size:           8
        .value_kind:     global_buffer
      - .offset:         56
        .size:           8
        .value_kind:     by_value
      - .offset:         64
        .size:           8
        .value_kind:     by_value
      - .offset:         72
        .size:           8
        .value_kind:     by_value
      - .offset:         80
        .size:           4
        .value_kind:     by_value
    .group_segment_fixed_size: 0
    .kernarg_segment_align: 8
    .kernarg_segment_size: 84
    .language:       OpenCL C
    .language_version:
      - 2
      - 0
    .max_flat_workgroup_size: 1024
    .name:           _ZN12_GLOBAL__N_120gemm_ex_scale_kernelILi32ELi32EfPKDF16_PDF16_EEviiT1_T2_lllT3_llli
    .private_segment_fixed_size: 0
    .sgpr_count:     30
    .sgpr_spill_count: 0
    .symbol:         _ZN12_GLOBAL__N_120gemm_ex_scale_kernelILi32ELi32EfPKDF16_PDF16_EEviiT1_T2_lllT3_llli.kd
    .uniform_work_group_size: 1
    .uses_dynamic_stack: false
    .vgpr_count:     8
    .vgpr_spill_count: 0
    .wavefront_size: 32
    .workgroup_processor_mode: 1
  - .args:
      - .offset:         0
        .size:           8
        .value_kind:     by_value
      - .offset:         8
        .size:           8
        .value_kind:     by_value
      - .offset:         16
        .size:           8
        .value_kind:     by_value
      - .offset:         24
        .size:           4
        .value_kind:     by_value
      - .address_space:  global
        .offset:         32
        .size:           8
        .value_kind:     global_buffer
      - .offset:         40
        .size:           8
        .value_kind:     by_value
      - .offset:         48
        .size:           8
        .value_kind:     by_value
      - .address_space:  global
        .offset:         56
        .size:           8
        .value_kind:     global_buffer
      - .offset:         64
        .size:           8
        .value_kind:     by_value
      - .offset:         72
        .size:           8
        .value_kind:     by_value
      - .offset:         80
        .size:           4
        .value_kind:     by_value
      - .address_space:  global
        .offset:         88
        .size:           8
        .value_kind:     global_buffer
      - .offset:         96
        .size:           8
        .value_kind:     by_value
      - .offset:         104
        .size:           8
        .value_kind:     by_value
      - .address_space:  global
        .offset:         112
        .size:           8
        .value_kind:     global_buffer
      - .offset:         120
        .size:           8
        .value_kind:     by_value
      - .offset:         128
        .size:           8
        .value_kind:     by_value
      - .offset:         136
        .size:           4
        .value_kind:     by_value
    .group_segment_fixed_size: 2048
    .kernarg_segment_align: 8
    .kernarg_segment_size: 140
    .language:       OpenCL C
    .language_version:
      - 2
      - 0
    .max_flat_workgroup_size: 256
    .name:           _ZN12_GLOBAL__N_127rocblas_gemm_batched_kernelIfLi16ELi16ELi64ELi64ELi4ELi64ELi4ELi4ELi64ELc78ELc78EKDF16_S1_DF16_EEvlllT_PT11_llS4_llS2_PT12_llPT13_lli
    .private_segment_fixed_size: 0
    .sgpr_count:     24
    .sgpr_spill_count: 0
    .symbol:         _ZN12_GLOBAL__N_127rocblas_gemm_batched_kernelIfLi16ELi16ELi64ELi64ELi4ELi64ELi4ELi4ELi64ELc78ELc78EKDF16_S1_DF16_EEvlllT_PT11_llS4_llS2_PT12_llPT13_lli.kd
    .uniform_work_group_size: 1
    .uses_dynamic_stack: false
    .vgpr_count:     58
    .vgpr_spill_count: 0
    .wavefront_size: 32
    .workgroup_processor_mode: 1
  - .args:
      - .offset:         0
        .size:           8
        .value_kind:     by_value
      - .offset:         8
        .size:           8
        .value_kind:     by_value
      - .offset:         16
        .size:           8
        .value_kind:     by_value
      - .offset:         24
        .size:           4
        .value_kind:     by_value
      - .address_space:  global
        .offset:         32
        .size:           8
        .value_kind:     global_buffer
      - .offset:         40
        .size:           8
        .value_kind:     by_value
      - .offset:         48
        .size:           8
        .value_kind:     by_value
      - .address_space:  global
        .offset:         56
        .size:           8
        .value_kind:     global_buffer
      - .offset:         64
        .size:           8
        .value_kind:     by_value
      - .offset:         72
        .size:           8
        .value_kind:     by_value
      - .offset:         80
        .size:           4
        .value_kind:     by_value
      - .address_space:  global
        .offset:         88
        .size:           8
        .value_kind:     global_buffer
      - .offset:         96
        .size:           8
        .value_kind:     by_value
      - .offset:         104
        .size:           8
        .value_kind:     by_value
      - .address_space:  global
        .offset:         112
        .size:           8
        .value_kind:     global_buffer
      - .offset:         120
        .size:           8
        .value_kind:     by_value
      - .offset:         128
        .size:           8
        .value_kind:     by_value
      - .offset:         136
        .size:           4
        .value_kind:     by_value
    .group_segment_fixed_size: 2048
    .kernarg_segment_align: 8
    .kernarg_segment_size: 140
    .language:       OpenCL C
    .language_version:
      - 2
      - 0
    .max_flat_workgroup_size: 256
    .name:           _ZN12_GLOBAL__N_127rocblas_gemm_batched_kernelIfLi16ELi16ELi64ELi64ELi4ELi64ELi4ELi4ELi64ELc84ELc78EKDF16_S1_DF16_EEvlllT_PT11_llS4_llS2_PT12_llPT13_lli
    .private_segment_fixed_size: 0
    .sgpr_count:     24
    .sgpr_spill_count: 0
    .symbol:         _ZN12_GLOBAL__N_127rocblas_gemm_batched_kernelIfLi16ELi16ELi64ELi64ELi4ELi64ELi4ELi4ELi64ELc84ELc78EKDF16_S1_DF16_EEvlllT_PT11_llS4_llS2_PT12_llPT13_lli.kd
    .uniform_work_group_size: 1
    .uses_dynamic_stack: false
    .vgpr_count:     58
    .vgpr_spill_count: 0
    .wavefront_size: 32
    .workgroup_processor_mode: 1
  - .args:
      - .offset:         0
        .size:           8
        .value_kind:     by_value
      - .offset:         8
        .size:           8
        .value_kind:     by_value
      - .offset:         16
        .size:           8
        .value_kind:     by_value
      - .offset:         24
        .size:           4
        .value_kind:     by_value
      - .address_space:  global
        .offset:         32
        .size:           8
        .value_kind:     global_buffer
      - .offset:         40
        .size:           8
        .value_kind:     by_value
      - .offset:         48
        .size:           8
        .value_kind:     by_value
      - .address_space:  global
        .offset:         56
        .size:           8
        .value_kind:     global_buffer
      - .offset:         64
        .size:           8
        .value_kind:     by_value
      - .offset:         72
        .size:           8
        .value_kind:     by_value
      - .offset:         80
        .size:           4
        .value_kind:     by_value
      - .address_space:  global
        .offset:         88
        .size:           8
        .value_kind:     global_buffer
      - .offset:         96
        .size:           8
        .value_kind:     by_value
      - .offset:         104
        .size:           8
        .value_kind:     by_value
      - .address_space:  global
        .offset:         112
        .size:           8
        .value_kind:     global_buffer
      - .offset:         120
        .size:           8
        .value_kind:     by_value
      - .offset:         128
        .size:           8
        .value_kind:     by_value
      - .offset:         136
        .size:           4
        .value_kind:     by_value
    .group_segment_fixed_size: 2048
    .kernarg_segment_align: 8
    .kernarg_segment_size: 140
    .language:       OpenCL C
    .language_version:
      - 2
      - 0
    .max_flat_workgroup_size: 256
    .name:           _ZN12_GLOBAL__N_127rocblas_gemm_batched_kernelIfLi16ELi16ELi64ELi64ELi4ELi64ELi4ELi4ELi64ELc78ELc84EKDF16_S1_DF16_EEvlllT_PT11_llS4_llS2_PT12_llPT13_lli
    .private_segment_fixed_size: 0
    .sgpr_count:     25
    .sgpr_spill_count: 0
    .symbol:         _ZN12_GLOBAL__N_127rocblas_gemm_batched_kernelIfLi16ELi16ELi64ELi64ELi4ELi64ELi4ELi4ELi64ELc78ELc84EKDF16_S1_DF16_EEvlllT_PT11_llS4_llS2_PT12_llPT13_lli.kd
    .uniform_work_group_size: 1
    .uses_dynamic_stack: false
    .vgpr_count:     58
    .vgpr_spill_count: 0
    .wavefront_size: 32
    .workgroup_processor_mode: 1
  - .args:
      - .offset:         0
        .size:           8
        .value_kind:     by_value
      - .offset:         8
        .size:           8
        .value_kind:     by_value
      - .offset:         16
        .size:           8
        .value_kind:     by_value
      - .offset:         24
        .size:           4
        .value_kind:     by_value
      - .address_space:  global
        .offset:         32
        .size:           8
        .value_kind:     global_buffer
      - .offset:         40
        .size:           8
        .value_kind:     by_value
      - .offset:         48
        .size:           8
        .value_kind:     by_value
      - .address_space:  global
        .offset:         56
        .size:           8
        .value_kind:     global_buffer
      - .offset:         64
        .size:           8
        .value_kind:     by_value
      - .offset:         72
        .size:           8
        .value_kind:     by_value
      - .offset:         80
        .size:           4
        .value_kind:     by_value
      - .address_space:  global
        .offset:         88
        .size:           8
        .value_kind:     global_buffer
      - .offset:         96
        .size:           8
        .value_kind:     by_value
      - .offset:         104
        .size:           8
        .value_kind:     by_value
      - .address_space:  global
        .offset:         112
        .size:           8
        .value_kind:     global_buffer
      - .offset:         120
        .size:           8
        .value_kind:     by_value
      - .offset:         128
        .size:           8
        .value_kind:     by_value
      - .offset:         136
        .size:           4
        .value_kind:     by_value
    .group_segment_fixed_size: 2048
    .kernarg_segment_align: 8
    .kernarg_segment_size: 140
    .language:       OpenCL C
    .language_version:
      - 2
      - 0
    .max_flat_workgroup_size: 256
    .name:           _ZN12_GLOBAL__N_127rocblas_gemm_batched_kernelIfLi16ELi16ELi64ELi64ELi4ELi64ELi4ELi4ELi64ELc84ELc84EKDF16_S1_DF16_EEvlllT_PT11_llS4_llS2_PT12_llPT13_lli
    .private_segment_fixed_size: 0
    .sgpr_count:     24
    .sgpr_spill_count: 0
    .symbol:         _ZN12_GLOBAL__N_127rocblas_gemm_batched_kernelIfLi16ELi16ELi64ELi64ELi4ELi64ELi4ELi4ELi64ELc84ELc84EKDF16_S1_DF16_EEvlllT_PT11_llS4_llS2_PT12_llPT13_lli.kd
    .uniform_work_group_size: 1
    .uses_dynamic_stack: false
    .vgpr_count:     58
    .vgpr_spill_count: 0
    .wavefront_size: 32
    .workgroup_processor_mode: 1
  - .args:
      - .offset:         0
        .size:           8
        .value_kind:     by_value
      - .offset:         8
        .size:           8
        .value_kind:     by_value
      - .offset:         16
        .size:           8
        .value_kind:     by_value
      - .offset:         24
        .size:           4
        .value_kind:     by_value
      - .address_space:  global
        .offset:         32
        .size:           8
        .value_kind:     global_buffer
      - .offset:         40
        .size:           8
        .value_kind:     by_value
      - .offset:         48
        .size:           8
        .value_kind:     by_value
      - .address_space:  global
        .offset:         56
        .size:           8
        .value_kind:     global_buffer
      - .offset:         64
        .size:           8
        .value_kind:     by_value
      - .offset:         72
        .size:           8
        .value_kind:     by_value
      - .offset:         80
        .size:           4
        .value_kind:     by_value
      - .address_space:  global
        .offset:         88
        .size:           8
        .value_kind:     global_buffer
      - .offset:         96
        .size:           8
        .value_kind:     by_value
      - .offset:         104
        .size:           8
        .value_kind:     by_value
      - .address_space:  global
        .offset:         112
        .size:           8
        .value_kind:     global_buffer
      - .offset:         120
        .size:           8
        .value_kind:     by_value
      - .offset:         128
        .size:           8
        .value_kind:     by_value
      - .offset:         136
        .size:           4
        .value_kind:     by_value
    .group_segment_fixed_size: 2048
    .kernarg_segment_align: 8
    .kernarg_segment_size: 140
    .language:       OpenCL C
    .language_version:
      - 2
      - 0
    .max_flat_workgroup_size: 256
    .name:           _ZN12_GLOBAL__N_127rocblas_gemm_batched_kernelIfLi16ELi16ELi64ELi64ELi4ELi64ELi4ELi4ELi64ELc67ELc67EKDF16_S1_DF16_EEvlllT_PT11_llS4_llS2_PT12_llPT13_lli
    .private_segment_fixed_size: 0
    .sgpr_count:     24
    .sgpr_spill_count: 0
    .symbol:         _ZN12_GLOBAL__N_127rocblas_gemm_batched_kernelIfLi16ELi16ELi64ELi64ELi4ELi64ELi4ELi4ELi64ELc67ELc67EKDF16_S1_DF16_EEvlllT_PT11_llS4_llS2_PT12_llPT13_lli.kd
    .uniform_work_group_size: 1
    .uses_dynamic_stack: false
    .vgpr_count:     58
    .vgpr_spill_count: 0
    .wavefront_size: 32
    .workgroup_processor_mode: 1
  - .args:
      - .offset:         0
        .size:           8
        .value_kind:     by_value
      - .offset:         8
        .size:           8
        .value_kind:     by_value
      - .offset:         16
        .size:           8
        .value_kind:     by_value
      - .offset:         24
        .size:           4
        .value_kind:     by_value
      - .address_space:  global
        .offset:         32
        .size:           8
        .value_kind:     global_buffer
      - .offset:         40
        .size:           8
        .value_kind:     by_value
      - .offset:         48
        .size:           8
        .value_kind:     by_value
      - .address_space:  global
        .offset:         56
        .size:           8
        .value_kind:     global_buffer
      - .offset:         64
        .size:           8
        .value_kind:     by_value
      - .offset:         72
        .size:           8
        .value_kind:     by_value
      - .offset:         80
        .size:           4
        .value_kind:     by_value
      - .address_space:  global
        .offset:         88
        .size:           8
        .value_kind:     global_buffer
      - .offset:         96
        .size:           8
        .value_kind:     by_value
      - .offset:         104
        .size:           8
        .value_kind:     by_value
      - .address_space:  global
        .offset:         112
        .size:           8
        .value_kind:     global_buffer
      - .offset:         120
        .size:           8
        .value_kind:     by_value
      - .offset:         128
        .size:           8
        .value_kind:     by_value
      - .offset:         136
        .size:           4
        .value_kind:     by_value
    .group_segment_fixed_size: 2048
    .kernarg_segment_align: 8
    .kernarg_segment_size: 140
    .language:       OpenCL C
    .language_version:
      - 2
      - 0
    .max_flat_workgroup_size: 256
    .name:           _ZN12_GLOBAL__N_127rocblas_gemm_batched_kernelIfLi16ELi16ELi64ELi64ELi4ELi64ELi4ELi4ELi64ELc67ELc78EKDF16_S1_DF16_EEvlllT_PT11_llS4_llS2_PT12_llPT13_lli
    .private_segment_fixed_size: 0
    .sgpr_count:     24
    .sgpr_spill_count: 0
    .symbol:         _ZN12_GLOBAL__N_127rocblas_gemm_batched_kernelIfLi16ELi16ELi64ELi64ELi4ELi64ELi4ELi4ELi64ELc67ELc78EKDF16_S1_DF16_EEvlllT_PT11_llS4_llS2_PT12_llPT13_lli.kd
    .uniform_work_group_size: 1
    .uses_dynamic_stack: false
    .vgpr_count:     58
    .vgpr_spill_count: 0
    .wavefront_size: 32
    .workgroup_processor_mode: 1
  - .args:
      - .offset:         0
        .size:           8
        .value_kind:     by_value
      - .offset:         8
        .size:           8
        .value_kind:     by_value
      - .offset:         16
        .size:           8
        .value_kind:     by_value
      - .offset:         24
        .size:           4
        .value_kind:     by_value
      - .address_space:  global
        .offset:         32
        .size:           8
        .value_kind:     global_buffer
      - .offset:         40
        .size:           8
        .value_kind:     by_value
      - .offset:         48
        .size:           8
        .value_kind:     by_value
      - .address_space:  global
        .offset:         56
        .size:           8
        .value_kind:     global_buffer
      - .offset:         64
        .size:           8
        .value_kind:     by_value
      - .offset:         72
        .size:           8
        .value_kind:     by_value
      - .offset:         80
        .size:           4
        .value_kind:     by_value
      - .address_space:  global
        .offset:         88
        .size:           8
        .value_kind:     global_buffer
      - .offset:         96
        .size:           8
        .value_kind:     by_value
      - .offset:         104
        .size:           8
        .value_kind:     by_value
      - .address_space:  global
        .offset:         112
        .size:           8
        .value_kind:     global_buffer
      - .offset:         120
        .size:           8
        .value_kind:     by_value
      - .offset:         128
        .size:           8
        .value_kind:     by_value
      - .offset:         136
        .size:           4
        .value_kind:     by_value
    .group_segment_fixed_size: 2048
    .kernarg_segment_align: 8
    .kernarg_segment_size: 140
    .language:       OpenCL C
    .language_version:
      - 2
      - 0
    .max_flat_workgroup_size: 256
    .name:           _ZN12_GLOBAL__N_127rocblas_gemm_batched_kernelIfLi16ELi16ELi64ELi64ELi4ELi64ELi4ELi4ELi64ELc67ELc84EKDF16_S1_DF16_EEvlllT_PT11_llS4_llS2_PT12_llPT13_lli
    .private_segment_fixed_size: 0
    .sgpr_count:     24
    .sgpr_spill_count: 0
    .symbol:         _ZN12_GLOBAL__N_127rocblas_gemm_batched_kernelIfLi16ELi16ELi64ELi64ELi4ELi64ELi4ELi4ELi64ELc67ELc84EKDF16_S1_DF16_EEvlllT_PT11_llS4_llS2_PT12_llPT13_lli.kd
    .uniform_work_group_size: 1
    .uses_dynamic_stack: false
    .vgpr_count:     58
    .vgpr_spill_count: 0
    .wavefront_size: 32
    .workgroup_processor_mode: 1
  - .args:
      - .offset:         0
        .size:           8
        .value_kind:     by_value
      - .offset:         8
        .size:           8
        .value_kind:     by_value
      - .offset:         16
        .size:           8
        .value_kind:     by_value
      - .offset:         24
        .size:           4
        .value_kind:     by_value
      - .address_space:  global
        .offset:         32
        .size:           8
        .value_kind:     global_buffer
      - .offset:         40
        .size:           8
        .value_kind:     by_value
      - .offset:         48
        .size:           8
        .value_kind:     by_value
      - .address_space:  global
        .offset:         56
        .size:           8
        .value_kind:     global_buffer
      - .offset:         64
        .size:           8
        .value_kind:     by_value
      - .offset:         72
        .size:           8
        .value_kind:     by_value
      - .offset:         80
        .size:           4
        .value_kind:     by_value
      - .address_space:  global
        .offset:         88
        .size:           8
        .value_kind:     global_buffer
      - .offset:         96
        .size:           8
        .value_kind:     by_value
      - .offset:         104
        .size:           8
        .value_kind:     by_value
      - .address_space:  global
        .offset:         112
        .size:           8
        .value_kind:     global_buffer
      - .offset:         120
        .size:           8
        .value_kind:     by_value
      - .offset:         128
        .size:           8
        .value_kind:     by_value
      - .offset:         136
        .size:           4
        .value_kind:     by_value
    .group_segment_fixed_size: 2048
    .kernarg_segment_align: 8
    .kernarg_segment_size: 140
    .language:       OpenCL C
    .language_version:
      - 2
      - 0
    .max_flat_workgroup_size: 256
    .name:           _ZN12_GLOBAL__N_127rocblas_gemm_batched_kernelIfLi16ELi16ELi64ELi64ELi4ELi64ELi4ELi4ELi64ELc78ELc67EKDF16_S1_DF16_EEvlllT_PT11_llS4_llS2_PT12_llPT13_lli
    .private_segment_fixed_size: 0
    .sgpr_count:     25
    .sgpr_spill_count: 0
    .symbol:         _ZN12_GLOBAL__N_127rocblas_gemm_batched_kernelIfLi16ELi16ELi64ELi64ELi4ELi64ELi4ELi4ELi64ELc78ELc67EKDF16_S1_DF16_EEvlllT_PT11_llS4_llS2_PT12_llPT13_lli.kd
    .uniform_work_group_size: 1
    .uses_dynamic_stack: false
    .vgpr_count:     58
    .vgpr_spill_count: 0
    .wavefront_size: 32
    .workgroup_processor_mode: 1
  - .args:
      - .offset:         0
        .size:           8
        .value_kind:     by_value
      - .offset:         8
        .size:           8
        .value_kind:     by_value
      - .offset:         16
        .size:           8
        .value_kind:     by_value
      - .offset:         24
        .size:           4
        .value_kind:     by_value
      - .address_space:  global
        .offset:         32
        .size:           8
        .value_kind:     global_buffer
      - .offset:         40
        .size:           8
        .value_kind:     by_value
      - .offset:         48
        .size:           8
        .value_kind:     by_value
      - .address_space:  global
        .offset:         56
        .size:           8
        .value_kind:     global_buffer
      - .offset:         64
        .size:           8
        .value_kind:     by_value
      - .offset:         72
        .size:           8
        .value_kind:     by_value
      - .offset:         80
        .size:           4
        .value_kind:     by_value
      - .address_space:  global
        .offset:         88
        .size:           8
        .value_kind:     global_buffer
      - .offset:         96
        .size:           8
        .value_kind:     by_value
      - .offset:         104
        .size:           8
        .value_kind:     by_value
      - .address_space:  global
        .offset:         112
        .size:           8
        .value_kind:     global_buffer
      - .offset:         120
        .size:           8
        .value_kind:     by_value
      - .offset:         128
        .size:           8
        .value_kind:     by_value
      - .offset:         136
        .size:           4
        .value_kind:     by_value
    .group_segment_fixed_size: 2048
    .kernarg_segment_align: 8
    .kernarg_segment_size: 140
    .language:       OpenCL C
    .language_version:
      - 2
      - 0
    .max_flat_workgroup_size: 256
    .name:           _ZN12_GLOBAL__N_127rocblas_gemm_batched_kernelIfLi16ELi16ELi64ELi64ELi4ELi64ELi4ELi4ELi64ELc84ELc67EKDF16_S1_DF16_EEvlllT_PT11_llS4_llS2_PT12_llPT13_lli
    .private_segment_fixed_size: 0
    .sgpr_count:     24
    .sgpr_spill_count: 0
    .symbol:         _ZN12_GLOBAL__N_127rocblas_gemm_batched_kernelIfLi16ELi16ELi64ELi64ELi4ELi64ELi4ELi4ELi64ELc84ELc67EKDF16_S1_DF16_EEvlllT_PT11_llS4_llS2_PT12_llPT13_lli.kd
    .uniform_work_group_size: 1
    .uses_dynamic_stack: false
    .vgpr_count:     58
    .vgpr_spill_count: 0
    .wavefront_size: 32
    .workgroup_processor_mode: 1
  - .args:
      - .offset:         0
        .size:           8
        .value_kind:     by_value
      - .offset:         8
        .size:           8
        .value_kind:     by_value
      - .offset:         16
        .size:           8
        .value_kind:     by_value
      - .offset:         24
        .size:           4
        .value_kind:     by_value
      - .address_space:  global
        .offset:         32
        .size:           8
        .value_kind:     global_buffer
      - .offset:         40
        .size:           8
        .value_kind:     by_value
      - .offset:         48
        .size:           8
        .value_kind:     by_value
      - .address_space:  global
        .offset:         56
        .size:           8
        .value_kind:     global_buffer
      - .offset:         64
        .size:           8
        .value_kind:     by_value
      - .offset:         72
        .size:           8
        .value_kind:     by_value
      - .offset:         80
        .size:           4
        .value_kind:     by_value
      - .address_space:  global
        .offset:         88
        .size:           8
        .value_kind:     global_buffer
      - .offset:         96
        .size:           8
        .value_kind:     by_value
      - .offset:         104
        .size:           8
        .value_kind:     by_value
      - .address_space:  global
        .offset:         112
        .size:           8
        .value_kind:     global_buffer
      - .offset:         120
        .size:           8
        .value_kind:     by_value
      - .offset:         128
        .size:           8
        .value_kind:     by_value
      - .offset:         136
        .size:           4
        .value_kind:     by_value
    .group_segment_fixed_size: 2048
    .kernarg_segment_align: 8
    .kernarg_segment_size: 140
    .language:       OpenCL C
    .language_version:
      - 2
      - 0
    .max_flat_workgroup_size: 256
    .name:           _ZN12_GLOBAL__N_127rocblas_gemm_batched_kernelIfLi16ELi16ELi32ELi32ELi8ELi32ELi8ELi8ELi32ELc78ELc78EKDF16_S1_DF16_EEvlllT_PT11_llS4_llS2_PT12_llPT13_lli
    .private_segment_fixed_size: 0
    .sgpr_count:     24
    .sgpr_spill_count: 0
    .symbol:         _ZN12_GLOBAL__N_127rocblas_gemm_batched_kernelIfLi16ELi16ELi32ELi32ELi8ELi32ELi8ELi8ELi32ELc78ELc78EKDF16_S1_DF16_EEvlllT_PT11_llS4_llS2_PT12_llPT13_lli.kd
    .uniform_work_group_size: 1
    .uses_dynamic_stack: false
    .vgpr_count:     46
    .vgpr_spill_count: 0
    .wavefront_size: 32
    .workgroup_processor_mode: 1
  - .args:
      - .offset:         0
        .size:           8
        .value_kind:     by_value
      - .offset:         8
        .size:           8
        .value_kind:     by_value
      - .offset:         16
        .size:           8
        .value_kind:     by_value
      - .offset:         24
        .size:           4
        .value_kind:     by_value
      - .address_space:  global
        .offset:         32
        .size:           8
        .value_kind:     global_buffer
      - .offset:         40
        .size:           8
        .value_kind:     by_value
      - .offset:         48
        .size:           8
        .value_kind:     by_value
      - .address_space:  global
        .offset:         56
        .size:           8
        .value_kind:     global_buffer
      - .offset:         64
        .size:           8
        .value_kind:     by_value
      - .offset:         72
        .size:           8
        .value_kind:     by_value
      - .offset:         80
        .size:           4
        .value_kind:     by_value
      - .address_space:  global
        .offset:         88
        .size:           8
        .value_kind:     global_buffer
      - .offset:         96
        .size:           8
        .value_kind:     by_value
      - .offset:         104
        .size:           8
        .value_kind:     by_value
      - .address_space:  global
        .offset:         112
        .size:           8
        .value_kind:     global_buffer
      - .offset:         120
        .size:           8
        .value_kind:     by_value
      - .offset:         128
        .size:           8
        .value_kind:     by_value
      - .offset:         136
        .size:           4
        .value_kind:     by_value
    .group_segment_fixed_size: 2048
    .kernarg_segment_align: 8
    .kernarg_segment_size: 140
    .language:       OpenCL C
    .language_version:
      - 2
      - 0
    .max_flat_workgroup_size: 256
    .name:           _ZN12_GLOBAL__N_127rocblas_gemm_batched_kernelIfLi16ELi16ELi32ELi32ELi8ELi32ELi8ELi8ELi32ELc84ELc78EKDF16_S1_DF16_EEvlllT_PT11_llS4_llS2_PT12_llPT13_lli
    .private_segment_fixed_size: 0
    .sgpr_count:     24
    .sgpr_spill_count: 0
    .symbol:         _ZN12_GLOBAL__N_127rocblas_gemm_batched_kernelIfLi16ELi16ELi32ELi32ELi8ELi32ELi8ELi8ELi32ELc84ELc78EKDF16_S1_DF16_EEvlllT_PT11_llS4_llS2_PT12_llPT13_lli.kd
    .uniform_work_group_size: 1
    .uses_dynamic_stack: false
    .vgpr_count:     46
    .vgpr_spill_count: 0
    .wavefront_size: 32
    .workgroup_processor_mode: 1
  - .args:
      - .offset:         0
        .size:           8
        .value_kind:     by_value
      - .offset:         8
        .size:           8
        .value_kind:     by_value
      - .offset:         16
        .size:           8
        .value_kind:     by_value
      - .offset:         24
        .size:           4
        .value_kind:     by_value
      - .address_space:  global
        .offset:         32
        .size:           8
        .value_kind:     global_buffer
      - .offset:         40
        .size:           8
        .value_kind:     by_value
      - .offset:         48
        .size:           8
        .value_kind:     by_value
      - .address_space:  global
        .offset:         56
        .size:           8
        .value_kind:     global_buffer
      - .offset:         64
        .size:           8
        .value_kind:     by_value
      - .offset:         72
        .size:           8
        .value_kind:     by_value
      - .offset:         80
        .size:           4
        .value_kind:     by_value
      - .address_space:  global
        .offset:         88
        .size:           8
        .value_kind:     global_buffer
      - .offset:         96
        .size:           8
        .value_kind:     by_value
      - .offset:         104
        .size:           8
        .value_kind:     by_value
      - .address_space:  global
        .offset:         112
        .size:           8
        .value_kind:     global_buffer
      - .offset:         120
        .size:           8
        .value_kind:     by_value
      - .offset:         128
        .size:           8
        .value_kind:     by_value
      - .offset:         136
        .size:           4
        .value_kind:     by_value
    .group_segment_fixed_size: 2048
    .kernarg_segment_align: 8
    .kernarg_segment_size: 140
    .language:       OpenCL C
    .language_version:
      - 2
      - 0
    .max_flat_workgroup_size: 256
    .name:           _ZN12_GLOBAL__N_127rocblas_gemm_batched_kernelIfLi16ELi16ELi32ELi32ELi8ELi32ELi8ELi8ELi32ELc78ELc84EKDF16_S1_DF16_EEvlllT_PT11_llS4_llS2_PT12_llPT13_lli
    .private_segment_fixed_size: 0
    .sgpr_count:     24
    .sgpr_spill_count: 0
    .symbol:         _ZN12_GLOBAL__N_127rocblas_gemm_batched_kernelIfLi16ELi16ELi32ELi32ELi8ELi32ELi8ELi8ELi32ELc78ELc84EKDF16_S1_DF16_EEvlllT_PT11_llS4_llS2_PT12_llPT13_lli.kd
    .uniform_work_group_size: 1
    .uses_dynamic_stack: false
    .vgpr_count:     46
    .vgpr_spill_count: 0
    .wavefront_size: 32
    .workgroup_processor_mode: 1
  - .args:
      - .offset:         0
        .size:           8
        .value_kind:     by_value
      - .offset:         8
        .size:           8
        .value_kind:     by_value
      - .offset:         16
        .size:           8
        .value_kind:     by_value
      - .offset:         24
        .size:           4
        .value_kind:     by_value
      - .address_space:  global
        .offset:         32
        .size:           8
        .value_kind:     global_buffer
      - .offset:         40
        .size:           8
        .value_kind:     by_value
      - .offset:         48
        .size:           8
        .value_kind:     by_value
      - .address_space:  global
        .offset:         56
        .size:           8
        .value_kind:     global_buffer
      - .offset:         64
        .size:           8
        .value_kind:     by_value
      - .offset:         72
        .size:           8
        .value_kind:     by_value
      - .offset:         80
        .size:           4
        .value_kind:     by_value
      - .address_space:  global
        .offset:         88
        .size:           8
        .value_kind:     global_buffer
      - .offset:         96
        .size:           8
        .value_kind:     by_value
      - .offset:         104
        .size:           8
        .value_kind:     by_value
      - .address_space:  global
        .offset:         112
        .size:           8
        .value_kind:     global_buffer
      - .offset:         120
        .size:           8
        .value_kind:     by_value
      - .offset:         128
        .size:           8
        .value_kind:     by_value
      - .offset:         136
        .size:           4
        .value_kind:     by_value
    .group_segment_fixed_size: 2048
    .kernarg_segment_align: 8
    .kernarg_segment_size: 140
    .language:       OpenCL C
    .language_version:
      - 2
      - 0
    .max_flat_workgroup_size: 256
    .name:           _ZN12_GLOBAL__N_127rocblas_gemm_batched_kernelIfLi16ELi16ELi32ELi32ELi8ELi32ELi8ELi8ELi32ELc84ELc84EKDF16_S1_DF16_EEvlllT_PT11_llS4_llS2_PT12_llPT13_lli
    .private_segment_fixed_size: 0
    .sgpr_count:     24
    .sgpr_spill_count: 0
    .symbol:         _ZN12_GLOBAL__N_127rocblas_gemm_batched_kernelIfLi16ELi16ELi32ELi32ELi8ELi32ELi8ELi8ELi32ELc84ELc84EKDF16_S1_DF16_EEvlllT_PT11_llS4_llS2_PT12_llPT13_lli.kd
    .uniform_work_group_size: 1
    .uses_dynamic_stack: false
    .vgpr_count:     46
    .vgpr_spill_count: 0
    .wavefront_size: 32
    .workgroup_processor_mode: 1
  - .args:
      - .offset:         0
        .size:           8
        .value_kind:     by_value
      - .offset:         8
        .size:           8
        .value_kind:     by_value
      - .offset:         16
        .size:           8
        .value_kind:     by_value
      - .offset:         24
        .size:           4
        .value_kind:     by_value
      - .address_space:  global
        .offset:         32
        .size:           8
        .value_kind:     global_buffer
      - .offset:         40
        .size:           8
        .value_kind:     by_value
      - .offset:         48
        .size:           8
        .value_kind:     by_value
      - .address_space:  global
        .offset:         56
        .size:           8
        .value_kind:     global_buffer
      - .offset:         64
        .size:           8
        .value_kind:     by_value
      - .offset:         72
        .size:           8
        .value_kind:     by_value
      - .offset:         80
        .size:           4
        .value_kind:     by_value
      - .address_space:  global
        .offset:         88
        .size:           8
        .value_kind:     global_buffer
      - .offset:         96
        .size:           8
        .value_kind:     by_value
      - .offset:         104
        .size:           8
        .value_kind:     by_value
      - .address_space:  global
        .offset:         112
        .size:           8
        .value_kind:     global_buffer
      - .offset:         120
        .size:           8
        .value_kind:     by_value
      - .offset:         128
        .size:           8
        .value_kind:     by_value
      - .offset:         136
        .size:           4
        .value_kind:     by_value
    .group_segment_fixed_size: 2048
    .kernarg_segment_align: 8
    .kernarg_segment_size: 140
    .language:       OpenCL C
    .language_version:
      - 2
      - 0
    .max_flat_workgroup_size: 256
    .name:           _ZN12_GLOBAL__N_127rocblas_gemm_batched_kernelIfLi16ELi16ELi32ELi32ELi8ELi32ELi8ELi8ELi32ELc67ELc67EKDF16_S1_DF16_EEvlllT_PT11_llS4_llS2_PT12_llPT13_lli
    .private_segment_fixed_size: 0
    .sgpr_count:     24
    .sgpr_spill_count: 0
    .symbol:         _ZN12_GLOBAL__N_127rocblas_gemm_batched_kernelIfLi16ELi16ELi32ELi32ELi8ELi32ELi8ELi8ELi32ELc67ELc67EKDF16_S1_DF16_EEvlllT_PT11_llS4_llS2_PT12_llPT13_lli.kd
    .uniform_work_group_size: 1
    .uses_dynamic_stack: false
    .vgpr_count:     46
    .vgpr_spill_count: 0
    .wavefront_size: 32
    .workgroup_processor_mode: 1
  - .args:
      - .offset:         0
        .size:           8
        .value_kind:     by_value
      - .offset:         8
        .size:           8
        .value_kind:     by_value
      - .offset:         16
        .size:           8
        .value_kind:     by_value
      - .offset:         24
        .size:           4
        .value_kind:     by_value
      - .address_space:  global
        .offset:         32
        .size:           8
        .value_kind:     global_buffer
      - .offset:         40
        .size:           8
        .value_kind:     by_value
      - .offset:         48
        .size:           8
        .value_kind:     by_value
      - .address_space:  global
        .offset:         56
        .size:           8
        .value_kind:     global_buffer
      - .offset:         64
        .size:           8
        .value_kind:     by_value
      - .offset:         72
        .size:           8
        .value_kind:     by_value
      - .offset:         80
        .size:           4
        .value_kind:     by_value
      - .address_space:  global
        .offset:         88
        .size:           8
        .value_kind:     global_buffer
      - .offset:         96
        .size:           8
        .value_kind:     by_value
      - .offset:         104
        .size:           8
        .value_kind:     by_value
      - .address_space:  global
        .offset:         112
        .size:           8
        .value_kind:     global_buffer
      - .offset:         120
        .size:           8
        .value_kind:     by_value
      - .offset:         128
        .size:           8
        .value_kind:     by_value
      - .offset:         136
        .size:           4
        .value_kind:     by_value
    .group_segment_fixed_size: 2048
    .kernarg_segment_align: 8
    .kernarg_segment_size: 140
    .language:       OpenCL C
    .language_version:
      - 2
      - 0
    .max_flat_workgroup_size: 256
    .name:           _ZN12_GLOBAL__N_127rocblas_gemm_batched_kernelIfLi16ELi16ELi32ELi32ELi8ELi32ELi8ELi8ELi32ELc67ELc78EKDF16_S1_DF16_EEvlllT_PT11_llS4_llS2_PT12_llPT13_lli
    .private_segment_fixed_size: 0
    .sgpr_count:     24
    .sgpr_spill_count: 0
    .symbol:         _ZN12_GLOBAL__N_127rocblas_gemm_batched_kernelIfLi16ELi16ELi32ELi32ELi8ELi32ELi8ELi8ELi32ELc67ELc78EKDF16_S1_DF16_EEvlllT_PT11_llS4_llS2_PT12_llPT13_lli.kd
    .uniform_work_group_size: 1
    .uses_dynamic_stack: false
    .vgpr_count:     46
    .vgpr_spill_count: 0
    .wavefront_size: 32
    .workgroup_processor_mode: 1
  - .args:
      - .offset:         0
        .size:           8
        .value_kind:     by_value
      - .offset:         8
        .size:           8
        .value_kind:     by_value
      - .offset:         16
        .size:           8
        .value_kind:     by_value
      - .offset:         24
        .size:           4
        .value_kind:     by_value
      - .address_space:  global
        .offset:         32
        .size:           8
        .value_kind:     global_buffer
      - .offset:         40
        .size:           8
        .value_kind:     by_value
      - .offset:         48
        .size:           8
        .value_kind:     by_value
      - .address_space:  global
        .offset:         56
        .size:           8
        .value_kind:     global_buffer
      - .offset:         64
        .size:           8
        .value_kind:     by_value
      - .offset:         72
        .size:           8
        .value_kind:     by_value
      - .offset:         80
        .size:           4
        .value_kind:     by_value
      - .address_space:  global
        .offset:         88
        .size:           8
        .value_kind:     global_buffer
      - .offset:         96
        .size:           8
        .value_kind:     by_value
      - .offset:         104
        .size:           8
        .value_kind:     by_value
      - .address_space:  global
        .offset:         112
        .size:           8
        .value_kind:     global_buffer
      - .offset:         120
        .size:           8
        .value_kind:     by_value
      - .offset:         128
        .size:           8
        .value_kind:     by_value
      - .offset:         136
        .size:           4
        .value_kind:     by_value
    .group_segment_fixed_size: 2048
    .kernarg_segment_align: 8
    .kernarg_segment_size: 140
    .language:       OpenCL C
    .language_version:
      - 2
      - 0
    .max_flat_workgroup_size: 256
    .name:           _ZN12_GLOBAL__N_127rocblas_gemm_batched_kernelIfLi16ELi16ELi32ELi32ELi8ELi32ELi8ELi8ELi32ELc67ELc84EKDF16_S1_DF16_EEvlllT_PT11_llS4_llS2_PT12_llPT13_lli
    .private_segment_fixed_size: 0
    .sgpr_count:     24
    .sgpr_spill_count: 0
    .symbol:         _ZN12_GLOBAL__N_127rocblas_gemm_batched_kernelIfLi16ELi16ELi32ELi32ELi8ELi32ELi8ELi8ELi32ELc67ELc84EKDF16_S1_DF16_EEvlllT_PT11_llS4_llS2_PT12_llPT13_lli.kd
    .uniform_work_group_size: 1
    .uses_dynamic_stack: false
    .vgpr_count:     46
    .vgpr_spill_count: 0
    .wavefront_size: 32
    .workgroup_processor_mode: 1
  - .args:
      - .offset:         0
        .size:           8
        .value_kind:     by_value
      - .offset:         8
        .size:           8
        .value_kind:     by_value
      - .offset:         16
        .size:           8
        .value_kind:     by_value
      - .offset:         24
        .size:           4
        .value_kind:     by_value
      - .address_space:  global
        .offset:         32
        .size:           8
        .value_kind:     global_buffer
      - .offset:         40
        .size:           8
        .value_kind:     by_value
      - .offset:         48
        .size:           8
        .value_kind:     by_value
      - .address_space:  global
        .offset:         56
        .size:           8
        .value_kind:     global_buffer
      - .offset:         64
        .size:           8
        .value_kind:     by_value
      - .offset:         72
        .size:           8
        .value_kind:     by_value
      - .offset:         80
        .size:           4
        .value_kind:     by_value
      - .address_space:  global
        .offset:         88
        .size:           8
        .value_kind:     global_buffer
      - .offset:         96
        .size:           8
        .value_kind:     by_value
      - .offset:         104
        .size:           8
        .value_kind:     by_value
      - .address_space:  global
        .offset:         112
        .size:           8
        .value_kind:     global_buffer
      - .offset:         120
        .size:           8
        .value_kind:     by_value
      - .offset:         128
        .size:           8
        .value_kind:     by_value
      - .offset:         136
        .size:           4
        .value_kind:     by_value
    .group_segment_fixed_size: 2048
    .kernarg_segment_align: 8
    .kernarg_segment_size: 140
    .language:       OpenCL C
    .language_version:
      - 2
      - 0
    .max_flat_workgroup_size: 256
    .name:           _ZN12_GLOBAL__N_127rocblas_gemm_batched_kernelIfLi16ELi16ELi32ELi32ELi8ELi32ELi8ELi8ELi32ELc78ELc67EKDF16_S1_DF16_EEvlllT_PT11_llS4_llS2_PT12_llPT13_lli
    .private_segment_fixed_size: 0
    .sgpr_count:     24
    .sgpr_spill_count: 0
    .symbol:         _ZN12_GLOBAL__N_127rocblas_gemm_batched_kernelIfLi16ELi16ELi32ELi32ELi8ELi32ELi8ELi8ELi32ELc78ELc67EKDF16_S1_DF16_EEvlllT_PT11_llS4_llS2_PT12_llPT13_lli.kd
    .uniform_work_group_size: 1
    .uses_dynamic_stack: false
    .vgpr_count:     46
    .vgpr_spill_count: 0
    .wavefront_size: 32
    .workgroup_processor_mode: 1
  - .args:
      - .offset:         0
        .size:           8
        .value_kind:     by_value
      - .offset:         8
        .size:           8
        .value_kind:     by_value
      - .offset:         16
        .size:           8
        .value_kind:     by_value
      - .offset:         24
        .size:           4
        .value_kind:     by_value
      - .address_space:  global
        .offset:         32
        .size:           8
        .value_kind:     global_buffer
      - .offset:         40
        .size:           8
        .value_kind:     by_value
      - .offset:         48
        .size:           8
        .value_kind:     by_value
      - .address_space:  global
        .offset:         56
        .size:           8
        .value_kind:     global_buffer
      - .offset:         64
        .size:           8
        .value_kind:     by_value
      - .offset:         72
        .size:           8
        .value_kind:     by_value
      - .offset:         80
        .size:           4
        .value_kind:     by_value
      - .address_space:  global
        .offset:         88
        .size:           8
        .value_kind:     global_buffer
      - .offset:         96
        .size:           8
        .value_kind:     by_value
      - .offset:         104
        .size:           8
        .value_kind:     by_value
      - .address_space:  global
        .offset:         112
        .size:           8
        .value_kind:     global_buffer
      - .offset:         120
        .size:           8
        .value_kind:     by_value
      - .offset:         128
        .size:           8
        .value_kind:     by_value
      - .offset:         136
        .size:           4
        .value_kind:     by_value
    .group_segment_fixed_size: 2048
    .kernarg_segment_align: 8
    .kernarg_segment_size: 140
    .language:       OpenCL C
    .language_version:
      - 2
      - 0
    .max_flat_workgroup_size: 256
    .name:           _ZN12_GLOBAL__N_127rocblas_gemm_batched_kernelIfLi16ELi16ELi32ELi32ELi8ELi32ELi8ELi8ELi32ELc84ELc67EKDF16_S1_DF16_EEvlllT_PT11_llS4_llS2_PT12_llPT13_lli
    .private_segment_fixed_size: 0
    .sgpr_count:     24
    .sgpr_spill_count: 0
    .symbol:         _ZN12_GLOBAL__N_127rocblas_gemm_batched_kernelIfLi16ELi16ELi32ELi32ELi8ELi32ELi8ELi8ELi32ELc84ELc67EKDF16_S1_DF16_EEvlllT_PT11_llS4_llS2_PT12_llPT13_lli.kd
    .uniform_work_group_size: 1
    .uses_dynamic_stack: false
    .vgpr_count:     46
    .vgpr_spill_count: 0
    .wavefront_size: 32
    .workgroup_processor_mode: 1
  - .args:
      - .offset:         0
        .size:           8
        .value_kind:     by_value
      - .offset:         8
        .size:           8
        .value_kind:     by_value
      - .offset:         16
        .size:           8
        .value_kind:     by_value
      - .offset:         24
        .size:           4
        .value_kind:     by_value
      - .address_space:  global
        .offset:         32
        .size:           8
        .value_kind:     global_buffer
      - .offset:         40
        .size:           8
        .value_kind:     by_value
      - .offset:         48
        .size:           8
        .value_kind:     by_value
      - .address_space:  global
        .offset:         56
        .size:           8
        .value_kind:     global_buffer
      - .offset:         64
        .size:           8
        .value_kind:     by_value
      - .offset:         72
        .size:           8
        .value_kind:     by_value
      - .offset:         80
        .size:           4
        .value_kind:     by_value
      - .address_space:  global
        .offset:         88
        .size:           8
        .value_kind:     global_buffer
      - .offset:         96
        .size:           8
        .value_kind:     by_value
      - .offset:         104
        .size:           8
        .value_kind:     by_value
      - .address_space:  global
        .offset:         112
        .size:           8
        .value_kind:     global_buffer
      - .offset:         120
        .size:           8
        .value_kind:     by_value
      - .offset:         128
        .size:           8
        .value_kind:     by_value
      - .offset:         136
        .size:           4
        .value_kind:     by_value
    .group_segment_fixed_size: 2048
    .kernarg_segment_align: 8
    .kernarg_segment_size: 140
    .language:       OpenCL C
    .language_version:
      - 2
      - 0
    .max_flat_workgroup_size: 256
    .name:           _ZN12_GLOBAL__N_135rocblas_gemm_batched_general_kernelIfLi16ELi16ELi32ELi32ELi8ELi32ELi8ELi8ELi32ELc78ELc78EKDF16_S1_DF16_EEvlllT_PT11_llS4_llS2_PT12_llPT13_lli
    .private_segment_fixed_size: 0
    .sgpr_count:     32
    .sgpr_spill_count: 0
    .symbol:         _ZN12_GLOBAL__N_135rocblas_gemm_batched_general_kernelIfLi16ELi16ELi32ELi32ELi8ELi32ELi8ELi8ELi32ELc78ELc78EKDF16_S1_DF16_EEvlllT_PT11_llS4_llS2_PT12_llPT13_lli.kd
    .uniform_work_group_size: 1
    .uses_dynamic_stack: false
    .vgpr_count:     44
    .vgpr_spill_count: 0
    .wavefront_size: 32
    .workgroup_processor_mode: 1
  - .args:
      - .offset:         0
        .size:           8
        .value_kind:     by_value
      - .offset:         8
        .size:           8
        .value_kind:     by_value
      - .offset:         16
        .size:           8
        .value_kind:     by_value
      - .offset:         24
        .size:           4
        .value_kind:     by_value
      - .address_space:  global
        .offset:         32
        .size:           8
        .value_kind:     global_buffer
      - .offset:         40
        .size:           8
        .value_kind:     by_value
      - .offset:         48
        .size:           8
        .value_kind:     by_value
      - .address_space:  global
        .offset:         56
        .size:           8
        .value_kind:     global_buffer
      - .offset:         64
        .size:           8
        .value_kind:     by_value
      - .offset:         72
        .size:           8
        .value_kind:     by_value
      - .offset:         80
        .size:           4
        .value_kind:     by_value
      - .address_space:  global
        .offset:         88
        .size:           8
        .value_kind:     global_buffer
      - .offset:         96
        .size:           8
        .value_kind:     by_value
      - .offset:         104
        .size:           8
        .value_kind:     by_value
      - .address_space:  global
        .offset:         112
        .size:           8
        .value_kind:     global_buffer
      - .offset:         120
        .size:           8
        .value_kind:     by_value
      - .offset:         128
        .size:           8
        .value_kind:     by_value
      - .offset:         136
        .size:           4
        .value_kind:     by_value
    .group_segment_fixed_size: 2048
    .kernarg_segment_align: 8
    .kernarg_segment_size: 140
    .language:       OpenCL C
    .language_version:
      - 2
      - 0
    .max_flat_workgroup_size: 256
    .name:           _ZN12_GLOBAL__N_135rocblas_gemm_batched_general_kernelIfLi16ELi16ELi32ELi32ELi8ELi32ELi8ELi8ELi32ELc84ELc78EKDF16_S1_DF16_EEvlllT_PT11_llS4_llS2_PT12_llPT13_lli
    .private_segment_fixed_size: 0
    .sgpr_count:     30
    .sgpr_spill_count: 0
    .symbol:         _ZN12_GLOBAL__N_135rocblas_gemm_batched_general_kernelIfLi16ELi16ELi32ELi32ELi8ELi32ELi8ELi8ELi32ELc84ELc78EKDF16_S1_DF16_EEvlllT_PT11_llS4_llS2_PT12_llPT13_lli.kd
    .uniform_work_group_size: 1
    .uses_dynamic_stack: false
    .vgpr_count:     44
    .vgpr_spill_count: 0
    .wavefront_size: 32
    .workgroup_processor_mode: 1
  - .args:
      - .offset:         0
        .size:           8
        .value_kind:     by_value
      - .offset:         8
        .size:           8
        .value_kind:     by_value
      - .offset:         16
        .size:           8
        .value_kind:     by_value
      - .offset:         24
        .size:           4
        .value_kind:     by_value
      - .address_space:  global
        .offset:         32
        .size:           8
        .value_kind:     global_buffer
      - .offset:         40
        .size:           8
        .value_kind:     by_value
      - .offset:         48
        .size:           8
        .value_kind:     by_value
      - .address_space:  global
        .offset:         56
        .size:           8
        .value_kind:     global_buffer
      - .offset:         64
        .size:           8
        .value_kind:     by_value
      - .offset:         72
        .size:           8
        .value_kind:     by_value
      - .offset:         80
        .size:           4
        .value_kind:     by_value
      - .address_space:  global
        .offset:         88
        .size:           8
        .value_kind:     global_buffer
      - .offset:         96
        .size:           8
        .value_kind:     by_value
      - .offset:         104
        .size:           8
        .value_kind:     by_value
      - .address_space:  global
        .offset:         112
        .size:           8
        .value_kind:     global_buffer
      - .offset:         120
        .size:           8
        .value_kind:     by_value
      - .offset:         128
        .size:           8
        .value_kind:     by_value
      - .offset:         136
        .size:           4
        .value_kind:     by_value
    .group_segment_fixed_size: 2048
    .kernarg_segment_align: 8
    .kernarg_segment_size: 140
    .language:       OpenCL C
    .language_version:
      - 2
      - 0
    .max_flat_workgroup_size: 256
    .name:           _ZN12_GLOBAL__N_135rocblas_gemm_batched_general_kernelIfLi16ELi16ELi32ELi32ELi8ELi32ELi8ELi8ELi32ELc78ELc84EKDF16_S1_DF16_EEvlllT_PT11_llS4_llS2_PT12_llPT13_lli
    .private_segment_fixed_size: 0
    .sgpr_count:     36
    .sgpr_spill_count: 0
    .symbol:         _ZN12_GLOBAL__N_135rocblas_gemm_batched_general_kernelIfLi16ELi16ELi32ELi32ELi8ELi32ELi8ELi8ELi32ELc78ELc84EKDF16_S1_DF16_EEvlllT_PT11_llS4_llS2_PT12_llPT13_lli.kd
    .uniform_work_group_size: 1
    .uses_dynamic_stack: false
    .vgpr_count:     44
    .vgpr_spill_count: 0
    .wavefront_size: 32
    .workgroup_processor_mode: 1
  - .args:
      - .offset:         0
        .size:           8
        .value_kind:     by_value
      - .offset:         8
        .size:           8
        .value_kind:     by_value
      - .offset:         16
        .size:           8
        .value_kind:     by_value
      - .offset:         24
        .size:           4
        .value_kind:     by_value
      - .address_space:  global
        .offset:         32
        .size:           8
        .value_kind:     global_buffer
      - .offset:         40
        .size:           8
        .value_kind:     by_value
      - .offset:         48
        .size:           8
        .value_kind:     by_value
      - .address_space:  global
        .offset:         56
        .size:           8
        .value_kind:     global_buffer
      - .offset:         64
        .size:           8
        .value_kind:     by_value
      - .offset:         72
        .size:           8
        .value_kind:     by_value
      - .offset:         80
        .size:           4
        .value_kind:     by_value
      - .address_space:  global
        .offset:         88
        .size:           8
        .value_kind:     global_buffer
      - .offset:         96
        .size:           8
        .value_kind:     by_value
      - .offset:         104
        .size:           8
        .value_kind:     by_value
      - .address_space:  global
        .offset:         112
        .size:           8
        .value_kind:     global_buffer
      - .offset:         120
        .size:           8
        .value_kind:     by_value
      - .offset:         128
        .size:           8
        .value_kind:     by_value
      - .offset:         136
        .size:           4
        .value_kind:     by_value
    .group_segment_fixed_size: 2048
    .kernarg_segment_align: 8
    .kernarg_segment_size: 140
    .language:       OpenCL C
    .language_version:
      - 2
      - 0
    .max_flat_workgroup_size: 256
    .name:           _ZN12_GLOBAL__N_135rocblas_gemm_batched_general_kernelIfLi16ELi16ELi32ELi32ELi8ELi32ELi8ELi8ELi32ELc84ELc84EKDF16_S1_DF16_EEvlllT_PT11_llS4_llS2_PT12_llPT13_lli
    .private_segment_fixed_size: 0
    .sgpr_count:     32
    .sgpr_spill_count: 0
    .symbol:         _ZN12_GLOBAL__N_135rocblas_gemm_batched_general_kernelIfLi16ELi16ELi32ELi32ELi8ELi32ELi8ELi8ELi32ELc84ELc84EKDF16_S1_DF16_EEvlllT_PT11_llS4_llS2_PT12_llPT13_lli.kd
    .uniform_work_group_size: 1
    .uses_dynamic_stack: false
    .vgpr_count:     44
    .vgpr_spill_count: 0
    .wavefront_size: 32
    .workgroup_processor_mode: 1
  - .args:
      - .offset:         0
        .size:           8
        .value_kind:     by_value
      - .offset:         8
        .size:           8
        .value_kind:     by_value
      - .offset:         16
        .size:           8
        .value_kind:     by_value
      - .offset:         24
        .size:           4
        .value_kind:     by_value
      - .address_space:  global
        .offset:         32
        .size:           8
        .value_kind:     global_buffer
      - .offset:         40
        .size:           8
        .value_kind:     by_value
      - .offset:         48
        .size:           8
        .value_kind:     by_value
      - .address_space:  global
        .offset:         56
        .size:           8
        .value_kind:     global_buffer
      - .offset:         64
        .size:           8
        .value_kind:     by_value
      - .offset:         72
        .size:           8
        .value_kind:     by_value
      - .offset:         80
        .size:           4
        .value_kind:     by_value
      - .address_space:  global
        .offset:         88
        .size:           8
        .value_kind:     global_buffer
      - .offset:         96
        .size:           8
        .value_kind:     by_value
      - .offset:         104
        .size:           8
        .value_kind:     by_value
      - .address_space:  global
        .offset:         112
        .size:           8
        .value_kind:     global_buffer
      - .offset:         120
        .size:           8
        .value_kind:     by_value
      - .offset:         128
        .size:           8
        .value_kind:     by_value
      - .offset:         136
        .size:           4
        .value_kind:     by_value
    .group_segment_fixed_size: 2048
    .kernarg_segment_align: 8
    .kernarg_segment_size: 140
    .language:       OpenCL C
    .language_version:
      - 2
      - 0
    .max_flat_workgroup_size: 256
    .name:           _ZN12_GLOBAL__N_135rocblas_gemm_batched_general_kernelIfLi16ELi16ELi32ELi32ELi8ELi32ELi8ELi8ELi32ELc67ELc67EKDF16_S1_DF16_EEvlllT_PT11_llS4_llS2_PT12_llPT13_lli
    .private_segment_fixed_size: 0
    .sgpr_count:     32
    .sgpr_spill_count: 0
    .symbol:         _ZN12_GLOBAL__N_135rocblas_gemm_batched_general_kernelIfLi16ELi16ELi32ELi32ELi8ELi32ELi8ELi8ELi32ELc67ELc67EKDF16_S1_DF16_EEvlllT_PT11_llS4_llS2_PT12_llPT13_lli.kd
    .uniform_work_group_size: 1
    .uses_dynamic_stack: false
    .vgpr_count:     44
    .vgpr_spill_count: 0
    .wavefront_size: 32
    .workgroup_processor_mode: 1
  - .args:
      - .offset:         0
        .size:           8
        .value_kind:     by_value
      - .offset:         8
        .size:           8
        .value_kind:     by_value
      - .offset:         16
        .size:           8
        .value_kind:     by_value
      - .offset:         24
        .size:           4
        .value_kind:     by_value
      - .address_space:  global
        .offset:         32
        .size:           8
        .value_kind:     global_buffer
      - .offset:         40
        .size:           8
        .value_kind:     by_value
      - .offset:         48
        .size:           8
        .value_kind:     by_value
      - .address_space:  global
        .offset:         56
        .size:           8
        .value_kind:     global_buffer
      - .offset:         64
        .size:           8
        .value_kind:     by_value
      - .offset:         72
        .size:           8
        .value_kind:     by_value
      - .offset:         80
        .size:           4
        .value_kind:     by_value
      - .address_space:  global
        .offset:         88
        .size:           8
        .value_kind:     global_buffer
      - .offset:         96
        .size:           8
        .value_kind:     by_value
      - .offset:         104
        .size:           8
        .value_kind:     by_value
      - .address_space:  global
        .offset:         112
        .size:           8
        .value_kind:     global_buffer
      - .offset:         120
        .size:           8
        .value_kind:     by_value
      - .offset:         128
        .size:           8
        .value_kind:     by_value
      - .offset:         136
        .size:           4
        .value_kind:     by_value
    .group_segment_fixed_size: 2048
    .kernarg_segment_align: 8
    .kernarg_segment_size: 140
    .language:       OpenCL C
    .language_version:
      - 2
      - 0
    .max_flat_workgroup_size: 256
    .name:           _ZN12_GLOBAL__N_135rocblas_gemm_batched_general_kernelIfLi16ELi16ELi32ELi32ELi8ELi32ELi8ELi8ELi32ELc67ELc78EKDF16_S1_DF16_EEvlllT_PT11_llS4_llS2_PT12_llPT13_lli
    .private_segment_fixed_size: 0
    .sgpr_count:     30
    .sgpr_spill_count: 0
    .symbol:         _ZN12_GLOBAL__N_135rocblas_gemm_batched_general_kernelIfLi16ELi16ELi32ELi32ELi8ELi32ELi8ELi8ELi32ELc67ELc78EKDF16_S1_DF16_EEvlllT_PT11_llS4_llS2_PT12_llPT13_lli.kd
    .uniform_work_group_size: 1
    .uses_dynamic_stack: false
    .vgpr_count:     44
    .vgpr_spill_count: 0
    .wavefront_size: 32
    .workgroup_processor_mode: 1
  - .args:
      - .offset:         0
        .size:           8
        .value_kind:     by_value
      - .offset:         8
        .size:           8
        .value_kind:     by_value
      - .offset:         16
        .size:           8
        .value_kind:     by_value
      - .offset:         24
        .size:           4
        .value_kind:     by_value
      - .address_space:  global
        .offset:         32
        .size:           8
        .value_kind:     global_buffer
      - .offset:         40
        .size:           8
        .value_kind:     by_value
      - .offset:         48
        .size:           8
        .value_kind:     by_value
      - .address_space:  global
        .offset:         56
        .size:           8
        .value_kind:     global_buffer
      - .offset:         64
        .size:           8
        .value_kind:     by_value
      - .offset:         72
        .size:           8
        .value_kind:     by_value
      - .offset:         80
        .size:           4
        .value_kind:     by_value
      - .address_space:  global
        .offset:         88
        .size:           8
        .value_kind:     global_buffer
      - .offset:         96
        .size:           8
        .value_kind:     by_value
      - .offset:         104
        .size:           8
        .value_kind:     by_value
      - .address_space:  global
        .offset:         112
        .size:           8
        .value_kind:     global_buffer
      - .offset:         120
        .size:           8
        .value_kind:     by_value
      - .offset:         128
        .size:           8
        .value_kind:     by_value
      - .offset:         136
        .size:           4
        .value_kind:     by_value
    .group_segment_fixed_size: 2048
    .kernarg_segment_align: 8
    .kernarg_segment_size: 140
    .language:       OpenCL C
    .language_version:
      - 2
      - 0
    .max_flat_workgroup_size: 256
    .name:           _ZN12_GLOBAL__N_135rocblas_gemm_batched_general_kernelIfLi16ELi16ELi32ELi32ELi8ELi32ELi8ELi8ELi32ELc67ELc84EKDF16_S1_DF16_EEvlllT_PT11_llS4_llS2_PT12_llPT13_lli
    .private_segment_fixed_size: 0
    .sgpr_count:     32
    .sgpr_spill_count: 0
    .symbol:         _ZN12_GLOBAL__N_135rocblas_gemm_batched_general_kernelIfLi16ELi16ELi32ELi32ELi8ELi32ELi8ELi8ELi32ELc67ELc84EKDF16_S1_DF16_EEvlllT_PT11_llS4_llS2_PT12_llPT13_lli.kd
    .uniform_work_group_size: 1
    .uses_dynamic_stack: false
    .vgpr_count:     44
    .vgpr_spill_count: 0
    .wavefront_size: 32
    .workgroup_processor_mode: 1
  - .args:
      - .offset:         0
        .size:           8
        .value_kind:     by_value
      - .offset:         8
        .size:           8
        .value_kind:     by_value
      - .offset:         16
        .size:           8
        .value_kind:     by_value
      - .offset:         24
        .size:           4
        .value_kind:     by_value
      - .address_space:  global
        .offset:         32
        .size:           8
        .value_kind:     global_buffer
      - .offset:         40
        .size:           8
        .value_kind:     by_value
      - .offset:         48
        .size:           8
        .value_kind:     by_value
      - .address_space:  global
        .offset:         56
        .size:           8
        .value_kind:     global_buffer
      - .offset:         64
        .size:           8
        .value_kind:     by_value
      - .offset:         72
        .size:           8
        .value_kind:     by_value
      - .offset:         80
        .size:           4
        .value_kind:     by_value
      - .address_space:  global
        .offset:         88
        .size:           8
        .value_kind:     global_buffer
      - .offset:         96
        .size:           8
        .value_kind:     by_value
      - .offset:         104
        .size:           8
        .value_kind:     by_value
      - .address_space:  global
        .offset:         112
        .size:           8
        .value_kind:     global_buffer
      - .offset:         120
        .size:           8
        .value_kind:     by_value
      - .offset:         128
        .size:           8
        .value_kind:     by_value
      - .offset:         136
        .size:           4
        .value_kind:     by_value
    .group_segment_fixed_size: 2048
    .kernarg_segment_align: 8
    .kernarg_segment_size: 140
    .language:       OpenCL C
    .language_version:
      - 2
      - 0
    .max_flat_workgroup_size: 256
    .name:           _ZN12_GLOBAL__N_135rocblas_gemm_batched_general_kernelIfLi16ELi16ELi32ELi32ELi8ELi32ELi8ELi8ELi32ELc78ELc67EKDF16_S1_DF16_EEvlllT_PT11_llS4_llS2_PT12_llPT13_lli
    .private_segment_fixed_size: 0
    .sgpr_count:     36
    .sgpr_spill_count: 0
    .symbol:         _ZN12_GLOBAL__N_135rocblas_gemm_batched_general_kernelIfLi16ELi16ELi32ELi32ELi8ELi32ELi8ELi8ELi32ELc78ELc67EKDF16_S1_DF16_EEvlllT_PT11_llS4_llS2_PT12_llPT13_lli.kd
    .uniform_work_group_size: 1
    .uses_dynamic_stack: false
    .vgpr_count:     44
    .vgpr_spill_count: 0
    .wavefront_size: 32
    .workgroup_processor_mode: 1
  - .args:
      - .offset:         0
        .size:           8
        .value_kind:     by_value
      - .offset:         8
        .size:           8
        .value_kind:     by_value
      - .offset:         16
        .size:           8
        .value_kind:     by_value
      - .offset:         24
        .size:           4
        .value_kind:     by_value
      - .address_space:  global
        .offset:         32
        .size:           8
        .value_kind:     global_buffer
      - .offset:         40
        .size:           8
        .value_kind:     by_value
      - .offset:         48
        .size:           8
        .value_kind:     by_value
      - .address_space:  global
        .offset:         56
        .size:           8
        .value_kind:     global_buffer
      - .offset:         64
        .size:           8
        .value_kind:     by_value
      - .offset:         72
        .size:           8
        .value_kind:     by_value
      - .offset:         80
        .size:           4
        .value_kind:     by_value
      - .address_space:  global
        .offset:         88
        .size:           8
        .value_kind:     global_buffer
      - .offset:         96
        .size:           8
        .value_kind:     by_value
      - .offset:         104
        .size:           8
        .value_kind:     by_value
      - .address_space:  global
        .offset:         112
        .size:           8
        .value_kind:     global_buffer
      - .offset:         120
        .size:           8
        .value_kind:     by_value
      - .offset:         128
        .size:           8
        .value_kind:     by_value
      - .offset:         136
        .size:           4
        .value_kind:     by_value
    .group_segment_fixed_size: 2048
    .kernarg_segment_align: 8
    .kernarg_segment_size: 140
    .language:       OpenCL C
    .language_version:
      - 2
      - 0
    .max_flat_workgroup_size: 256
    .name:           _ZN12_GLOBAL__N_135rocblas_gemm_batched_general_kernelIfLi16ELi16ELi32ELi32ELi8ELi32ELi8ELi8ELi32ELc84ELc67EKDF16_S1_DF16_EEvlllT_PT11_llS4_llS2_PT12_llPT13_lli
    .private_segment_fixed_size: 0
    .sgpr_count:     32
    .sgpr_spill_count: 0
    .symbol:         _ZN12_GLOBAL__N_135rocblas_gemm_batched_general_kernelIfLi16ELi16ELi32ELi32ELi8ELi32ELi8ELi8ELi32ELc84ELc67EKDF16_S1_DF16_EEvlllT_PT11_llS4_llS2_PT12_llPT13_lli.kd
    .uniform_work_group_size: 1
    .uses_dynamic_stack: false
    .vgpr_count:     44
    .vgpr_spill_count: 0
    .wavefront_size: 32
    .workgroup_processor_mode: 1
  - .args:
      - .offset:         0
        .size:           8
        .value_kind:     by_value
      - .offset:         8
        .size:           8
        .value_kind:     by_value
      - .offset:         16
        .size:           8
        .value_kind:     by_value
      - .offset:         24
        .size:           4
        .value_kind:     by_value
      - .address_space:  global
        .offset:         32
        .size:           8
        .value_kind:     global_buffer
      - .offset:         40
        .size:           8
        .value_kind:     by_value
      - .offset:         48
        .size:           8
        .value_kind:     by_value
      - .address_space:  global
        .offset:         56
        .size:           8
        .value_kind:     global_buffer
      - .offset:         64
        .size:           8
        .value_kind:     by_value
      - .offset:         72
        .size:           8
        .value_kind:     by_value
      - .offset:         80
        .size:           4
        .value_kind:     by_value
      - .address_space:  global
        .offset:         88
        .size:           8
        .value_kind:     global_buffer
      - .offset:         96
        .size:           8
        .value_kind:     by_value
      - .offset:         104
        .size:           8
        .value_kind:     by_value
      - .address_space:  global
        .offset:         112
        .size:           8
        .value_kind:     global_buffer
      - .offset:         120
        .size:           8
        .value_kind:     by_value
      - .offset:         128
        .size:           8
        .value_kind:     by_value
      - .offset:         136
        .size:           4
        .value_kind:     by_value
    .group_segment_fixed_size: 2048
    .kernarg_segment_align: 8
    .kernarg_segment_size: 140
    .language:       OpenCL C
    .language_version:
      - 2
      - 0
    .max_flat_workgroup_size: 256
    .name:           _ZN12_GLOBAL__N_127rocblas_gemm_batched_kernelIfLi16ELi16ELi64ELi64ELi4ELi64ELi4ELi4ELi64ELc78ELc78EKDF16_KffEEvlllT_PT11_llS5_llS3_PT12_llPT13_lli
    .private_segment_fixed_size: 0
    .sgpr_count:     24
    .sgpr_spill_count: 0
    .symbol:         _ZN12_GLOBAL__N_127rocblas_gemm_batched_kernelIfLi16ELi16ELi64ELi64ELi4ELi64ELi4ELi4ELi64ELc78ELc78EKDF16_KffEEvlllT_PT11_llS5_llS3_PT12_llPT13_lli.kd
    .uniform_work_group_size: 1
    .uses_dynamic_stack: false
    .vgpr_count:     58
    .vgpr_spill_count: 0
    .wavefront_size: 32
    .workgroup_processor_mode: 1
  - .args:
      - .offset:         0
        .size:           8
        .value_kind:     by_value
      - .offset:         8
        .size:           8
        .value_kind:     by_value
      - .offset:         16
        .size:           8
        .value_kind:     by_value
      - .offset:         24
        .size:           4
        .value_kind:     by_value
      - .address_space:  global
        .offset:         32
        .size:           8
        .value_kind:     global_buffer
      - .offset:         40
        .size:           8
        .value_kind:     by_value
      - .offset:         48
        .size:           8
        .value_kind:     by_value
      - .address_space:  global
        .offset:         56
        .size:           8
        .value_kind:     global_buffer
      - .offset:         64
        .size:           8
        .value_kind:     by_value
      - .offset:         72
        .size:           8
        .value_kind:     by_value
      - .offset:         80
        .size:           4
        .value_kind:     by_value
      - .address_space:  global
        .offset:         88
        .size:           8
        .value_kind:     global_buffer
      - .offset:         96
        .size:           8
        .value_kind:     by_value
      - .offset:         104
        .size:           8
        .value_kind:     by_value
      - .address_space:  global
        .offset:         112
        .size:           8
        .value_kind:     global_buffer
      - .offset:         120
        .size:           8
        .value_kind:     by_value
      - .offset:         128
        .size:           8
        .value_kind:     by_value
      - .offset:         136
        .size:           4
        .value_kind:     by_value
    .group_segment_fixed_size: 2048
    .kernarg_segment_align: 8
    .kernarg_segment_size: 140
    .language:       OpenCL C
    .language_version:
      - 2
      - 0
    .max_flat_workgroup_size: 256
    .name:           _ZN12_GLOBAL__N_127rocblas_gemm_batched_kernelIfLi16ELi16ELi64ELi64ELi4ELi64ELi4ELi4ELi64ELc84ELc78EKDF16_KffEEvlllT_PT11_llS5_llS3_PT12_llPT13_lli
    .private_segment_fixed_size: 0
    .sgpr_count:     24
    .sgpr_spill_count: 0
    .symbol:         _ZN12_GLOBAL__N_127rocblas_gemm_batched_kernelIfLi16ELi16ELi64ELi64ELi4ELi64ELi4ELi4ELi64ELc84ELc78EKDF16_KffEEvlllT_PT11_llS5_llS3_PT12_llPT13_lli.kd
    .uniform_work_group_size: 1
    .uses_dynamic_stack: false
    .vgpr_count:     58
    .vgpr_spill_count: 0
    .wavefront_size: 32
    .workgroup_processor_mode: 1
  - .args:
      - .offset:         0
        .size:           8
        .value_kind:     by_value
      - .offset:         8
        .size:           8
        .value_kind:     by_value
      - .offset:         16
        .size:           8
        .value_kind:     by_value
      - .offset:         24
        .size:           4
        .value_kind:     by_value
      - .address_space:  global
        .offset:         32
        .size:           8
        .value_kind:     global_buffer
      - .offset:         40
        .size:           8
        .value_kind:     by_value
      - .offset:         48
        .size:           8
        .value_kind:     by_value
      - .address_space:  global
        .offset:         56
        .size:           8
        .value_kind:     global_buffer
      - .offset:         64
        .size:           8
        .value_kind:     by_value
      - .offset:         72
        .size:           8
        .value_kind:     by_value
      - .offset:         80
        .size:           4
        .value_kind:     by_value
      - .address_space:  global
        .offset:         88
        .size:           8
        .value_kind:     global_buffer
      - .offset:         96
        .size:           8
        .value_kind:     by_value
      - .offset:         104
        .size:           8
        .value_kind:     by_value
      - .address_space:  global
        .offset:         112
        .size:           8
        .value_kind:     global_buffer
      - .offset:         120
        .size:           8
        .value_kind:     by_value
      - .offset:         128
        .size:           8
        .value_kind:     by_value
      - .offset:         136
        .size:           4
        .value_kind:     by_value
    .group_segment_fixed_size: 2048
    .kernarg_segment_align: 8
    .kernarg_segment_size: 140
    .language:       OpenCL C
    .language_version:
      - 2
      - 0
    .max_flat_workgroup_size: 256
    .name:           _ZN12_GLOBAL__N_127rocblas_gemm_batched_kernelIfLi16ELi16ELi64ELi64ELi4ELi64ELi4ELi4ELi64ELc78ELc84EKDF16_KffEEvlllT_PT11_llS5_llS3_PT12_llPT13_lli
    .private_segment_fixed_size: 0
    .sgpr_count:     25
    .sgpr_spill_count: 0
    .symbol:         _ZN12_GLOBAL__N_127rocblas_gemm_batched_kernelIfLi16ELi16ELi64ELi64ELi4ELi64ELi4ELi4ELi64ELc78ELc84EKDF16_KffEEvlllT_PT11_llS5_llS3_PT12_llPT13_lli.kd
    .uniform_work_group_size: 1
    .uses_dynamic_stack: false
    .vgpr_count:     58
    .vgpr_spill_count: 0
    .wavefront_size: 32
    .workgroup_processor_mode: 1
  - .args:
      - .offset:         0
        .size:           8
        .value_kind:     by_value
      - .offset:         8
        .size:           8
        .value_kind:     by_value
      - .offset:         16
        .size:           8
        .value_kind:     by_value
      - .offset:         24
        .size:           4
        .value_kind:     by_value
      - .address_space:  global
        .offset:         32
        .size:           8
        .value_kind:     global_buffer
      - .offset:         40
        .size:           8
        .value_kind:     by_value
      - .offset:         48
        .size:           8
        .value_kind:     by_value
      - .address_space:  global
        .offset:         56
        .size:           8
        .value_kind:     global_buffer
      - .offset:         64
        .size:           8
        .value_kind:     by_value
      - .offset:         72
        .size:           8
        .value_kind:     by_value
      - .offset:         80
        .size:           4
        .value_kind:     by_value
      - .address_space:  global
        .offset:         88
        .size:           8
        .value_kind:     global_buffer
      - .offset:         96
        .size:           8
        .value_kind:     by_value
      - .offset:         104
        .size:           8
        .value_kind:     by_value
      - .address_space:  global
        .offset:         112
        .size:           8
        .value_kind:     global_buffer
      - .offset:         120
        .size:           8
        .value_kind:     by_value
      - .offset:         128
        .size:           8
        .value_kind:     by_value
      - .offset:         136
        .size:           4
        .value_kind:     by_value
    .group_segment_fixed_size: 2048
    .kernarg_segment_align: 8
    .kernarg_segment_size: 140
    .language:       OpenCL C
    .language_version:
      - 2
      - 0
    .max_flat_workgroup_size: 256
    .name:           _ZN12_GLOBAL__N_127rocblas_gemm_batched_kernelIfLi16ELi16ELi64ELi64ELi4ELi64ELi4ELi4ELi64ELc84ELc84EKDF16_KffEEvlllT_PT11_llS5_llS3_PT12_llPT13_lli
    .private_segment_fixed_size: 0
    .sgpr_count:     24
    .sgpr_spill_count: 0
    .symbol:         _ZN12_GLOBAL__N_127rocblas_gemm_batched_kernelIfLi16ELi16ELi64ELi64ELi4ELi64ELi4ELi4ELi64ELc84ELc84EKDF16_KffEEvlllT_PT11_llS5_llS3_PT12_llPT13_lli.kd
    .uniform_work_group_size: 1
    .uses_dynamic_stack: false
    .vgpr_count:     58
    .vgpr_spill_count: 0
    .wavefront_size: 32
    .workgroup_processor_mode: 1
  - .args:
      - .offset:         0
        .size:           8
        .value_kind:     by_value
      - .offset:         8
        .size:           8
        .value_kind:     by_value
      - .offset:         16
        .size:           8
        .value_kind:     by_value
      - .offset:         24
        .size:           4
        .value_kind:     by_value
      - .address_space:  global
        .offset:         32
        .size:           8
        .value_kind:     global_buffer
      - .offset:         40
        .size:           8
        .value_kind:     by_value
      - .offset:         48
        .size:           8
        .value_kind:     by_value
      - .address_space:  global
        .offset:         56
        .size:           8
        .value_kind:     global_buffer
      - .offset:         64
        .size:           8
        .value_kind:     by_value
      - .offset:         72
        .size:           8
        .value_kind:     by_value
      - .offset:         80
        .size:           4
        .value_kind:     by_value
      - .address_space:  global
        .offset:         88
        .size:           8
        .value_kind:     global_buffer
      - .offset:         96
        .size:           8
        .value_kind:     by_value
      - .offset:         104
        .size:           8
        .value_kind:     by_value
      - .address_space:  global
        .offset:         112
        .size:           8
        .value_kind:     global_buffer
      - .offset:         120
        .size:           8
        .value_kind:     by_value
      - .offset:         128
        .size:           8
        .value_kind:     by_value
      - .offset:         136
        .size:           4
        .value_kind:     by_value
    .group_segment_fixed_size: 2048
    .kernarg_segment_align: 8
    .kernarg_segment_size: 140
    .language:       OpenCL C
    .language_version:
      - 2
      - 0
    .max_flat_workgroup_size: 256
    .name:           _ZN12_GLOBAL__N_127rocblas_gemm_batched_kernelIfLi16ELi16ELi64ELi64ELi4ELi64ELi4ELi4ELi64ELc67ELc67EKDF16_KffEEvlllT_PT11_llS5_llS3_PT12_llPT13_lli
    .private_segment_fixed_size: 0
    .sgpr_count:     24
    .sgpr_spill_count: 0
    .symbol:         _ZN12_GLOBAL__N_127rocblas_gemm_batched_kernelIfLi16ELi16ELi64ELi64ELi4ELi64ELi4ELi4ELi64ELc67ELc67EKDF16_KffEEvlllT_PT11_llS5_llS3_PT12_llPT13_lli.kd
    .uniform_work_group_size: 1
    .uses_dynamic_stack: false
    .vgpr_count:     58
    .vgpr_spill_count: 0
    .wavefront_size: 32
    .workgroup_processor_mode: 1
  - .args:
      - .offset:         0
        .size:           8
        .value_kind:     by_value
      - .offset:         8
        .size:           8
        .value_kind:     by_value
      - .offset:         16
        .size:           8
        .value_kind:     by_value
      - .offset:         24
        .size:           4
        .value_kind:     by_value
      - .address_space:  global
        .offset:         32
        .size:           8
        .value_kind:     global_buffer
      - .offset:         40
        .size:           8
        .value_kind:     by_value
      - .offset:         48
        .size:           8
        .value_kind:     by_value
      - .address_space:  global
        .offset:         56
        .size:           8
        .value_kind:     global_buffer
      - .offset:         64
        .size:           8
        .value_kind:     by_value
      - .offset:         72
        .size:           8
        .value_kind:     by_value
      - .offset:         80
        .size:           4
        .value_kind:     by_value
      - .address_space:  global
        .offset:         88
        .size:           8
        .value_kind:     global_buffer
      - .offset:         96
        .size:           8
        .value_kind:     by_value
      - .offset:         104
        .size:           8
        .value_kind:     by_value
      - .address_space:  global
        .offset:         112
        .size:           8
        .value_kind:     global_buffer
      - .offset:         120
        .size:           8
        .value_kind:     by_value
      - .offset:         128
        .size:           8
        .value_kind:     by_value
      - .offset:         136
        .size:           4
        .value_kind:     by_value
    .group_segment_fixed_size: 2048
    .kernarg_segment_align: 8
    .kernarg_segment_size: 140
    .language:       OpenCL C
    .language_version:
      - 2
      - 0
    .max_flat_workgroup_size: 256
    .name:           _ZN12_GLOBAL__N_127rocblas_gemm_batched_kernelIfLi16ELi16ELi64ELi64ELi4ELi64ELi4ELi4ELi64ELc67ELc78EKDF16_KffEEvlllT_PT11_llS5_llS3_PT12_llPT13_lli
    .private_segment_fixed_size: 0
    .sgpr_count:     24
    .sgpr_spill_count: 0
    .symbol:         _ZN12_GLOBAL__N_127rocblas_gemm_batched_kernelIfLi16ELi16ELi64ELi64ELi4ELi64ELi4ELi4ELi64ELc67ELc78EKDF16_KffEEvlllT_PT11_llS5_llS3_PT12_llPT13_lli.kd
    .uniform_work_group_size: 1
    .uses_dynamic_stack: false
    .vgpr_count:     58
    .vgpr_spill_count: 0
    .wavefront_size: 32
    .workgroup_processor_mode: 1
  - .args:
      - .offset:         0
        .size:           8
        .value_kind:     by_value
      - .offset:         8
        .size:           8
        .value_kind:     by_value
      - .offset:         16
        .size:           8
        .value_kind:     by_value
      - .offset:         24
        .size:           4
        .value_kind:     by_value
      - .address_space:  global
        .offset:         32
        .size:           8
        .value_kind:     global_buffer
      - .offset:         40
        .size:           8
        .value_kind:     by_value
      - .offset:         48
        .size:           8
        .value_kind:     by_value
      - .address_space:  global
        .offset:         56
        .size:           8
        .value_kind:     global_buffer
      - .offset:         64
        .size:           8
        .value_kind:     by_value
      - .offset:         72
        .size:           8
        .value_kind:     by_value
      - .offset:         80
        .size:           4
        .value_kind:     by_value
      - .address_space:  global
        .offset:         88
        .size:           8
        .value_kind:     global_buffer
      - .offset:         96
        .size:           8
        .value_kind:     by_value
      - .offset:         104
        .size:           8
        .value_kind:     by_value
      - .address_space:  global
        .offset:         112
        .size:           8
        .value_kind:     global_buffer
      - .offset:         120
        .size:           8
        .value_kind:     by_value
      - .offset:         128
        .size:           8
        .value_kind:     by_value
      - .offset:         136
        .size:           4
        .value_kind:     by_value
    .group_segment_fixed_size: 2048
    .kernarg_segment_align: 8
    .kernarg_segment_size: 140
    .language:       OpenCL C
    .language_version:
      - 2
      - 0
    .max_flat_workgroup_size: 256
    .name:           _ZN12_GLOBAL__N_127rocblas_gemm_batched_kernelIfLi16ELi16ELi64ELi64ELi4ELi64ELi4ELi4ELi64ELc67ELc84EKDF16_KffEEvlllT_PT11_llS5_llS3_PT12_llPT13_lli
    .private_segment_fixed_size: 0
    .sgpr_count:     24
    .sgpr_spill_count: 0
    .symbol:         _ZN12_GLOBAL__N_127rocblas_gemm_batched_kernelIfLi16ELi16ELi64ELi64ELi4ELi64ELi4ELi4ELi64ELc67ELc84EKDF16_KffEEvlllT_PT11_llS5_llS3_PT12_llPT13_lli.kd
    .uniform_work_group_size: 1
    .uses_dynamic_stack: false
    .vgpr_count:     58
    .vgpr_spill_count: 0
    .wavefront_size: 32
    .workgroup_processor_mode: 1
  - .args:
      - .offset:         0
        .size:           8
        .value_kind:     by_value
      - .offset:         8
        .size:           8
        .value_kind:     by_value
      - .offset:         16
        .size:           8
        .value_kind:     by_value
      - .offset:         24
        .size:           4
        .value_kind:     by_value
      - .address_space:  global
        .offset:         32
        .size:           8
        .value_kind:     global_buffer
      - .offset:         40
        .size:           8
        .value_kind:     by_value
      - .offset:         48
        .size:           8
        .value_kind:     by_value
      - .address_space:  global
        .offset:         56
        .size:           8
        .value_kind:     global_buffer
      - .offset:         64
        .size:           8
        .value_kind:     by_value
      - .offset:         72
        .size:           8
        .value_kind:     by_value
      - .offset:         80
        .size:           4
        .value_kind:     by_value
      - .address_space:  global
        .offset:         88
        .size:           8
        .value_kind:     global_buffer
      - .offset:         96
        .size:           8
        .value_kind:     by_value
      - .offset:         104
        .size:           8
        .value_kind:     by_value
      - .address_space:  global
        .offset:         112
        .size:           8
        .value_kind:     global_buffer
      - .offset:         120
        .size:           8
        .value_kind:     by_value
      - .offset:         128
        .size:           8
        .value_kind:     by_value
      - .offset:         136
        .size:           4
        .value_kind:     by_value
    .group_segment_fixed_size: 2048
    .kernarg_segment_align: 8
    .kernarg_segment_size: 140
    .language:       OpenCL C
    .language_version:
      - 2
      - 0
    .max_flat_workgroup_size: 256
    .name:           _ZN12_GLOBAL__N_127rocblas_gemm_batched_kernelIfLi16ELi16ELi64ELi64ELi4ELi64ELi4ELi4ELi64ELc78ELc67EKDF16_KffEEvlllT_PT11_llS5_llS3_PT12_llPT13_lli
    .private_segment_fixed_size: 0
    .sgpr_count:     25
    .sgpr_spill_count: 0
    .symbol:         _ZN12_GLOBAL__N_127rocblas_gemm_batched_kernelIfLi16ELi16ELi64ELi64ELi4ELi64ELi4ELi4ELi64ELc78ELc67EKDF16_KffEEvlllT_PT11_llS5_llS3_PT12_llPT13_lli.kd
    .uniform_work_group_size: 1
    .uses_dynamic_stack: false
    .vgpr_count:     58
    .vgpr_spill_count: 0
    .wavefront_size: 32
    .workgroup_processor_mode: 1
  - .args:
      - .offset:         0
        .size:           8
        .value_kind:     by_value
      - .offset:         8
        .size:           8
        .value_kind:     by_value
      - .offset:         16
        .size:           8
        .value_kind:     by_value
      - .offset:         24
        .size:           4
        .value_kind:     by_value
      - .address_space:  global
        .offset:         32
        .size:           8
        .value_kind:     global_buffer
      - .offset:         40
        .size:           8
        .value_kind:     by_value
      - .offset:         48
        .size:           8
        .value_kind:     by_value
      - .address_space:  global
        .offset:         56
        .size:           8
        .value_kind:     global_buffer
      - .offset:         64
        .size:           8
        .value_kind:     by_value
      - .offset:         72
        .size:           8
        .value_kind:     by_value
      - .offset:         80
        .size:           4
        .value_kind:     by_value
      - .address_space:  global
        .offset:         88
        .size:           8
        .value_kind:     global_buffer
      - .offset:         96
        .size:           8
        .value_kind:     by_value
      - .offset:         104
        .size:           8
        .value_kind:     by_value
      - .address_space:  global
        .offset:         112
        .size:           8
        .value_kind:     global_buffer
      - .offset:         120
        .size:           8
        .value_kind:     by_value
      - .offset:         128
        .size:           8
        .value_kind:     by_value
      - .offset:         136
        .size:           4
        .value_kind:     by_value
    .group_segment_fixed_size: 2048
    .kernarg_segment_align: 8
    .kernarg_segment_size: 140
    .language:       OpenCL C
    .language_version:
      - 2
      - 0
    .max_flat_workgroup_size: 256
    .name:           _ZN12_GLOBAL__N_127rocblas_gemm_batched_kernelIfLi16ELi16ELi64ELi64ELi4ELi64ELi4ELi4ELi64ELc84ELc67EKDF16_KffEEvlllT_PT11_llS5_llS3_PT12_llPT13_lli
    .private_segment_fixed_size: 0
    .sgpr_count:     24
    .sgpr_spill_count: 0
    .symbol:         _ZN12_GLOBAL__N_127rocblas_gemm_batched_kernelIfLi16ELi16ELi64ELi64ELi4ELi64ELi4ELi4ELi64ELc84ELc67EKDF16_KffEEvlllT_PT11_llS5_llS3_PT12_llPT13_lli.kd
    .uniform_work_group_size: 1
    .uses_dynamic_stack: false
    .vgpr_count:     58
    .vgpr_spill_count: 0
    .wavefront_size: 32
    .workgroup_processor_mode: 1
  - .args:
      - .offset:         0
        .size:           8
        .value_kind:     by_value
      - .offset:         8
        .size:           8
        .value_kind:     by_value
      - .offset:         16
        .size:           8
        .value_kind:     by_value
      - .offset:         24
        .size:           4
        .value_kind:     by_value
      - .address_space:  global
        .offset:         32
        .size:           8
        .value_kind:     global_buffer
      - .offset:         40
        .size:           8
        .value_kind:     by_value
      - .offset:         48
        .size:           8
        .value_kind:     by_value
      - .address_space:  global
        .offset:         56
        .size:           8
        .value_kind:     global_buffer
      - .offset:         64
        .size:           8
        .value_kind:     by_value
      - .offset:         72
        .size:           8
        .value_kind:     by_value
      - .offset:         80
        .size:           4
        .value_kind:     by_value
      - .address_space:  global
        .offset:         88
        .size:           8
        .value_kind:     global_buffer
      - .offset:         96
        .size:           8
        .value_kind:     by_value
      - .offset:         104
        .size:           8
        .value_kind:     by_value
      - .address_space:  global
        .offset:         112
        .size:           8
        .value_kind:     global_buffer
      - .offset:         120
        .size:           8
        .value_kind:     by_value
      - .offset:         128
        .size:           8
        .value_kind:     by_value
      - .offset:         136
        .size:           4
        .value_kind:     by_value
    .group_segment_fixed_size: 2048
    .kernarg_segment_align: 8
    .kernarg_segment_size: 140
    .language:       OpenCL C
    .language_version:
      - 2
      - 0
    .max_flat_workgroup_size: 256
    .name:           _ZN12_GLOBAL__N_127rocblas_gemm_batched_kernelIfLi16ELi16ELi32ELi32ELi8ELi32ELi8ELi8ELi32ELc78ELc78EKDF16_KffEEvlllT_PT11_llS5_llS3_PT12_llPT13_lli
    .private_segment_fixed_size: 0
    .sgpr_count:     24
    .sgpr_spill_count: 0
    .symbol:         _ZN12_GLOBAL__N_127rocblas_gemm_batched_kernelIfLi16ELi16ELi32ELi32ELi8ELi32ELi8ELi8ELi32ELc78ELc78EKDF16_KffEEvlllT_PT11_llS5_llS3_PT12_llPT13_lli.kd
    .uniform_work_group_size: 1
    .uses_dynamic_stack: false
    .vgpr_count:     46
    .vgpr_spill_count: 0
    .wavefront_size: 32
    .workgroup_processor_mode: 1
  - .args:
      - .offset:         0
        .size:           8
        .value_kind:     by_value
      - .offset:         8
        .size:           8
        .value_kind:     by_value
      - .offset:         16
        .size:           8
        .value_kind:     by_value
      - .offset:         24
        .size:           4
        .value_kind:     by_value
      - .address_space:  global
        .offset:         32
        .size:           8
        .value_kind:     global_buffer
      - .offset:         40
        .size:           8
        .value_kind:     by_value
      - .offset:         48
        .size:           8
        .value_kind:     by_value
      - .address_space:  global
        .offset:         56
        .size:           8
        .value_kind:     global_buffer
      - .offset:         64
        .size:           8
        .value_kind:     by_value
      - .offset:         72
        .size:           8
        .value_kind:     by_value
      - .offset:         80
        .size:           4
        .value_kind:     by_value
      - .address_space:  global
        .offset:         88
        .size:           8
        .value_kind:     global_buffer
      - .offset:         96
        .size:           8
        .value_kind:     by_value
      - .offset:         104
        .size:           8
        .value_kind:     by_value
      - .address_space:  global
        .offset:         112
        .size:           8
        .value_kind:     global_buffer
      - .offset:         120
        .size:           8
        .value_kind:     by_value
      - .offset:         128
        .size:           8
        .value_kind:     by_value
      - .offset:         136
        .size:           4
        .value_kind:     by_value
    .group_segment_fixed_size: 2048
    .kernarg_segment_align: 8
    .kernarg_segment_size: 140
    .language:       OpenCL C
    .language_version:
      - 2
      - 0
    .max_flat_workgroup_size: 256
    .name:           _ZN12_GLOBAL__N_127rocblas_gemm_batched_kernelIfLi16ELi16ELi32ELi32ELi8ELi32ELi8ELi8ELi32ELc84ELc78EKDF16_KffEEvlllT_PT11_llS5_llS3_PT12_llPT13_lli
    .private_segment_fixed_size: 0
    .sgpr_count:     24
    .sgpr_spill_count: 0
    .symbol:         _ZN12_GLOBAL__N_127rocblas_gemm_batched_kernelIfLi16ELi16ELi32ELi32ELi8ELi32ELi8ELi8ELi32ELc84ELc78EKDF16_KffEEvlllT_PT11_llS5_llS3_PT12_llPT13_lli.kd
    .uniform_work_group_size: 1
    .uses_dynamic_stack: false
    .vgpr_count:     46
    .vgpr_spill_count: 0
    .wavefront_size: 32
    .workgroup_processor_mode: 1
  - .args:
      - .offset:         0
        .size:           8
        .value_kind:     by_value
      - .offset:         8
        .size:           8
        .value_kind:     by_value
      - .offset:         16
        .size:           8
        .value_kind:     by_value
      - .offset:         24
        .size:           4
        .value_kind:     by_value
      - .address_space:  global
        .offset:         32
        .size:           8
        .value_kind:     global_buffer
      - .offset:         40
        .size:           8
        .value_kind:     by_value
      - .offset:         48
        .size:           8
        .value_kind:     by_value
      - .address_space:  global
        .offset:         56
        .size:           8
        .value_kind:     global_buffer
      - .offset:         64
        .size:           8
        .value_kind:     by_value
      - .offset:         72
        .size:           8
        .value_kind:     by_value
      - .offset:         80
        .size:           4
        .value_kind:     by_value
      - .address_space:  global
        .offset:         88
        .size:           8
        .value_kind:     global_buffer
      - .offset:         96
        .size:           8
        .value_kind:     by_value
      - .offset:         104
        .size:           8
        .value_kind:     by_value
      - .address_space:  global
        .offset:         112
        .size:           8
        .value_kind:     global_buffer
      - .offset:         120
        .size:           8
        .value_kind:     by_value
      - .offset:         128
        .size:           8
        .value_kind:     by_value
      - .offset:         136
        .size:           4
        .value_kind:     by_value
    .group_segment_fixed_size: 2048
    .kernarg_segment_align: 8
    .kernarg_segment_size: 140
    .language:       OpenCL C
    .language_version:
      - 2
      - 0
    .max_flat_workgroup_size: 256
    .name:           _ZN12_GLOBAL__N_127rocblas_gemm_batched_kernelIfLi16ELi16ELi32ELi32ELi8ELi32ELi8ELi8ELi32ELc78ELc84EKDF16_KffEEvlllT_PT11_llS5_llS3_PT12_llPT13_lli
    .private_segment_fixed_size: 0
    .sgpr_count:     24
    .sgpr_spill_count: 0
    .symbol:         _ZN12_GLOBAL__N_127rocblas_gemm_batched_kernelIfLi16ELi16ELi32ELi32ELi8ELi32ELi8ELi8ELi32ELc78ELc84EKDF16_KffEEvlllT_PT11_llS5_llS3_PT12_llPT13_lli.kd
    .uniform_work_group_size: 1
    .uses_dynamic_stack: false
    .vgpr_count:     46
    .vgpr_spill_count: 0
    .wavefront_size: 32
    .workgroup_processor_mode: 1
  - .args:
      - .offset:         0
        .size:           8
        .value_kind:     by_value
      - .offset:         8
        .size:           8
        .value_kind:     by_value
      - .offset:         16
        .size:           8
        .value_kind:     by_value
      - .offset:         24
        .size:           4
        .value_kind:     by_value
      - .address_space:  global
        .offset:         32
        .size:           8
        .value_kind:     global_buffer
      - .offset:         40
        .size:           8
        .value_kind:     by_value
      - .offset:         48
        .size:           8
        .value_kind:     by_value
      - .address_space:  global
        .offset:         56
        .size:           8
        .value_kind:     global_buffer
      - .offset:         64
        .size:           8
        .value_kind:     by_value
      - .offset:         72
        .size:           8
        .value_kind:     by_value
      - .offset:         80
        .size:           4
        .value_kind:     by_value
      - .address_space:  global
        .offset:         88
        .size:           8
        .value_kind:     global_buffer
      - .offset:         96
        .size:           8
        .value_kind:     by_value
      - .offset:         104
        .size:           8
        .value_kind:     by_value
      - .address_space:  global
        .offset:         112
        .size:           8
        .value_kind:     global_buffer
      - .offset:         120
        .size:           8
        .value_kind:     by_value
      - .offset:         128
        .size:           8
        .value_kind:     by_value
      - .offset:         136
        .size:           4
        .value_kind:     by_value
    .group_segment_fixed_size: 2048
    .kernarg_segment_align: 8
    .kernarg_segment_size: 140
    .language:       OpenCL C
    .language_version:
      - 2
      - 0
    .max_flat_workgroup_size: 256
    .name:           _ZN12_GLOBAL__N_127rocblas_gemm_batched_kernelIfLi16ELi16ELi32ELi32ELi8ELi32ELi8ELi8ELi32ELc84ELc84EKDF16_KffEEvlllT_PT11_llS5_llS3_PT12_llPT13_lli
    .private_segment_fixed_size: 0
    .sgpr_count:     24
    .sgpr_spill_count: 0
    .symbol:         _ZN12_GLOBAL__N_127rocblas_gemm_batched_kernelIfLi16ELi16ELi32ELi32ELi8ELi32ELi8ELi8ELi32ELc84ELc84EKDF16_KffEEvlllT_PT11_llS5_llS3_PT12_llPT13_lli.kd
    .uniform_work_group_size: 1
    .uses_dynamic_stack: false
    .vgpr_count:     46
    .vgpr_spill_count: 0
    .wavefront_size: 32
    .workgroup_processor_mode: 1
  - .args:
      - .offset:         0
        .size:           8
        .value_kind:     by_value
      - .offset:         8
        .size:           8
        .value_kind:     by_value
      - .offset:         16
        .size:           8
        .value_kind:     by_value
      - .offset:         24
        .size:           4
        .value_kind:     by_value
      - .address_space:  global
        .offset:         32
        .size:           8
        .value_kind:     global_buffer
      - .offset:         40
        .size:           8
        .value_kind:     by_value
      - .offset:         48
        .size:           8
        .value_kind:     by_value
      - .address_space:  global
        .offset:         56
        .size:           8
        .value_kind:     global_buffer
      - .offset:         64
        .size:           8
        .value_kind:     by_value
      - .offset:         72
        .size:           8
        .value_kind:     by_value
      - .offset:         80
        .size:           4
        .value_kind:     by_value
      - .address_space:  global
        .offset:         88
        .size:           8
        .value_kind:     global_buffer
      - .offset:         96
        .size:           8
        .value_kind:     by_value
      - .offset:         104
        .size:           8
        .value_kind:     by_value
      - .address_space:  global
        .offset:         112
        .size:           8
        .value_kind:     global_buffer
      - .offset:         120
        .size:           8
        .value_kind:     by_value
      - .offset:         128
        .size:           8
        .value_kind:     by_value
      - .offset:         136
        .size:           4
        .value_kind:     by_value
    .group_segment_fixed_size: 2048
    .kernarg_segment_align: 8
    .kernarg_segment_size: 140
    .language:       OpenCL C
    .language_version:
      - 2
      - 0
    .max_flat_workgroup_size: 256
    .name:           _ZN12_GLOBAL__N_127rocblas_gemm_batched_kernelIfLi16ELi16ELi32ELi32ELi8ELi32ELi8ELi8ELi32ELc67ELc67EKDF16_KffEEvlllT_PT11_llS5_llS3_PT12_llPT13_lli
    .private_segment_fixed_size: 0
    .sgpr_count:     24
    .sgpr_spill_count: 0
    .symbol:         _ZN12_GLOBAL__N_127rocblas_gemm_batched_kernelIfLi16ELi16ELi32ELi32ELi8ELi32ELi8ELi8ELi32ELc67ELc67EKDF16_KffEEvlllT_PT11_llS5_llS3_PT12_llPT13_lli.kd
    .uniform_work_group_size: 1
    .uses_dynamic_stack: false
    .vgpr_count:     46
    .vgpr_spill_count: 0
    .wavefront_size: 32
    .workgroup_processor_mode: 1
  - .args:
      - .offset:         0
        .size:           8
        .value_kind:     by_value
      - .offset:         8
        .size:           8
        .value_kind:     by_value
      - .offset:         16
        .size:           8
        .value_kind:     by_value
      - .offset:         24
        .size:           4
        .value_kind:     by_value
      - .address_space:  global
        .offset:         32
        .size:           8
        .value_kind:     global_buffer
      - .offset:         40
        .size:           8
        .value_kind:     by_value
      - .offset:         48
        .size:           8
        .value_kind:     by_value
      - .address_space:  global
        .offset:         56
        .size:           8
        .value_kind:     global_buffer
      - .offset:         64
        .size:           8
        .value_kind:     by_value
      - .offset:         72
        .size:           8
        .value_kind:     by_value
      - .offset:         80
        .size:           4
        .value_kind:     by_value
      - .address_space:  global
        .offset:         88
        .size:           8
        .value_kind:     global_buffer
      - .offset:         96
        .size:           8
        .value_kind:     by_value
      - .offset:         104
        .size:           8
        .value_kind:     by_value
      - .address_space:  global
        .offset:         112
        .size:           8
        .value_kind:     global_buffer
      - .offset:         120
        .size:           8
        .value_kind:     by_value
      - .offset:         128
        .size:           8
        .value_kind:     by_value
      - .offset:         136
        .size:           4
        .value_kind:     by_value
    .group_segment_fixed_size: 2048
    .kernarg_segment_align: 8
    .kernarg_segment_size: 140
    .language:       OpenCL C
    .language_version:
      - 2
      - 0
    .max_flat_workgroup_size: 256
    .name:           _ZN12_GLOBAL__N_127rocblas_gemm_batched_kernelIfLi16ELi16ELi32ELi32ELi8ELi32ELi8ELi8ELi32ELc67ELc78EKDF16_KffEEvlllT_PT11_llS5_llS3_PT12_llPT13_lli
    .private_segment_fixed_size: 0
    .sgpr_count:     24
    .sgpr_spill_count: 0
    .symbol:         _ZN12_GLOBAL__N_127rocblas_gemm_batched_kernelIfLi16ELi16ELi32ELi32ELi8ELi32ELi8ELi8ELi32ELc67ELc78EKDF16_KffEEvlllT_PT11_llS5_llS3_PT12_llPT13_lli.kd
    .uniform_work_group_size: 1
    .uses_dynamic_stack: false
    .vgpr_count:     46
    .vgpr_spill_count: 0
    .wavefront_size: 32
    .workgroup_processor_mode: 1
  - .args:
      - .offset:         0
        .size:           8
        .value_kind:     by_value
      - .offset:         8
        .size:           8
        .value_kind:     by_value
      - .offset:         16
        .size:           8
        .value_kind:     by_value
      - .offset:         24
        .size:           4
        .value_kind:     by_value
      - .address_space:  global
        .offset:         32
        .size:           8
        .value_kind:     global_buffer
      - .offset:         40
        .size:           8
        .value_kind:     by_value
      - .offset:         48
        .size:           8
        .value_kind:     by_value
      - .address_space:  global
        .offset:         56
        .size:           8
        .value_kind:     global_buffer
      - .offset:         64
        .size:           8
        .value_kind:     by_value
      - .offset:         72
        .size:           8
        .value_kind:     by_value
      - .offset:         80
        .size:           4
        .value_kind:     by_value
      - .address_space:  global
        .offset:         88
        .size:           8
        .value_kind:     global_buffer
      - .offset:         96
        .size:           8
        .value_kind:     by_value
      - .offset:         104
        .size:           8
        .value_kind:     by_value
      - .address_space:  global
        .offset:         112
        .size:           8
        .value_kind:     global_buffer
      - .offset:         120
        .size:           8
        .value_kind:     by_value
      - .offset:         128
        .size:           8
        .value_kind:     by_value
      - .offset:         136
        .size:           4
        .value_kind:     by_value
    .group_segment_fixed_size: 2048
    .kernarg_segment_align: 8
    .kernarg_segment_size: 140
    .language:       OpenCL C
    .language_version:
      - 2
      - 0
    .max_flat_workgroup_size: 256
    .name:           _ZN12_GLOBAL__N_127rocblas_gemm_batched_kernelIfLi16ELi16ELi32ELi32ELi8ELi32ELi8ELi8ELi32ELc67ELc84EKDF16_KffEEvlllT_PT11_llS5_llS3_PT12_llPT13_lli
    .private_segment_fixed_size: 0
    .sgpr_count:     24
    .sgpr_spill_count: 0
    .symbol:         _ZN12_GLOBAL__N_127rocblas_gemm_batched_kernelIfLi16ELi16ELi32ELi32ELi8ELi32ELi8ELi8ELi32ELc67ELc84EKDF16_KffEEvlllT_PT11_llS5_llS3_PT12_llPT13_lli.kd
    .uniform_work_group_size: 1
    .uses_dynamic_stack: false
    .vgpr_count:     46
    .vgpr_spill_count: 0
    .wavefront_size: 32
    .workgroup_processor_mode: 1
  - .args:
      - .offset:         0
        .size:           8
        .value_kind:     by_value
      - .offset:         8
        .size:           8
        .value_kind:     by_value
      - .offset:         16
        .size:           8
        .value_kind:     by_value
      - .offset:         24
        .size:           4
        .value_kind:     by_value
      - .address_space:  global
        .offset:         32
        .size:           8
        .value_kind:     global_buffer
      - .offset:         40
        .size:           8
        .value_kind:     by_value
      - .offset:         48
        .size:           8
        .value_kind:     by_value
      - .address_space:  global
        .offset:         56
        .size:           8
        .value_kind:     global_buffer
      - .offset:         64
        .size:           8
        .value_kind:     by_value
      - .offset:         72
        .size:           8
        .value_kind:     by_value
      - .offset:         80
        .size:           4
        .value_kind:     by_value
      - .address_space:  global
        .offset:         88
        .size:           8
        .value_kind:     global_buffer
      - .offset:         96
        .size:           8
        .value_kind:     by_value
      - .offset:         104
        .size:           8
        .value_kind:     by_value
      - .address_space:  global
        .offset:         112
        .size:           8
        .value_kind:     global_buffer
      - .offset:         120
        .size:           8
        .value_kind:     by_value
      - .offset:         128
        .size:           8
        .value_kind:     by_value
      - .offset:         136
        .size:           4
        .value_kind:     by_value
    .group_segment_fixed_size: 2048
    .kernarg_segment_align: 8
    .kernarg_segment_size: 140
    .language:       OpenCL C
    .language_version:
      - 2
      - 0
    .max_flat_workgroup_size: 256
    .name:           _ZN12_GLOBAL__N_127rocblas_gemm_batched_kernelIfLi16ELi16ELi32ELi32ELi8ELi32ELi8ELi8ELi32ELc78ELc67EKDF16_KffEEvlllT_PT11_llS5_llS3_PT12_llPT13_lli
    .private_segment_fixed_size: 0
    .sgpr_count:     24
    .sgpr_spill_count: 0
    .symbol:         _ZN12_GLOBAL__N_127rocblas_gemm_batched_kernelIfLi16ELi16ELi32ELi32ELi8ELi32ELi8ELi8ELi32ELc78ELc67EKDF16_KffEEvlllT_PT11_llS5_llS3_PT12_llPT13_lli.kd
    .uniform_work_group_size: 1
    .uses_dynamic_stack: false
    .vgpr_count:     46
    .vgpr_spill_count: 0
    .wavefront_size: 32
    .workgroup_processor_mode: 1
  - .args:
      - .offset:         0
        .size:           8
        .value_kind:     by_value
      - .offset:         8
        .size:           8
        .value_kind:     by_value
      - .offset:         16
        .size:           8
        .value_kind:     by_value
      - .offset:         24
        .size:           4
        .value_kind:     by_value
      - .address_space:  global
        .offset:         32
        .size:           8
        .value_kind:     global_buffer
      - .offset:         40
        .size:           8
        .value_kind:     by_value
      - .offset:         48
        .size:           8
        .value_kind:     by_value
      - .address_space:  global
        .offset:         56
        .size:           8
        .value_kind:     global_buffer
      - .offset:         64
        .size:           8
        .value_kind:     by_value
      - .offset:         72
        .size:           8
        .value_kind:     by_value
      - .offset:         80
        .size:           4
        .value_kind:     by_value
      - .address_space:  global
        .offset:         88
        .size:           8
        .value_kind:     global_buffer
      - .offset:         96
        .size:           8
        .value_kind:     by_value
      - .offset:         104
        .size:           8
        .value_kind:     by_value
      - .address_space:  global
        .offset:         112
        .size:           8
        .value_kind:     global_buffer
      - .offset:         120
        .size:           8
        .value_kind:     by_value
      - .offset:         128
        .size:           8
        .value_kind:     by_value
      - .offset:         136
        .size:           4
        .value_kind:     by_value
    .group_segment_fixed_size: 2048
    .kernarg_segment_align: 8
    .kernarg_segment_size: 140
    .language:       OpenCL C
    .language_version:
      - 2
      - 0
    .max_flat_workgroup_size: 256
    .name:           _ZN12_GLOBAL__N_127rocblas_gemm_batched_kernelIfLi16ELi16ELi32ELi32ELi8ELi32ELi8ELi8ELi32ELc84ELc67EKDF16_KffEEvlllT_PT11_llS5_llS3_PT12_llPT13_lli
    .private_segment_fixed_size: 0
    .sgpr_count:     24
    .sgpr_spill_count: 0
    .symbol:         _ZN12_GLOBAL__N_127rocblas_gemm_batched_kernelIfLi16ELi16ELi32ELi32ELi8ELi32ELi8ELi8ELi32ELc84ELc67EKDF16_KffEEvlllT_PT11_llS5_llS3_PT12_llPT13_lli.kd
    .uniform_work_group_size: 1
    .uses_dynamic_stack: false
    .vgpr_count:     46
    .vgpr_spill_count: 0
    .wavefront_size: 32
    .workgroup_processor_mode: 1
  - .args:
      - .offset:         0
        .size:           8
        .value_kind:     by_value
      - .offset:         8
        .size:           8
        .value_kind:     by_value
      - .offset:         16
        .size:           8
        .value_kind:     by_value
      - .offset:         24
        .size:           4
        .value_kind:     by_value
      - .address_space:  global
        .offset:         32
        .size:           8
        .value_kind:     global_buffer
      - .offset:         40
        .size:           8
        .value_kind:     by_value
      - .offset:         48
        .size:           8
        .value_kind:     by_value
      - .address_space:  global
        .offset:         56
        .size:           8
        .value_kind:     global_buffer
      - .offset:         64
        .size:           8
        .value_kind:     by_value
      - .offset:         72
        .size:           8
        .value_kind:     by_value
      - .offset:         80
        .size:           4
        .value_kind:     by_value
      - .address_space:  global
        .offset:         88
        .size:           8
        .value_kind:     global_buffer
      - .offset:         96
        .size:           8
        .value_kind:     by_value
      - .offset:         104
        .size:           8
        .value_kind:     by_value
      - .address_space:  global
        .offset:         112
        .size:           8
        .value_kind:     global_buffer
      - .offset:         120
        .size:           8
        .value_kind:     by_value
      - .offset:         128
        .size:           8
        .value_kind:     by_value
      - .offset:         136
        .size:           4
        .value_kind:     by_value
    .group_segment_fixed_size: 2048
    .kernarg_segment_align: 8
    .kernarg_segment_size: 140
    .language:       OpenCL C
    .language_version:
      - 2
      - 0
    .max_flat_workgroup_size: 256
    .name:           _ZN12_GLOBAL__N_135rocblas_gemm_batched_general_kernelIfLi16ELi16ELi32ELi32ELi8ELi32ELi8ELi8ELi32ELc78ELc78EKDF16_KffEEvlllT_PT11_llS5_llS3_PT12_llPT13_lli
    .private_segment_fixed_size: 0
    .sgpr_count:     32
    .sgpr_spill_count: 0
    .symbol:         _ZN12_GLOBAL__N_135rocblas_gemm_batched_general_kernelIfLi16ELi16ELi32ELi32ELi8ELi32ELi8ELi8ELi32ELc78ELc78EKDF16_KffEEvlllT_PT11_llS5_llS3_PT12_llPT13_lli.kd
    .uniform_work_group_size: 1
    .uses_dynamic_stack: false
    .vgpr_count:     44
    .vgpr_spill_count: 0
    .wavefront_size: 32
    .workgroup_processor_mode: 1
  - .args:
      - .offset:         0
        .size:           8
        .value_kind:     by_value
      - .offset:         8
        .size:           8
        .value_kind:     by_value
      - .offset:         16
        .size:           8
        .value_kind:     by_value
      - .offset:         24
        .size:           4
        .value_kind:     by_value
      - .address_space:  global
        .offset:         32
        .size:           8
        .value_kind:     global_buffer
      - .offset:         40
        .size:           8
        .value_kind:     by_value
      - .offset:         48
        .size:           8
        .value_kind:     by_value
      - .address_space:  global
        .offset:         56
        .size:           8
        .value_kind:     global_buffer
      - .offset:         64
        .size:           8
        .value_kind:     by_value
      - .offset:         72
        .size:           8
        .value_kind:     by_value
      - .offset:         80
        .size:           4
        .value_kind:     by_value
      - .address_space:  global
        .offset:         88
        .size:           8
        .value_kind:     global_buffer
      - .offset:         96
        .size:           8
        .value_kind:     by_value
      - .offset:         104
        .size:           8
        .value_kind:     by_value
      - .address_space:  global
        .offset:         112
        .size:           8
        .value_kind:     global_buffer
      - .offset:         120
        .size:           8
        .value_kind:     by_value
      - .offset:         128
        .size:           8
        .value_kind:     by_value
      - .offset:         136
        .size:           4
        .value_kind:     by_value
    .group_segment_fixed_size: 2048
    .kernarg_segment_align: 8
    .kernarg_segment_size: 140
    .language:       OpenCL C
    .language_version:
      - 2
      - 0
    .max_flat_workgroup_size: 256
    .name:           _ZN12_GLOBAL__N_135rocblas_gemm_batched_general_kernelIfLi16ELi16ELi32ELi32ELi8ELi32ELi8ELi8ELi32ELc84ELc78EKDF16_KffEEvlllT_PT11_llS5_llS3_PT12_llPT13_lli
    .private_segment_fixed_size: 0
    .sgpr_count:     30
    .sgpr_spill_count: 0
    .symbol:         _ZN12_GLOBAL__N_135rocblas_gemm_batched_general_kernelIfLi16ELi16ELi32ELi32ELi8ELi32ELi8ELi8ELi32ELc84ELc78EKDF16_KffEEvlllT_PT11_llS5_llS3_PT12_llPT13_lli.kd
    .uniform_work_group_size: 1
    .uses_dynamic_stack: false
    .vgpr_count:     44
    .vgpr_spill_count: 0
    .wavefront_size: 32
    .workgroup_processor_mode: 1
  - .args:
      - .offset:         0
        .size:           8
        .value_kind:     by_value
      - .offset:         8
        .size:           8
        .value_kind:     by_value
      - .offset:         16
        .size:           8
        .value_kind:     by_value
      - .offset:         24
        .size:           4
        .value_kind:     by_value
      - .address_space:  global
        .offset:         32
        .size:           8
        .value_kind:     global_buffer
      - .offset:         40
        .size:           8
        .value_kind:     by_value
      - .offset:         48
        .size:           8
        .value_kind:     by_value
      - .address_space:  global
        .offset:         56
        .size:           8
        .value_kind:     global_buffer
      - .offset:         64
        .size:           8
        .value_kind:     by_value
      - .offset:         72
        .size:           8
        .value_kind:     by_value
      - .offset:         80
        .size:           4
        .value_kind:     by_value
      - .address_space:  global
        .offset:         88
        .size:           8
        .value_kind:     global_buffer
      - .offset:         96
        .size:           8
        .value_kind:     by_value
      - .offset:         104
        .size:           8
        .value_kind:     by_value
      - .address_space:  global
        .offset:         112
        .size:           8
        .value_kind:     global_buffer
      - .offset:         120
        .size:           8
        .value_kind:     by_value
      - .offset:         128
        .size:           8
        .value_kind:     by_value
      - .offset:         136
        .size:           4
        .value_kind:     by_value
    .group_segment_fixed_size: 2048
    .kernarg_segment_align: 8
    .kernarg_segment_size: 140
    .language:       OpenCL C
    .language_version:
      - 2
      - 0
    .max_flat_workgroup_size: 256
    .name:           _ZN12_GLOBAL__N_135rocblas_gemm_batched_general_kernelIfLi16ELi16ELi32ELi32ELi8ELi32ELi8ELi8ELi32ELc78ELc84EKDF16_KffEEvlllT_PT11_llS5_llS3_PT12_llPT13_lli
    .private_segment_fixed_size: 0
    .sgpr_count:     36
    .sgpr_spill_count: 0
    .symbol:         _ZN12_GLOBAL__N_135rocblas_gemm_batched_general_kernelIfLi16ELi16ELi32ELi32ELi8ELi32ELi8ELi8ELi32ELc78ELc84EKDF16_KffEEvlllT_PT11_llS5_llS3_PT12_llPT13_lli.kd
    .uniform_work_group_size: 1
    .uses_dynamic_stack: false
    .vgpr_count:     44
    .vgpr_spill_count: 0
    .wavefront_size: 32
    .workgroup_processor_mode: 1
  - .args:
      - .offset:         0
        .size:           8
        .value_kind:     by_value
      - .offset:         8
        .size:           8
        .value_kind:     by_value
      - .offset:         16
        .size:           8
        .value_kind:     by_value
      - .offset:         24
        .size:           4
        .value_kind:     by_value
      - .address_space:  global
        .offset:         32
        .size:           8
        .value_kind:     global_buffer
      - .offset:         40
        .size:           8
        .value_kind:     by_value
      - .offset:         48
        .size:           8
        .value_kind:     by_value
      - .address_space:  global
        .offset:         56
        .size:           8
        .value_kind:     global_buffer
      - .offset:         64
        .size:           8
        .value_kind:     by_value
      - .offset:         72
        .size:           8
        .value_kind:     by_value
      - .offset:         80
        .size:           4
        .value_kind:     by_value
      - .address_space:  global
        .offset:         88
        .size:           8
        .value_kind:     global_buffer
      - .offset:         96
        .size:           8
        .value_kind:     by_value
      - .offset:         104
        .size:           8
        .value_kind:     by_value
      - .address_space:  global
        .offset:         112
        .size:           8
        .value_kind:     global_buffer
      - .offset:         120
        .size:           8
        .value_kind:     by_value
      - .offset:         128
        .size:           8
        .value_kind:     by_value
      - .offset:         136
        .size:           4
        .value_kind:     by_value
    .group_segment_fixed_size: 2048
    .kernarg_segment_align: 8
    .kernarg_segment_size: 140
    .language:       OpenCL C
    .language_version:
      - 2
      - 0
    .max_flat_workgroup_size: 256
    .name:           _ZN12_GLOBAL__N_135rocblas_gemm_batched_general_kernelIfLi16ELi16ELi32ELi32ELi8ELi32ELi8ELi8ELi32ELc84ELc84EKDF16_KffEEvlllT_PT11_llS5_llS3_PT12_llPT13_lli
    .private_segment_fixed_size: 0
    .sgpr_count:     32
    .sgpr_spill_count: 0
    .symbol:         _ZN12_GLOBAL__N_135rocblas_gemm_batched_general_kernelIfLi16ELi16ELi32ELi32ELi8ELi32ELi8ELi8ELi32ELc84ELc84EKDF16_KffEEvlllT_PT11_llS5_llS3_PT12_llPT13_lli.kd
    .uniform_work_group_size: 1
    .uses_dynamic_stack: false
    .vgpr_count:     44
    .vgpr_spill_count: 0
    .wavefront_size: 32
    .workgroup_processor_mode: 1
  - .args:
      - .offset:         0
        .size:           8
        .value_kind:     by_value
      - .offset:         8
        .size:           8
        .value_kind:     by_value
      - .offset:         16
        .size:           8
        .value_kind:     by_value
      - .offset:         24
        .size:           4
        .value_kind:     by_value
      - .address_space:  global
        .offset:         32
        .size:           8
        .value_kind:     global_buffer
      - .offset:         40
        .size:           8
        .value_kind:     by_value
      - .offset:         48
        .size:           8
        .value_kind:     by_value
      - .address_space:  global
        .offset:         56
        .size:           8
        .value_kind:     global_buffer
      - .offset:         64
        .size:           8
        .value_kind:     by_value
      - .offset:         72
        .size:           8
        .value_kind:     by_value
      - .offset:         80
        .size:           4
        .value_kind:     by_value
      - .address_space:  global
        .offset:         88
        .size:           8
        .value_kind:     global_buffer
      - .offset:         96
        .size:           8
        .value_kind:     by_value
      - .offset:         104
        .size:           8
        .value_kind:     by_value
      - .address_space:  global
        .offset:         112
        .size:           8
        .value_kind:     global_buffer
      - .offset:         120
        .size:           8
        .value_kind:     by_value
      - .offset:         128
        .size:           8
        .value_kind:     by_value
      - .offset:         136
        .size:           4
        .value_kind:     by_value
    .group_segment_fixed_size: 2048
    .kernarg_segment_align: 8
    .kernarg_segment_size: 140
    .language:       OpenCL C
    .language_version:
      - 2
      - 0
    .max_flat_workgroup_size: 256
    .name:           _ZN12_GLOBAL__N_135rocblas_gemm_batched_general_kernelIfLi16ELi16ELi32ELi32ELi8ELi32ELi8ELi8ELi32ELc67ELc67EKDF16_KffEEvlllT_PT11_llS5_llS3_PT12_llPT13_lli
    .private_segment_fixed_size: 0
    .sgpr_count:     32
    .sgpr_spill_count: 0
    .symbol:         _ZN12_GLOBAL__N_135rocblas_gemm_batched_general_kernelIfLi16ELi16ELi32ELi32ELi8ELi32ELi8ELi8ELi32ELc67ELc67EKDF16_KffEEvlllT_PT11_llS5_llS3_PT12_llPT13_lli.kd
    .uniform_work_group_size: 1
    .uses_dynamic_stack: false
    .vgpr_count:     44
    .vgpr_spill_count: 0
    .wavefront_size: 32
    .workgroup_processor_mode: 1
  - .args:
      - .offset:         0
        .size:           8
        .value_kind:     by_value
      - .offset:         8
        .size:           8
        .value_kind:     by_value
      - .offset:         16
        .size:           8
        .value_kind:     by_value
      - .offset:         24
        .size:           4
        .value_kind:     by_value
      - .address_space:  global
        .offset:         32
        .size:           8
        .value_kind:     global_buffer
      - .offset:         40
        .size:           8
        .value_kind:     by_value
      - .offset:         48
        .size:           8
        .value_kind:     by_value
      - .address_space:  global
        .offset:         56
        .size:           8
        .value_kind:     global_buffer
      - .offset:         64
        .size:           8
        .value_kind:     by_value
      - .offset:         72
        .size:           8
        .value_kind:     by_value
      - .offset:         80
        .size:           4
        .value_kind:     by_value
      - .address_space:  global
        .offset:         88
        .size:           8
        .value_kind:     global_buffer
      - .offset:         96
        .size:           8
        .value_kind:     by_value
      - .offset:         104
        .size:           8
        .value_kind:     by_value
      - .address_space:  global
        .offset:         112
        .size:           8
        .value_kind:     global_buffer
      - .offset:         120
        .size:           8
        .value_kind:     by_value
      - .offset:         128
        .size:           8
        .value_kind:     by_value
      - .offset:         136
        .size:           4
        .value_kind:     by_value
    .group_segment_fixed_size: 2048
    .kernarg_segment_align: 8
    .kernarg_segment_size: 140
    .language:       OpenCL C
    .language_version:
      - 2
      - 0
    .max_flat_workgroup_size: 256
    .name:           _ZN12_GLOBAL__N_135rocblas_gemm_batched_general_kernelIfLi16ELi16ELi32ELi32ELi8ELi32ELi8ELi8ELi32ELc67ELc78EKDF16_KffEEvlllT_PT11_llS5_llS3_PT12_llPT13_lli
    .private_segment_fixed_size: 0
    .sgpr_count:     30
    .sgpr_spill_count: 0
    .symbol:         _ZN12_GLOBAL__N_135rocblas_gemm_batched_general_kernelIfLi16ELi16ELi32ELi32ELi8ELi32ELi8ELi8ELi32ELc67ELc78EKDF16_KffEEvlllT_PT11_llS5_llS3_PT12_llPT13_lli.kd
    .uniform_work_group_size: 1
    .uses_dynamic_stack: false
    .vgpr_count:     44
    .vgpr_spill_count: 0
    .wavefront_size: 32
    .workgroup_processor_mode: 1
  - .args:
      - .offset:         0
        .size:           8
        .value_kind:     by_value
      - .offset:         8
        .size:           8
        .value_kind:     by_value
      - .offset:         16
        .size:           8
        .value_kind:     by_value
      - .offset:         24
        .size:           4
        .value_kind:     by_value
      - .address_space:  global
        .offset:         32
        .size:           8
        .value_kind:     global_buffer
      - .offset:         40
        .size:           8
        .value_kind:     by_value
      - .offset:         48
        .size:           8
        .value_kind:     by_value
      - .address_space:  global
        .offset:         56
        .size:           8
        .value_kind:     global_buffer
      - .offset:         64
        .size:           8
        .value_kind:     by_value
      - .offset:         72
        .size:           8
        .value_kind:     by_value
      - .offset:         80
        .size:           4
        .value_kind:     by_value
      - .address_space:  global
        .offset:         88
        .size:           8
        .value_kind:     global_buffer
      - .offset:         96
        .size:           8
        .value_kind:     by_value
      - .offset:         104
        .size:           8
        .value_kind:     by_value
      - .address_space:  global
        .offset:         112
        .size:           8
        .value_kind:     global_buffer
      - .offset:         120
        .size:           8
        .value_kind:     by_value
      - .offset:         128
        .size:           8
        .value_kind:     by_value
      - .offset:         136
        .size:           4
        .value_kind:     by_value
    .group_segment_fixed_size: 2048
    .kernarg_segment_align: 8
    .kernarg_segment_size: 140
    .language:       OpenCL C
    .language_version:
      - 2
      - 0
    .max_flat_workgroup_size: 256
    .name:           _ZN12_GLOBAL__N_135rocblas_gemm_batched_general_kernelIfLi16ELi16ELi32ELi32ELi8ELi32ELi8ELi8ELi32ELc67ELc84EKDF16_KffEEvlllT_PT11_llS5_llS3_PT12_llPT13_lli
    .private_segment_fixed_size: 0
    .sgpr_count:     32
    .sgpr_spill_count: 0
    .symbol:         _ZN12_GLOBAL__N_135rocblas_gemm_batched_general_kernelIfLi16ELi16ELi32ELi32ELi8ELi32ELi8ELi8ELi32ELc67ELc84EKDF16_KffEEvlllT_PT11_llS5_llS3_PT12_llPT13_lli.kd
    .uniform_work_group_size: 1
    .uses_dynamic_stack: false
    .vgpr_count:     44
    .vgpr_spill_count: 0
    .wavefront_size: 32
    .workgroup_processor_mode: 1
  - .args:
      - .offset:         0
        .size:           8
        .value_kind:     by_value
      - .offset:         8
        .size:           8
        .value_kind:     by_value
      - .offset:         16
        .size:           8
        .value_kind:     by_value
      - .offset:         24
        .size:           4
        .value_kind:     by_value
      - .address_space:  global
        .offset:         32
        .size:           8
        .value_kind:     global_buffer
      - .offset:         40
        .size:           8
        .value_kind:     by_value
      - .offset:         48
        .size:           8
        .value_kind:     by_value
      - .address_space:  global
        .offset:         56
        .size:           8
        .value_kind:     global_buffer
      - .offset:         64
        .size:           8
        .value_kind:     by_value
      - .offset:         72
        .size:           8
        .value_kind:     by_value
      - .offset:         80
        .size:           4
        .value_kind:     by_value
      - .address_space:  global
        .offset:         88
        .size:           8
        .value_kind:     global_buffer
      - .offset:         96
        .size:           8
        .value_kind:     by_value
      - .offset:         104
        .size:           8
        .value_kind:     by_value
      - .address_space:  global
        .offset:         112
        .size:           8
        .value_kind:     global_buffer
      - .offset:         120
        .size:           8
        .value_kind:     by_value
      - .offset:         128
        .size:           8
        .value_kind:     by_value
      - .offset:         136
        .size:           4
        .value_kind:     by_value
    .group_segment_fixed_size: 2048
    .kernarg_segment_align: 8
    .kernarg_segment_size: 140
    .language:       OpenCL C
    .language_version:
      - 2
      - 0
    .max_flat_workgroup_size: 256
    .name:           _ZN12_GLOBAL__N_135rocblas_gemm_batched_general_kernelIfLi16ELi16ELi32ELi32ELi8ELi32ELi8ELi8ELi32ELc78ELc67EKDF16_KffEEvlllT_PT11_llS5_llS3_PT12_llPT13_lli
    .private_segment_fixed_size: 0
    .sgpr_count:     36
    .sgpr_spill_count: 0
    .symbol:         _ZN12_GLOBAL__N_135rocblas_gemm_batched_general_kernelIfLi16ELi16ELi32ELi32ELi8ELi32ELi8ELi8ELi32ELc78ELc67EKDF16_KffEEvlllT_PT11_llS5_llS3_PT12_llPT13_lli.kd
    .uniform_work_group_size: 1
    .uses_dynamic_stack: false
    .vgpr_count:     44
    .vgpr_spill_count: 0
    .wavefront_size: 32
    .workgroup_processor_mode: 1
  - .args:
      - .offset:         0
        .size:           8
        .value_kind:     by_value
      - .offset:         8
        .size:           8
        .value_kind:     by_value
      - .offset:         16
        .size:           8
        .value_kind:     by_value
      - .offset:         24
        .size:           4
        .value_kind:     by_value
      - .address_space:  global
        .offset:         32
        .size:           8
        .value_kind:     global_buffer
      - .offset:         40
        .size:           8
        .value_kind:     by_value
      - .offset:         48
        .size:           8
        .value_kind:     by_value
      - .address_space:  global
        .offset:         56
        .size:           8
        .value_kind:     global_buffer
      - .offset:         64
        .size:           8
        .value_kind:     by_value
      - .offset:         72
        .size:           8
        .value_kind:     by_value
      - .offset:         80
        .size:           4
        .value_kind:     by_value
      - .address_space:  global
        .offset:         88
        .size:           8
        .value_kind:     global_buffer
      - .offset:         96
        .size:           8
        .value_kind:     by_value
      - .offset:         104
        .size:           8
        .value_kind:     by_value
      - .address_space:  global
        .offset:         112
        .size:           8
        .value_kind:     global_buffer
      - .offset:         120
        .size:           8
        .value_kind:     by_value
      - .offset:         128
        .size:           8
        .value_kind:     by_value
      - .offset:         136
        .size:           4
        .value_kind:     by_value
    .group_segment_fixed_size: 2048
    .kernarg_segment_align: 8
    .kernarg_segment_size: 140
    .language:       OpenCL C
    .language_version:
      - 2
      - 0
    .max_flat_workgroup_size: 256
    .name:           _ZN12_GLOBAL__N_135rocblas_gemm_batched_general_kernelIfLi16ELi16ELi32ELi32ELi8ELi32ELi8ELi8ELi32ELc84ELc67EKDF16_KffEEvlllT_PT11_llS5_llS3_PT12_llPT13_lli
    .private_segment_fixed_size: 0
    .sgpr_count:     32
    .sgpr_spill_count: 0
    .symbol:         _ZN12_GLOBAL__N_135rocblas_gemm_batched_general_kernelIfLi16ELi16ELi32ELi32ELi8ELi32ELi8ELi8ELi32ELc84ELc67EKDF16_KffEEvlllT_PT11_llS5_llS3_PT12_llPT13_lli.kd
    .uniform_work_group_size: 1
    .uses_dynamic_stack: false
    .vgpr_count:     44
    .vgpr_spill_count: 0
    .wavefront_size: 32
    .workgroup_processor_mode: 1
  - .args:
      - .offset:         0
        .size:           4
        .value_kind:     by_value
      - .offset:         4
        .size:           4
        .value_kind:     by_value
      - .offset:         8
        .size:           4
        .value_kind:     by_value
      - .address_space:  global
        .offset:         16
        .size:           8
        .value_kind:     global_buffer
      - .offset:         24
        .size:           8
        .value_kind:     by_value
      - .offset:         32
        .size:           8
        .value_kind:     by_value
      - .offset:         40
        .size:           8
        .value_kind:     by_value
      - .address_space:  global
        .offset:         48
        .size:           8
        .value_kind:     global_buffer
      - .offset:         56
        .size:           8
        .value_kind:     by_value
      - .offset:         64
        .size:           8
        .value_kind:     by_value
      - .offset:         72
        .size:           8
        .value_kind:     by_value
      - .offset:         80
        .size:           4
        .value_kind:     by_value
    .group_segment_fixed_size: 0
    .kernarg_segment_align: 8
    .kernarg_segment_size: 84
    .language:       OpenCL C
    .language_version:
      - 2
      - 0
    .max_flat_workgroup_size: 1024
    .name:           _ZN12_GLOBAL__N_120gemm_ex_scale_kernelILi32ELi32EfPK16rocblas_bfloat16PS1_EEviiT1_T2_lllT3_llli
    .private_segment_fixed_size: 0
    .sgpr_count:     30
    .sgpr_spill_count: 0
    .symbol:         _ZN12_GLOBAL__N_120gemm_ex_scale_kernelILi32ELi32EfPK16rocblas_bfloat16PS1_EEviiT1_T2_lllT3_llli.kd
    .uniform_work_group_size: 1
    .uses_dynamic_stack: false
    .vgpr_count:     7
    .vgpr_spill_count: 0
    .wavefront_size: 32
    .workgroup_processor_mode: 1
  - .args:
      - .offset:         0
        .size:           8
        .value_kind:     by_value
      - .offset:         8
        .size:           8
        .value_kind:     by_value
      - .offset:         16
        .size:           8
        .value_kind:     by_value
      - .offset:         24
        .size:           4
        .value_kind:     by_value
      - .address_space:  global
        .offset:         32
        .size:           8
        .value_kind:     global_buffer
      - .offset:         40
        .size:           8
        .value_kind:     by_value
      - .offset:         48
        .size:           8
        .value_kind:     by_value
      - .address_space:  global
        .offset:         56
        .size:           8
        .value_kind:     global_buffer
      - .offset:         64
        .size:           8
        .value_kind:     by_value
      - .offset:         72
        .size:           8
        .value_kind:     by_value
      - .offset:         80
        .size:           4
        .value_kind:     by_value
      - .address_space:  global
        .offset:         88
        .size:           8
        .value_kind:     global_buffer
      - .offset:         96
        .size:           8
        .value_kind:     by_value
      - .offset:         104
        .size:           8
        .value_kind:     by_value
      - .address_space:  global
        .offset:         112
        .size:           8
        .value_kind:     global_buffer
      - .offset:         120
        .size:           8
        .value_kind:     by_value
      - .offset:         128
        .size:           8
        .value_kind:     by_value
      - .offset:         136
        .size:           4
        .value_kind:     by_value
    .group_segment_fixed_size: 2048
    .kernarg_segment_align: 8
    .kernarg_segment_size: 140
    .language:       OpenCL C
    .language_version:
      - 2
      - 0
    .max_flat_workgroup_size: 256
    .name:           _ZN12_GLOBAL__N_127rocblas_gemm_batched_kernelIfLi16ELi16ELi64ELi64ELi4ELi64ELi4ELi4ELi64ELc78ELc78EK16rocblas_bfloat16S2_S1_EEvlllT_PT11_llS5_llS3_PT12_llPT13_lli
    .private_segment_fixed_size: 0
    .sgpr_count:     24
    .sgpr_spill_count: 0
    .symbol:         _ZN12_GLOBAL__N_127rocblas_gemm_batched_kernelIfLi16ELi16ELi64ELi64ELi4ELi64ELi4ELi4ELi64ELc78ELc78EK16rocblas_bfloat16S2_S1_EEvlllT_PT11_llS5_llS3_PT12_llPT13_lli.kd
    .uniform_work_group_size: 1
    .uses_dynamic_stack: false
    .vgpr_count:     58
    .vgpr_spill_count: 0
    .wavefront_size: 32
    .workgroup_processor_mode: 1
  - .args:
      - .offset:         0
        .size:           8
        .value_kind:     by_value
      - .offset:         8
        .size:           8
        .value_kind:     by_value
      - .offset:         16
        .size:           8
        .value_kind:     by_value
      - .offset:         24
        .size:           4
        .value_kind:     by_value
      - .address_space:  global
        .offset:         32
        .size:           8
        .value_kind:     global_buffer
      - .offset:         40
        .size:           8
        .value_kind:     by_value
      - .offset:         48
        .size:           8
        .value_kind:     by_value
      - .address_space:  global
        .offset:         56
        .size:           8
        .value_kind:     global_buffer
      - .offset:         64
        .size:           8
        .value_kind:     by_value
      - .offset:         72
        .size:           8
        .value_kind:     by_value
      - .offset:         80
        .size:           4
        .value_kind:     by_value
      - .address_space:  global
        .offset:         88
        .size:           8
        .value_kind:     global_buffer
      - .offset:         96
        .size:           8
        .value_kind:     by_value
      - .offset:         104
        .size:           8
        .value_kind:     by_value
      - .address_space:  global
        .offset:         112
        .size:           8
        .value_kind:     global_buffer
      - .offset:         120
        .size:           8
        .value_kind:     by_value
      - .offset:         128
        .size:           8
        .value_kind:     by_value
      - .offset:         136
        .size:           4
        .value_kind:     by_value
    .group_segment_fixed_size: 2048
    .kernarg_segment_align: 8
    .kernarg_segment_size: 140
    .language:       OpenCL C
    .language_version:
      - 2
      - 0
    .max_flat_workgroup_size: 256
    .name:           _ZN12_GLOBAL__N_127rocblas_gemm_batched_kernelIfLi16ELi16ELi64ELi64ELi4ELi64ELi4ELi4ELi64ELc84ELc78EK16rocblas_bfloat16S2_S1_EEvlllT_PT11_llS5_llS3_PT12_llPT13_lli
    .private_segment_fixed_size: 0
    .sgpr_count:     24
    .sgpr_spill_count: 0
    .symbol:         _ZN12_GLOBAL__N_127rocblas_gemm_batched_kernelIfLi16ELi16ELi64ELi64ELi4ELi64ELi4ELi4ELi64ELc84ELc78EK16rocblas_bfloat16S2_S1_EEvlllT_PT11_llS5_llS3_PT12_llPT13_lli.kd
    .uniform_work_group_size: 1
    .uses_dynamic_stack: false
    .vgpr_count:     58
    .vgpr_spill_count: 0
    .wavefront_size: 32
    .workgroup_processor_mode: 1
  - .args:
      - .offset:         0
        .size:           8
        .value_kind:     by_value
      - .offset:         8
        .size:           8
        .value_kind:     by_value
      - .offset:         16
        .size:           8
        .value_kind:     by_value
      - .offset:         24
        .size:           4
        .value_kind:     by_value
      - .address_space:  global
        .offset:         32
        .size:           8
        .value_kind:     global_buffer
      - .offset:         40
        .size:           8
        .value_kind:     by_value
      - .offset:         48
        .size:           8
        .value_kind:     by_value
      - .address_space:  global
        .offset:         56
        .size:           8
        .value_kind:     global_buffer
      - .offset:         64
        .size:           8
        .value_kind:     by_value
      - .offset:         72
        .size:           8
        .value_kind:     by_value
      - .offset:         80
        .size:           4
        .value_kind:     by_value
      - .address_space:  global
        .offset:         88
        .size:           8
        .value_kind:     global_buffer
      - .offset:         96
        .size:           8
        .value_kind:     by_value
      - .offset:         104
        .size:           8
        .value_kind:     by_value
      - .address_space:  global
        .offset:         112
        .size:           8
        .value_kind:     global_buffer
      - .offset:         120
        .size:           8
        .value_kind:     by_value
      - .offset:         128
        .size:           8
        .value_kind:     by_value
      - .offset:         136
        .size:           4
        .value_kind:     by_value
    .group_segment_fixed_size: 2048
    .kernarg_segment_align: 8
    .kernarg_segment_size: 140
    .language:       OpenCL C
    .language_version:
      - 2
      - 0
    .max_flat_workgroup_size: 256
    .name:           _ZN12_GLOBAL__N_127rocblas_gemm_batched_kernelIfLi16ELi16ELi64ELi64ELi4ELi64ELi4ELi4ELi64ELc78ELc84EK16rocblas_bfloat16S2_S1_EEvlllT_PT11_llS5_llS3_PT12_llPT13_lli
    .private_segment_fixed_size: 0
    .sgpr_count:     24
    .sgpr_spill_count: 0
    .symbol:         _ZN12_GLOBAL__N_127rocblas_gemm_batched_kernelIfLi16ELi16ELi64ELi64ELi4ELi64ELi4ELi4ELi64ELc78ELc84EK16rocblas_bfloat16S2_S1_EEvlllT_PT11_llS5_llS3_PT12_llPT13_lli.kd
    .uniform_work_group_size: 1
    .uses_dynamic_stack: false
    .vgpr_count:     58
    .vgpr_spill_count: 0
    .wavefront_size: 32
    .workgroup_processor_mode: 1
  - .args:
      - .offset:         0
        .size:           8
        .value_kind:     by_value
      - .offset:         8
        .size:           8
        .value_kind:     by_value
      - .offset:         16
        .size:           8
        .value_kind:     by_value
      - .offset:         24
        .size:           4
        .value_kind:     by_value
      - .address_space:  global
        .offset:         32
        .size:           8
        .value_kind:     global_buffer
      - .offset:         40
        .size:           8
        .value_kind:     by_value
      - .offset:         48
        .size:           8
        .value_kind:     by_value
      - .address_space:  global
        .offset:         56
        .size:           8
        .value_kind:     global_buffer
      - .offset:         64
        .size:           8
        .value_kind:     by_value
      - .offset:         72
        .size:           8
        .value_kind:     by_value
      - .offset:         80
        .size:           4
        .value_kind:     by_value
      - .address_space:  global
        .offset:         88
        .size:           8
        .value_kind:     global_buffer
      - .offset:         96
        .size:           8
        .value_kind:     by_value
      - .offset:         104
        .size:           8
        .value_kind:     by_value
      - .address_space:  global
        .offset:         112
        .size:           8
        .value_kind:     global_buffer
      - .offset:         120
        .size:           8
        .value_kind:     by_value
      - .offset:         128
        .size:           8
        .value_kind:     by_value
      - .offset:         136
        .size:           4
        .value_kind:     by_value
    .group_segment_fixed_size: 2048
    .kernarg_segment_align: 8
    .kernarg_segment_size: 140
    .language:       OpenCL C
    .language_version:
      - 2
      - 0
    .max_flat_workgroup_size: 256
    .name:           _ZN12_GLOBAL__N_127rocblas_gemm_batched_kernelIfLi16ELi16ELi64ELi64ELi4ELi64ELi4ELi4ELi64ELc84ELc84EK16rocblas_bfloat16S2_S1_EEvlllT_PT11_llS5_llS3_PT12_llPT13_lli
    .private_segment_fixed_size: 0
    .sgpr_count:     24
    .sgpr_spill_count: 0
    .symbol:         _ZN12_GLOBAL__N_127rocblas_gemm_batched_kernelIfLi16ELi16ELi64ELi64ELi4ELi64ELi4ELi4ELi64ELc84ELc84EK16rocblas_bfloat16S2_S1_EEvlllT_PT11_llS5_llS3_PT12_llPT13_lli.kd
    .uniform_work_group_size: 1
    .uses_dynamic_stack: false
    .vgpr_count:     58
    .vgpr_spill_count: 0
    .wavefront_size: 32
    .workgroup_processor_mode: 1
  - .args:
      - .offset:         0
        .size:           8
        .value_kind:     by_value
      - .offset:         8
        .size:           8
        .value_kind:     by_value
      - .offset:         16
        .size:           8
        .value_kind:     by_value
      - .offset:         24
        .size:           4
        .value_kind:     by_value
      - .address_space:  global
        .offset:         32
        .size:           8
        .value_kind:     global_buffer
      - .offset:         40
        .size:           8
        .value_kind:     by_value
      - .offset:         48
        .size:           8
        .value_kind:     by_value
      - .address_space:  global
        .offset:         56
        .size:           8
        .value_kind:     global_buffer
      - .offset:         64
        .size:           8
        .value_kind:     by_value
      - .offset:         72
        .size:           8
        .value_kind:     by_value
      - .offset:         80
        .size:           4
        .value_kind:     by_value
      - .address_space:  global
        .offset:         88
        .size:           8
        .value_kind:     global_buffer
      - .offset:         96
        .size:           8
        .value_kind:     by_value
      - .offset:         104
        .size:           8
        .value_kind:     by_value
      - .address_space:  global
        .offset:         112
        .size:           8
        .value_kind:     global_buffer
      - .offset:         120
        .size:           8
        .value_kind:     by_value
      - .offset:         128
        .size:           8
        .value_kind:     by_value
      - .offset:         136
        .size:           4
        .value_kind:     by_value
    .group_segment_fixed_size: 2048
    .kernarg_segment_align: 8
    .kernarg_segment_size: 140
    .language:       OpenCL C
    .language_version:
      - 2
      - 0
    .max_flat_workgroup_size: 256
    .name:           _ZN12_GLOBAL__N_127rocblas_gemm_batched_kernelIfLi16ELi16ELi64ELi64ELi4ELi64ELi4ELi4ELi64ELc67ELc67EK16rocblas_bfloat16S2_S1_EEvlllT_PT11_llS5_llS3_PT12_llPT13_lli
    .private_segment_fixed_size: 0
    .sgpr_count:     24
    .sgpr_spill_count: 0
    .symbol:         _ZN12_GLOBAL__N_127rocblas_gemm_batched_kernelIfLi16ELi16ELi64ELi64ELi4ELi64ELi4ELi4ELi64ELc67ELc67EK16rocblas_bfloat16S2_S1_EEvlllT_PT11_llS5_llS3_PT12_llPT13_lli.kd
    .uniform_work_group_size: 1
    .uses_dynamic_stack: false
    .vgpr_count:     58
    .vgpr_spill_count: 0
    .wavefront_size: 32
    .workgroup_processor_mode: 1
  - .args:
      - .offset:         0
        .size:           8
        .value_kind:     by_value
      - .offset:         8
        .size:           8
        .value_kind:     by_value
      - .offset:         16
        .size:           8
        .value_kind:     by_value
      - .offset:         24
        .size:           4
        .value_kind:     by_value
      - .address_space:  global
        .offset:         32
        .size:           8
        .value_kind:     global_buffer
      - .offset:         40
        .size:           8
        .value_kind:     by_value
      - .offset:         48
        .size:           8
        .value_kind:     by_value
      - .address_space:  global
        .offset:         56
        .size:           8
        .value_kind:     global_buffer
      - .offset:         64
        .size:           8
        .value_kind:     by_value
      - .offset:         72
        .size:           8
        .value_kind:     by_value
      - .offset:         80
        .size:           4
        .value_kind:     by_value
      - .address_space:  global
        .offset:         88
        .size:           8
        .value_kind:     global_buffer
      - .offset:         96
        .size:           8
        .value_kind:     by_value
      - .offset:         104
        .size:           8
        .value_kind:     by_value
      - .address_space:  global
        .offset:         112
        .size:           8
        .value_kind:     global_buffer
      - .offset:         120
        .size:           8
        .value_kind:     by_value
      - .offset:         128
        .size:           8
        .value_kind:     by_value
      - .offset:         136
        .size:           4
        .value_kind:     by_value
    .group_segment_fixed_size: 2048
    .kernarg_segment_align: 8
    .kernarg_segment_size: 140
    .language:       OpenCL C
    .language_version:
      - 2
      - 0
    .max_flat_workgroup_size: 256
    .name:           _ZN12_GLOBAL__N_127rocblas_gemm_batched_kernelIfLi16ELi16ELi64ELi64ELi4ELi64ELi4ELi4ELi64ELc67ELc78EK16rocblas_bfloat16S2_S1_EEvlllT_PT11_llS5_llS3_PT12_llPT13_lli
    .private_segment_fixed_size: 0
    .sgpr_count:     24
    .sgpr_spill_count: 0
    .symbol:         _ZN12_GLOBAL__N_127rocblas_gemm_batched_kernelIfLi16ELi16ELi64ELi64ELi4ELi64ELi4ELi4ELi64ELc67ELc78EK16rocblas_bfloat16S2_S1_EEvlllT_PT11_llS5_llS3_PT12_llPT13_lli.kd
    .uniform_work_group_size: 1
    .uses_dynamic_stack: false
    .vgpr_count:     58
    .vgpr_spill_count: 0
    .wavefront_size: 32
    .workgroup_processor_mode: 1
  - .args:
      - .offset:         0
        .size:           8
        .value_kind:     by_value
      - .offset:         8
        .size:           8
        .value_kind:     by_value
      - .offset:         16
        .size:           8
        .value_kind:     by_value
      - .offset:         24
        .size:           4
        .value_kind:     by_value
      - .address_space:  global
        .offset:         32
        .size:           8
        .value_kind:     global_buffer
      - .offset:         40
        .size:           8
        .value_kind:     by_value
      - .offset:         48
        .size:           8
        .value_kind:     by_value
      - .address_space:  global
        .offset:         56
        .size:           8
        .value_kind:     global_buffer
      - .offset:         64
        .size:           8
        .value_kind:     by_value
      - .offset:         72
        .size:           8
        .value_kind:     by_value
      - .offset:         80
        .size:           4
        .value_kind:     by_value
      - .address_space:  global
        .offset:         88
        .size:           8
        .value_kind:     global_buffer
      - .offset:         96
        .size:           8
        .value_kind:     by_value
      - .offset:         104
        .size:           8
        .value_kind:     by_value
      - .address_space:  global
        .offset:         112
        .size:           8
        .value_kind:     global_buffer
      - .offset:         120
        .size:           8
        .value_kind:     by_value
      - .offset:         128
        .size:           8
        .value_kind:     by_value
      - .offset:         136
        .size:           4
        .value_kind:     by_value
    .group_segment_fixed_size: 2048
    .kernarg_segment_align: 8
    .kernarg_segment_size: 140
    .language:       OpenCL C
    .language_version:
      - 2
      - 0
    .max_flat_workgroup_size: 256
    .name:           _ZN12_GLOBAL__N_127rocblas_gemm_batched_kernelIfLi16ELi16ELi64ELi64ELi4ELi64ELi4ELi4ELi64ELc67ELc84EK16rocblas_bfloat16S2_S1_EEvlllT_PT11_llS5_llS3_PT12_llPT13_lli
    .private_segment_fixed_size: 0
    .sgpr_count:     24
    .sgpr_spill_count: 0
    .symbol:         _ZN12_GLOBAL__N_127rocblas_gemm_batched_kernelIfLi16ELi16ELi64ELi64ELi4ELi64ELi4ELi4ELi64ELc67ELc84EK16rocblas_bfloat16S2_S1_EEvlllT_PT11_llS5_llS3_PT12_llPT13_lli.kd
    .uniform_work_group_size: 1
    .uses_dynamic_stack: false
    .vgpr_count:     58
    .vgpr_spill_count: 0
    .wavefront_size: 32
    .workgroup_processor_mode: 1
  - .args:
      - .offset:         0
        .size:           8
        .value_kind:     by_value
      - .offset:         8
        .size:           8
        .value_kind:     by_value
      - .offset:         16
        .size:           8
        .value_kind:     by_value
      - .offset:         24
        .size:           4
        .value_kind:     by_value
      - .address_space:  global
        .offset:         32
        .size:           8
        .value_kind:     global_buffer
      - .offset:         40
        .size:           8
        .value_kind:     by_value
      - .offset:         48
        .size:           8
        .value_kind:     by_value
      - .address_space:  global
        .offset:         56
        .size:           8
        .value_kind:     global_buffer
      - .offset:         64
        .size:           8
        .value_kind:     by_value
      - .offset:         72
        .size:           8
        .value_kind:     by_value
      - .offset:         80
        .size:           4
        .value_kind:     by_value
      - .address_space:  global
        .offset:         88
        .size:           8
        .value_kind:     global_buffer
      - .offset:         96
        .size:           8
        .value_kind:     by_value
      - .offset:         104
        .size:           8
        .value_kind:     by_value
      - .address_space:  global
        .offset:         112
        .size:           8
        .value_kind:     global_buffer
      - .offset:         120
        .size:           8
        .value_kind:     by_value
      - .offset:         128
        .size:           8
        .value_kind:     by_value
      - .offset:         136
        .size:           4
        .value_kind:     by_value
    .group_segment_fixed_size: 2048
    .kernarg_segment_align: 8
    .kernarg_segment_size: 140
    .language:       OpenCL C
    .language_version:
      - 2
      - 0
    .max_flat_workgroup_size: 256
    .name:           _ZN12_GLOBAL__N_127rocblas_gemm_batched_kernelIfLi16ELi16ELi64ELi64ELi4ELi64ELi4ELi4ELi64ELc78ELc67EK16rocblas_bfloat16S2_S1_EEvlllT_PT11_llS5_llS3_PT12_llPT13_lli
    .private_segment_fixed_size: 0
    .sgpr_count:     24
    .sgpr_spill_count: 0
    .symbol:         _ZN12_GLOBAL__N_127rocblas_gemm_batched_kernelIfLi16ELi16ELi64ELi64ELi4ELi64ELi4ELi4ELi64ELc78ELc67EK16rocblas_bfloat16S2_S1_EEvlllT_PT11_llS5_llS3_PT12_llPT13_lli.kd
    .uniform_work_group_size: 1
    .uses_dynamic_stack: false
    .vgpr_count:     58
    .vgpr_spill_count: 0
    .wavefront_size: 32
    .workgroup_processor_mode: 1
  - .args:
      - .offset:         0
        .size:           8
        .value_kind:     by_value
      - .offset:         8
        .size:           8
        .value_kind:     by_value
      - .offset:         16
        .size:           8
        .value_kind:     by_value
      - .offset:         24
        .size:           4
        .value_kind:     by_value
      - .address_space:  global
        .offset:         32
        .size:           8
        .value_kind:     global_buffer
      - .offset:         40
        .size:           8
        .value_kind:     by_value
      - .offset:         48
        .size:           8
        .value_kind:     by_value
      - .address_space:  global
        .offset:         56
        .size:           8
        .value_kind:     global_buffer
      - .offset:         64
        .size:           8
        .value_kind:     by_value
      - .offset:         72
        .size:           8
        .value_kind:     by_value
      - .offset:         80
        .size:           4
        .value_kind:     by_value
      - .address_space:  global
        .offset:         88
        .size:           8
        .value_kind:     global_buffer
      - .offset:         96
        .size:           8
        .value_kind:     by_value
      - .offset:         104
        .size:           8
        .value_kind:     by_value
      - .address_space:  global
        .offset:         112
        .size:           8
        .value_kind:     global_buffer
      - .offset:         120
        .size:           8
        .value_kind:     by_value
      - .offset:         128
        .size:           8
        .value_kind:     by_value
      - .offset:         136
        .size:           4
        .value_kind:     by_value
    .group_segment_fixed_size: 2048
    .kernarg_segment_align: 8
    .kernarg_segment_size: 140
    .language:       OpenCL C
    .language_version:
      - 2
      - 0
    .max_flat_workgroup_size: 256
    .name:           _ZN12_GLOBAL__N_127rocblas_gemm_batched_kernelIfLi16ELi16ELi64ELi64ELi4ELi64ELi4ELi4ELi64ELc84ELc67EK16rocblas_bfloat16S2_S1_EEvlllT_PT11_llS5_llS3_PT12_llPT13_lli
    .private_segment_fixed_size: 0
    .sgpr_count:     24
    .sgpr_spill_count: 0
    .symbol:         _ZN12_GLOBAL__N_127rocblas_gemm_batched_kernelIfLi16ELi16ELi64ELi64ELi4ELi64ELi4ELi4ELi64ELc84ELc67EK16rocblas_bfloat16S2_S1_EEvlllT_PT11_llS5_llS3_PT12_llPT13_lli.kd
    .uniform_work_group_size: 1
    .uses_dynamic_stack: false
    .vgpr_count:     58
    .vgpr_spill_count: 0
    .wavefront_size: 32
    .workgroup_processor_mode: 1
  - .args:
      - .offset:         0
        .size:           8
        .value_kind:     by_value
      - .offset:         8
        .size:           8
        .value_kind:     by_value
      - .offset:         16
        .size:           8
        .value_kind:     by_value
      - .offset:         24
        .size:           4
        .value_kind:     by_value
      - .address_space:  global
        .offset:         32
        .size:           8
        .value_kind:     global_buffer
      - .offset:         40
        .size:           8
        .value_kind:     by_value
      - .offset:         48
        .size:           8
        .value_kind:     by_value
      - .address_space:  global
        .offset:         56
        .size:           8
        .value_kind:     global_buffer
      - .offset:         64
        .size:           8
        .value_kind:     by_value
      - .offset:         72
        .size:           8
        .value_kind:     by_value
      - .offset:         80
        .size:           4
        .value_kind:     by_value
      - .address_space:  global
        .offset:         88
        .size:           8
        .value_kind:     global_buffer
      - .offset:         96
        .size:           8
        .value_kind:     by_value
      - .offset:         104
        .size:           8
        .value_kind:     by_value
      - .address_space:  global
        .offset:         112
        .size:           8
        .value_kind:     global_buffer
      - .offset:         120
        .size:           8
        .value_kind:     by_value
      - .offset:         128
        .size:           8
        .value_kind:     by_value
      - .offset:         136
        .size:           4
        .value_kind:     by_value
    .group_segment_fixed_size: 2048
    .kernarg_segment_align: 8
    .kernarg_segment_size: 140
    .language:       OpenCL C
    .language_version:
      - 2
      - 0
    .max_flat_workgroup_size: 256
    .name:           _ZN12_GLOBAL__N_127rocblas_gemm_batched_kernelIfLi16ELi16ELi32ELi32ELi8ELi32ELi8ELi8ELi32ELc78ELc78EK16rocblas_bfloat16S2_S1_EEvlllT_PT11_llS5_llS3_PT12_llPT13_lli
    .private_segment_fixed_size: 0
    .sgpr_count:     24
    .sgpr_spill_count: 0
    .symbol:         _ZN12_GLOBAL__N_127rocblas_gemm_batched_kernelIfLi16ELi16ELi32ELi32ELi8ELi32ELi8ELi8ELi32ELc78ELc78EK16rocblas_bfloat16S2_S1_EEvlllT_PT11_llS5_llS3_PT12_llPT13_lli.kd
    .uniform_work_group_size: 1
    .uses_dynamic_stack: false
    .vgpr_count:     46
    .vgpr_spill_count: 0
    .wavefront_size: 32
    .workgroup_processor_mode: 1
  - .args:
      - .offset:         0
        .size:           8
        .value_kind:     by_value
      - .offset:         8
        .size:           8
        .value_kind:     by_value
      - .offset:         16
        .size:           8
        .value_kind:     by_value
      - .offset:         24
        .size:           4
        .value_kind:     by_value
      - .address_space:  global
        .offset:         32
        .size:           8
        .value_kind:     global_buffer
      - .offset:         40
        .size:           8
        .value_kind:     by_value
      - .offset:         48
        .size:           8
        .value_kind:     by_value
      - .address_space:  global
        .offset:         56
        .size:           8
        .value_kind:     global_buffer
      - .offset:         64
        .size:           8
        .value_kind:     by_value
      - .offset:         72
        .size:           8
        .value_kind:     by_value
      - .offset:         80
        .size:           4
        .value_kind:     by_value
      - .address_space:  global
        .offset:         88
        .size:           8
        .value_kind:     global_buffer
      - .offset:         96
        .size:           8
        .value_kind:     by_value
      - .offset:         104
        .size:           8
        .value_kind:     by_value
      - .address_space:  global
        .offset:         112
        .size:           8
        .value_kind:     global_buffer
      - .offset:         120
        .size:           8
        .value_kind:     by_value
      - .offset:         128
        .size:           8
        .value_kind:     by_value
      - .offset:         136
        .size:           4
        .value_kind:     by_value
    .group_segment_fixed_size: 2048
    .kernarg_segment_align: 8
    .kernarg_segment_size: 140
    .language:       OpenCL C
    .language_version:
      - 2
      - 0
    .max_flat_workgroup_size: 256
    .name:           _ZN12_GLOBAL__N_127rocblas_gemm_batched_kernelIfLi16ELi16ELi32ELi32ELi8ELi32ELi8ELi8ELi32ELc84ELc78EK16rocblas_bfloat16S2_S1_EEvlllT_PT11_llS5_llS3_PT12_llPT13_lli
    .private_segment_fixed_size: 0
    .sgpr_count:     24
    .sgpr_spill_count: 0
    .symbol:         _ZN12_GLOBAL__N_127rocblas_gemm_batched_kernelIfLi16ELi16ELi32ELi32ELi8ELi32ELi8ELi8ELi32ELc84ELc78EK16rocblas_bfloat16S2_S1_EEvlllT_PT11_llS5_llS3_PT12_llPT13_lli.kd
    .uniform_work_group_size: 1
    .uses_dynamic_stack: false
    .vgpr_count:     46
    .vgpr_spill_count: 0
    .wavefront_size: 32
    .workgroup_processor_mode: 1
  - .args:
      - .offset:         0
        .size:           8
        .value_kind:     by_value
      - .offset:         8
        .size:           8
        .value_kind:     by_value
      - .offset:         16
        .size:           8
        .value_kind:     by_value
      - .offset:         24
        .size:           4
        .value_kind:     by_value
      - .address_space:  global
        .offset:         32
        .size:           8
        .value_kind:     global_buffer
      - .offset:         40
        .size:           8
        .value_kind:     by_value
      - .offset:         48
        .size:           8
        .value_kind:     by_value
      - .address_space:  global
        .offset:         56
        .size:           8
        .value_kind:     global_buffer
      - .offset:         64
        .size:           8
        .value_kind:     by_value
      - .offset:         72
        .size:           8
        .value_kind:     by_value
      - .offset:         80
        .size:           4
        .value_kind:     by_value
      - .address_space:  global
        .offset:         88
        .size:           8
        .value_kind:     global_buffer
      - .offset:         96
        .size:           8
        .value_kind:     by_value
      - .offset:         104
        .size:           8
        .value_kind:     by_value
      - .address_space:  global
        .offset:         112
        .size:           8
        .value_kind:     global_buffer
      - .offset:         120
        .size:           8
        .value_kind:     by_value
      - .offset:         128
        .size:           8
        .value_kind:     by_value
      - .offset:         136
        .size:           4
        .value_kind:     by_value
    .group_segment_fixed_size: 2048
    .kernarg_segment_align: 8
    .kernarg_segment_size: 140
    .language:       OpenCL C
    .language_version:
      - 2
      - 0
    .max_flat_workgroup_size: 256
    .name:           _ZN12_GLOBAL__N_127rocblas_gemm_batched_kernelIfLi16ELi16ELi32ELi32ELi8ELi32ELi8ELi8ELi32ELc78ELc84EK16rocblas_bfloat16S2_S1_EEvlllT_PT11_llS5_llS3_PT12_llPT13_lli
    .private_segment_fixed_size: 0
    .sgpr_count:     26
    .sgpr_spill_count: 0
    .symbol:         _ZN12_GLOBAL__N_127rocblas_gemm_batched_kernelIfLi16ELi16ELi32ELi32ELi8ELi32ELi8ELi8ELi32ELc78ELc84EK16rocblas_bfloat16S2_S1_EEvlllT_PT11_llS5_llS3_PT12_llPT13_lli.kd
    .uniform_work_group_size: 1
    .uses_dynamic_stack: false
    .vgpr_count:     46
    .vgpr_spill_count: 0
    .wavefront_size: 32
    .workgroup_processor_mode: 1
  - .args:
      - .offset:         0
        .size:           8
        .value_kind:     by_value
      - .offset:         8
        .size:           8
        .value_kind:     by_value
      - .offset:         16
        .size:           8
        .value_kind:     by_value
      - .offset:         24
        .size:           4
        .value_kind:     by_value
      - .address_space:  global
        .offset:         32
        .size:           8
        .value_kind:     global_buffer
      - .offset:         40
        .size:           8
        .value_kind:     by_value
      - .offset:         48
        .size:           8
        .value_kind:     by_value
      - .address_space:  global
        .offset:         56
        .size:           8
        .value_kind:     global_buffer
      - .offset:         64
        .size:           8
        .value_kind:     by_value
      - .offset:         72
        .size:           8
        .value_kind:     by_value
      - .offset:         80
        .size:           4
        .value_kind:     by_value
      - .address_space:  global
        .offset:         88
        .size:           8
        .value_kind:     global_buffer
      - .offset:         96
        .size:           8
        .value_kind:     by_value
      - .offset:         104
        .size:           8
        .value_kind:     by_value
      - .address_space:  global
        .offset:         112
        .size:           8
        .value_kind:     global_buffer
      - .offset:         120
        .size:           8
        .value_kind:     by_value
      - .offset:         128
        .size:           8
        .value_kind:     by_value
      - .offset:         136
        .size:           4
        .value_kind:     by_value
    .group_segment_fixed_size: 2048
    .kernarg_segment_align: 8
    .kernarg_segment_size: 140
    .language:       OpenCL C
    .language_version:
      - 2
      - 0
    .max_flat_workgroup_size: 256
    .name:           _ZN12_GLOBAL__N_127rocblas_gemm_batched_kernelIfLi16ELi16ELi32ELi32ELi8ELi32ELi8ELi8ELi32ELc84ELc84EK16rocblas_bfloat16S2_S1_EEvlllT_PT11_llS5_llS3_PT12_llPT13_lli
    .private_segment_fixed_size: 0
    .sgpr_count:     24
    .sgpr_spill_count: 0
    .symbol:         _ZN12_GLOBAL__N_127rocblas_gemm_batched_kernelIfLi16ELi16ELi32ELi32ELi8ELi32ELi8ELi8ELi32ELc84ELc84EK16rocblas_bfloat16S2_S1_EEvlllT_PT11_llS5_llS3_PT12_llPT13_lli.kd
    .uniform_work_group_size: 1
    .uses_dynamic_stack: false
    .vgpr_count:     46
    .vgpr_spill_count: 0
    .wavefront_size: 32
    .workgroup_processor_mode: 1
  - .args:
      - .offset:         0
        .size:           8
        .value_kind:     by_value
      - .offset:         8
        .size:           8
        .value_kind:     by_value
      - .offset:         16
        .size:           8
        .value_kind:     by_value
      - .offset:         24
        .size:           4
        .value_kind:     by_value
      - .address_space:  global
        .offset:         32
        .size:           8
        .value_kind:     global_buffer
      - .offset:         40
        .size:           8
        .value_kind:     by_value
      - .offset:         48
        .size:           8
        .value_kind:     by_value
      - .address_space:  global
        .offset:         56
        .size:           8
        .value_kind:     global_buffer
      - .offset:         64
        .size:           8
        .value_kind:     by_value
      - .offset:         72
        .size:           8
        .value_kind:     by_value
      - .offset:         80
        .size:           4
        .value_kind:     by_value
      - .address_space:  global
        .offset:         88
        .size:           8
        .value_kind:     global_buffer
      - .offset:         96
        .size:           8
        .value_kind:     by_value
      - .offset:         104
        .size:           8
        .value_kind:     by_value
      - .address_space:  global
        .offset:         112
        .size:           8
        .value_kind:     global_buffer
      - .offset:         120
        .size:           8
        .value_kind:     by_value
      - .offset:         128
        .size:           8
        .value_kind:     by_value
      - .offset:         136
        .size:           4
        .value_kind:     by_value
    .group_segment_fixed_size: 2048
    .kernarg_segment_align: 8
    .kernarg_segment_size: 140
    .language:       OpenCL C
    .language_version:
      - 2
      - 0
    .max_flat_workgroup_size: 256
    .name:           _ZN12_GLOBAL__N_127rocblas_gemm_batched_kernelIfLi16ELi16ELi32ELi32ELi8ELi32ELi8ELi8ELi32ELc67ELc67EK16rocblas_bfloat16S2_S1_EEvlllT_PT11_llS5_llS3_PT12_llPT13_lli
    .private_segment_fixed_size: 0
    .sgpr_count:     24
    .sgpr_spill_count: 0
    .symbol:         _ZN12_GLOBAL__N_127rocblas_gemm_batched_kernelIfLi16ELi16ELi32ELi32ELi8ELi32ELi8ELi8ELi32ELc67ELc67EK16rocblas_bfloat16S2_S1_EEvlllT_PT11_llS5_llS3_PT12_llPT13_lli.kd
    .uniform_work_group_size: 1
    .uses_dynamic_stack: false
    .vgpr_count:     46
    .vgpr_spill_count: 0
    .wavefront_size: 32
    .workgroup_processor_mode: 1
  - .args:
      - .offset:         0
        .size:           8
        .value_kind:     by_value
      - .offset:         8
        .size:           8
        .value_kind:     by_value
      - .offset:         16
        .size:           8
        .value_kind:     by_value
      - .offset:         24
        .size:           4
        .value_kind:     by_value
      - .address_space:  global
        .offset:         32
        .size:           8
        .value_kind:     global_buffer
      - .offset:         40
        .size:           8
        .value_kind:     by_value
      - .offset:         48
        .size:           8
        .value_kind:     by_value
      - .address_space:  global
        .offset:         56
        .size:           8
        .value_kind:     global_buffer
      - .offset:         64
        .size:           8
        .value_kind:     by_value
      - .offset:         72
        .size:           8
        .value_kind:     by_value
      - .offset:         80
        .size:           4
        .value_kind:     by_value
      - .address_space:  global
        .offset:         88
        .size:           8
        .value_kind:     global_buffer
      - .offset:         96
        .size:           8
        .value_kind:     by_value
      - .offset:         104
        .size:           8
        .value_kind:     by_value
      - .address_space:  global
        .offset:         112
        .size:           8
        .value_kind:     global_buffer
      - .offset:         120
        .size:           8
        .value_kind:     by_value
      - .offset:         128
        .size:           8
        .value_kind:     by_value
      - .offset:         136
        .size:           4
        .value_kind:     by_value
    .group_segment_fixed_size: 2048
    .kernarg_segment_align: 8
    .kernarg_segment_size: 140
    .language:       OpenCL C
    .language_version:
      - 2
      - 0
    .max_flat_workgroup_size: 256
    .name:           _ZN12_GLOBAL__N_127rocblas_gemm_batched_kernelIfLi16ELi16ELi32ELi32ELi8ELi32ELi8ELi8ELi32ELc67ELc78EK16rocblas_bfloat16S2_S1_EEvlllT_PT11_llS5_llS3_PT12_llPT13_lli
    .private_segment_fixed_size: 0
    .sgpr_count:     24
    .sgpr_spill_count: 0
    .symbol:         _ZN12_GLOBAL__N_127rocblas_gemm_batched_kernelIfLi16ELi16ELi32ELi32ELi8ELi32ELi8ELi8ELi32ELc67ELc78EK16rocblas_bfloat16S2_S1_EEvlllT_PT11_llS5_llS3_PT12_llPT13_lli.kd
    .uniform_work_group_size: 1
    .uses_dynamic_stack: false
    .vgpr_count:     46
    .vgpr_spill_count: 0
    .wavefront_size: 32
    .workgroup_processor_mode: 1
  - .args:
      - .offset:         0
        .size:           8
        .value_kind:     by_value
      - .offset:         8
        .size:           8
        .value_kind:     by_value
      - .offset:         16
        .size:           8
        .value_kind:     by_value
      - .offset:         24
        .size:           4
        .value_kind:     by_value
      - .address_space:  global
        .offset:         32
        .size:           8
        .value_kind:     global_buffer
      - .offset:         40
        .size:           8
        .value_kind:     by_value
      - .offset:         48
        .size:           8
        .value_kind:     by_value
      - .address_space:  global
        .offset:         56
        .size:           8
        .value_kind:     global_buffer
      - .offset:         64
        .size:           8
        .value_kind:     by_value
      - .offset:         72
        .size:           8
        .value_kind:     by_value
      - .offset:         80
        .size:           4
        .value_kind:     by_value
      - .address_space:  global
        .offset:         88
        .size:           8
        .value_kind:     global_buffer
      - .offset:         96
        .size:           8
        .value_kind:     by_value
      - .offset:         104
        .size:           8
        .value_kind:     by_value
      - .address_space:  global
        .offset:         112
        .size:           8
        .value_kind:     global_buffer
      - .offset:         120
        .size:           8
        .value_kind:     by_value
      - .offset:         128
        .size:           8
        .value_kind:     by_value
      - .offset:         136
        .size:           4
        .value_kind:     by_value
    .group_segment_fixed_size: 2048
    .kernarg_segment_align: 8
    .kernarg_segment_size: 140
    .language:       OpenCL C
    .language_version:
      - 2
      - 0
    .max_flat_workgroup_size: 256
    .name:           _ZN12_GLOBAL__N_127rocblas_gemm_batched_kernelIfLi16ELi16ELi32ELi32ELi8ELi32ELi8ELi8ELi32ELc67ELc84EK16rocblas_bfloat16S2_S1_EEvlllT_PT11_llS5_llS3_PT12_llPT13_lli
    .private_segment_fixed_size: 0
    .sgpr_count:     24
    .sgpr_spill_count: 0
    .symbol:         _ZN12_GLOBAL__N_127rocblas_gemm_batched_kernelIfLi16ELi16ELi32ELi32ELi8ELi32ELi8ELi8ELi32ELc67ELc84EK16rocblas_bfloat16S2_S1_EEvlllT_PT11_llS5_llS3_PT12_llPT13_lli.kd
    .uniform_work_group_size: 1
    .uses_dynamic_stack: false
    .vgpr_count:     46
    .vgpr_spill_count: 0
    .wavefront_size: 32
    .workgroup_processor_mode: 1
  - .args:
      - .offset:         0
        .size:           8
        .value_kind:     by_value
      - .offset:         8
        .size:           8
        .value_kind:     by_value
      - .offset:         16
        .size:           8
        .value_kind:     by_value
      - .offset:         24
        .size:           4
        .value_kind:     by_value
      - .address_space:  global
        .offset:         32
        .size:           8
        .value_kind:     global_buffer
      - .offset:         40
        .size:           8
        .value_kind:     by_value
      - .offset:         48
        .size:           8
        .value_kind:     by_value
      - .address_space:  global
        .offset:         56
        .size:           8
        .value_kind:     global_buffer
      - .offset:         64
        .size:           8
        .value_kind:     by_value
      - .offset:         72
        .size:           8
        .value_kind:     by_value
      - .offset:         80
        .size:           4
        .value_kind:     by_value
      - .address_space:  global
        .offset:         88
        .size:           8
        .value_kind:     global_buffer
      - .offset:         96
        .size:           8
        .value_kind:     by_value
      - .offset:         104
        .size:           8
        .value_kind:     by_value
      - .address_space:  global
        .offset:         112
        .size:           8
        .value_kind:     global_buffer
      - .offset:         120
        .size:           8
        .value_kind:     by_value
      - .offset:         128
        .size:           8
        .value_kind:     by_value
      - .offset:         136
        .size:           4
        .value_kind:     by_value
    .group_segment_fixed_size: 2048
    .kernarg_segment_align: 8
    .kernarg_segment_size: 140
    .language:       OpenCL C
    .language_version:
      - 2
      - 0
    .max_flat_workgroup_size: 256
    .name:           _ZN12_GLOBAL__N_127rocblas_gemm_batched_kernelIfLi16ELi16ELi32ELi32ELi8ELi32ELi8ELi8ELi32ELc78ELc67EK16rocblas_bfloat16S2_S1_EEvlllT_PT11_llS5_llS3_PT12_llPT13_lli
    .private_segment_fixed_size: 0
    .sgpr_count:     26
    .sgpr_spill_count: 0
    .symbol:         _ZN12_GLOBAL__N_127rocblas_gemm_batched_kernelIfLi16ELi16ELi32ELi32ELi8ELi32ELi8ELi8ELi32ELc78ELc67EK16rocblas_bfloat16S2_S1_EEvlllT_PT11_llS5_llS3_PT12_llPT13_lli.kd
    .uniform_work_group_size: 1
    .uses_dynamic_stack: false
    .vgpr_count:     46
    .vgpr_spill_count: 0
    .wavefront_size: 32
    .workgroup_processor_mode: 1
  - .args:
      - .offset:         0
        .size:           8
        .value_kind:     by_value
      - .offset:         8
        .size:           8
        .value_kind:     by_value
      - .offset:         16
        .size:           8
        .value_kind:     by_value
      - .offset:         24
        .size:           4
        .value_kind:     by_value
      - .address_space:  global
        .offset:         32
        .size:           8
        .value_kind:     global_buffer
      - .offset:         40
        .size:           8
        .value_kind:     by_value
      - .offset:         48
        .size:           8
        .value_kind:     by_value
      - .address_space:  global
        .offset:         56
        .size:           8
        .value_kind:     global_buffer
      - .offset:         64
        .size:           8
        .value_kind:     by_value
      - .offset:         72
        .size:           8
        .value_kind:     by_value
      - .offset:         80
        .size:           4
        .value_kind:     by_value
      - .address_space:  global
        .offset:         88
        .size:           8
        .value_kind:     global_buffer
      - .offset:         96
        .size:           8
        .value_kind:     by_value
      - .offset:         104
        .size:           8
        .value_kind:     by_value
      - .address_space:  global
        .offset:         112
        .size:           8
        .value_kind:     global_buffer
      - .offset:         120
        .size:           8
        .value_kind:     by_value
      - .offset:         128
        .size:           8
        .value_kind:     by_value
      - .offset:         136
        .size:           4
        .value_kind:     by_value
    .group_segment_fixed_size: 2048
    .kernarg_segment_align: 8
    .kernarg_segment_size: 140
    .language:       OpenCL C
    .language_version:
      - 2
      - 0
    .max_flat_workgroup_size: 256
    .name:           _ZN12_GLOBAL__N_127rocblas_gemm_batched_kernelIfLi16ELi16ELi32ELi32ELi8ELi32ELi8ELi8ELi32ELc84ELc67EK16rocblas_bfloat16S2_S1_EEvlllT_PT11_llS5_llS3_PT12_llPT13_lli
    .private_segment_fixed_size: 0
    .sgpr_count:     24
    .sgpr_spill_count: 0
    .symbol:         _ZN12_GLOBAL__N_127rocblas_gemm_batched_kernelIfLi16ELi16ELi32ELi32ELi8ELi32ELi8ELi8ELi32ELc84ELc67EK16rocblas_bfloat16S2_S1_EEvlllT_PT11_llS5_llS3_PT12_llPT13_lli.kd
    .uniform_work_group_size: 1
    .uses_dynamic_stack: false
    .vgpr_count:     46
    .vgpr_spill_count: 0
    .wavefront_size: 32
    .workgroup_processor_mode: 1
  - .args:
      - .offset:         0
        .size:           8
        .value_kind:     by_value
      - .offset:         8
        .size:           8
        .value_kind:     by_value
      - .offset:         16
        .size:           8
        .value_kind:     by_value
      - .offset:         24
        .size:           4
        .value_kind:     by_value
      - .address_space:  global
        .offset:         32
        .size:           8
        .value_kind:     global_buffer
      - .offset:         40
        .size:           8
        .value_kind:     by_value
      - .offset:         48
        .size:           8
        .value_kind:     by_value
      - .address_space:  global
        .offset:         56
        .size:           8
        .value_kind:     global_buffer
      - .offset:         64
        .size:           8
        .value_kind:     by_value
      - .offset:         72
        .size:           8
        .value_kind:     by_value
      - .offset:         80
        .size:           4
        .value_kind:     by_value
      - .address_space:  global
        .offset:         88
        .size:           8
        .value_kind:     global_buffer
      - .offset:         96
        .size:           8
        .value_kind:     by_value
      - .offset:         104
        .size:           8
        .value_kind:     by_value
      - .address_space:  global
        .offset:         112
        .size:           8
        .value_kind:     global_buffer
      - .offset:         120
        .size:           8
        .value_kind:     by_value
      - .offset:         128
        .size:           8
        .value_kind:     by_value
      - .offset:         136
        .size:           4
        .value_kind:     by_value
    .group_segment_fixed_size: 2048
    .kernarg_segment_align: 8
    .kernarg_segment_size: 140
    .language:       OpenCL C
    .language_version:
      - 2
      - 0
    .max_flat_workgroup_size: 256
    .name:           _ZN12_GLOBAL__N_135rocblas_gemm_batched_general_kernelIfLi16ELi16ELi32ELi32ELi8ELi32ELi8ELi8ELi32ELc78ELc78EK16rocblas_bfloat16S2_S1_EEvlllT_PT11_llS5_llS3_PT12_llPT13_lli
    .private_segment_fixed_size: 0
    .sgpr_count:     32
    .sgpr_spill_count: 0
    .symbol:         _ZN12_GLOBAL__N_135rocblas_gemm_batched_general_kernelIfLi16ELi16ELi32ELi32ELi8ELi32ELi8ELi8ELi32ELc78ELc78EK16rocblas_bfloat16S2_S1_EEvlllT_PT11_llS5_llS3_PT12_llPT13_lli.kd
    .uniform_work_group_size: 1
    .uses_dynamic_stack: false
    .vgpr_count:     44
    .vgpr_spill_count: 0
    .wavefront_size: 32
    .workgroup_processor_mode: 1
  - .args:
      - .offset:         0
        .size:           8
        .value_kind:     by_value
      - .offset:         8
        .size:           8
        .value_kind:     by_value
      - .offset:         16
        .size:           8
        .value_kind:     by_value
      - .offset:         24
        .size:           4
        .value_kind:     by_value
      - .address_space:  global
        .offset:         32
        .size:           8
        .value_kind:     global_buffer
      - .offset:         40
        .size:           8
        .value_kind:     by_value
      - .offset:         48
        .size:           8
        .value_kind:     by_value
      - .address_space:  global
        .offset:         56
        .size:           8
        .value_kind:     global_buffer
      - .offset:         64
        .size:           8
        .value_kind:     by_value
      - .offset:         72
        .size:           8
        .value_kind:     by_value
      - .offset:         80
        .size:           4
        .value_kind:     by_value
      - .address_space:  global
        .offset:         88
        .size:           8
        .value_kind:     global_buffer
      - .offset:         96
        .size:           8
        .value_kind:     by_value
      - .offset:         104
        .size:           8
        .value_kind:     by_value
      - .address_space:  global
        .offset:         112
        .size:           8
        .value_kind:     global_buffer
      - .offset:         120
        .size:           8
        .value_kind:     by_value
      - .offset:         128
        .size:           8
        .value_kind:     by_value
      - .offset:         136
        .size:           4
        .value_kind:     by_value
    .group_segment_fixed_size: 2048
    .kernarg_segment_align: 8
    .kernarg_segment_size: 140
    .language:       OpenCL C
    .language_version:
      - 2
      - 0
    .max_flat_workgroup_size: 256
    .name:           _ZN12_GLOBAL__N_135rocblas_gemm_batched_general_kernelIfLi16ELi16ELi32ELi32ELi8ELi32ELi8ELi8ELi32ELc84ELc78EK16rocblas_bfloat16S2_S1_EEvlllT_PT11_llS5_llS3_PT12_llPT13_lli
    .private_segment_fixed_size: 0
    .sgpr_count:     30
    .sgpr_spill_count: 0
    .symbol:         _ZN12_GLOBAL__N_135rocblas_gemm_batched_general_kernelIfLi16ELi16ELi32ELi32ELi8ELi32ELi8ELi8ELi32ELc84ELc78EK16rocblas_bfloat16S2_S1_EEvlllT_PT11_llS5_llS3_PT12_llPT13_lli.kd
    .uniform_work_group_size: 1
    .uses_dynamic_stack: false
    .vgpr_count:     44
    .vgpr_spill_count: 0
    .wavefront_size: 32
    .workgroup_processor_mode: 1
  - .args:
      - .offset:         0
        .size:           8
        .value_kind:     by_value
      - .offset:         8
        .size:           8
        .value_kind:     by_value
      - .offset:         16
        .size:           8
        .value_kind:     by_value
      - .offset:         24
        .size:           4
        .value_kind:     by_value
      - .address_space:  global
        .offset:         32
        .size:           8
        .value_kind:     global_buffer
      - .offset:         40
        .size:           8
        .value_kind:     by_value
      - .offset:         48
        .size:           8
        .value_kind:     by_value
      - .address_space:  global
        .offset:         56
        .size:           8
        .value_kind:     global_buffer
      - .offset:         64
        .size:           8
        .value_kind:     by_value
      - .offset:         72
        .size:           8
        .value_kind:     by_value
      - .offset:         80
        .size:           4
        .value_kind:     by_value
      - .address_space:  global
        .offset:         88
        .size:           8
        .value_kind:     global_buffer
      - .offset:         96
        .size:           8
        .value_kind:     by_value
      - .offset:         104
        .size:           8
        .value_kind:     by_value
      - .address_space:  global
        .offset:         112
        .size:           8
        .value_kind:     global_buffer
      - .offset:         120
        .size:           8
        .value_kind:     by_value
      - .offset:         128
        .size:           8
        .value_kind:     by_value
      - .offset:         136
        .size:           4
        .value_kind:     by_value
    .group_segment_fixed_size: 2048
    .kernarg_segment_align: 8
    .kernarg_segment_size: 140
    .language:       OpenCL C
    .language_version:
      - 2
      - 0
    .max_flat_workgroup_size: 256
    .name:           _ZN12_GLOBAL__N_135rocblas_gemm_batched_general_kernelIfLi16ELi16ELi32ELi32ELi8ELi32ELi8ELi8ELi32ELc78ELc84EK16rocblas_bfloat16S2_S1_EEvlllT_PT11_llS5_llS3_PT12_llPT13_lli
    .private_segment_fixed_size: 0
    .sgpr_count:     36
    .sgpr_spill_count: 0
    .symbol:         _ZN12_GLOBAL__N_135rocblas_gemm_batched_general_kernelIfLi16ELi16ELi32ELi32ELi8ELi32ELi8ELi8ELi32ELc78ELc84EK16rocblas_bfloat16S2_S1_EEvlllT_PT11_llS5_llS3_PT12_llPT13_lli.kd
    .uniform_work_group_size: 1
    .uses_dynamic_stack: false
    .vgpr_count:     44
    .vgpr_spill_count: 0
    .wavefront_size: 32
    .workgroup_processor_mode: 1
  - .args:
      - .offset:         0
        .size:           8
        .value_kind:     by_value
      - .offset:         8
        .size:           8
        .value_kind:     by_value
      - .offset:         16
        .size:           8
        .value_kind:     by_value
      - .offset:         24
        .size:           4
        .value_kind:     by_value
      - .address_space:  global
        .offset:         32
        .size:           8
        .value_kind:     global_buffer
      - .offset:         40
        .size:           8
        .value_kind:     by_value
      - .offset:         48
        .size:           8
        .value_kind:     by_value
      - .address_space:  global
        .offset:         56
        .size:           8
        .value_kind:     global_buffer
      - .offset:         64
        .size:           8
        .value_kind:     by_value
      - .offset:         72
        .size:           8
        .value_kind:     by_value
      - .offset:         80
        .size:           4
        .value_kind:     by_value
      - .address_space:  global
        .offset:         88
        .size:           8
        .value_kind:     global_buffer
      - .offset:         96
        .size:           8
        .value_kind:     by_value
      - .offset:         104
        .size:           8
        .value_kind:     by_value
      - .address_space:  global
        .offset:         112
        .size:           8
        .value_kind:     global_buffer
      - .offset:         120
        .size:           8
        .value_kind:     by_value
      - .offset:         128
        .size:           8
        .value_kind:     by_value
      - .offset:         136
        .size:           4
        .value_kind:     by_value
    .group_segment_fixed_size: 2048
    .kernarg_segment_align: 8
    .kernarg_segment_size: 140
    .language:       OpenCL C
    .language_version:
      - 2
      - 0
    .max_flat_workgroup_size: 256
    .name:           _ZN12_GLOBAL__N_135rocblas_gemm_batched_general_kernelIfLi16ELi16ELi32ELi32ELi8ELi32ELi8ELi8ELi32ELc84ELc84EK16rocblas_bfloat16S2_S1_EEvlllT_PT11_llS5_llS3_PT12_llPT13_lli
    .private_segment_fixed_size: 0
    .sgpr_count:     32
    .sgpr_spill_count: 0
    .symbol:         _ZN12_GLOBAL__N_135rocblas_gemm_batched_general_kernelIfLi16ELi16ELi32ELi32ELi8ELi32ELi8ELi8ELi32ELc84ELc84EK16rocblas_bfloat16S2_S1_EEvlllT_PT11_llS5_llS3_PT12_llPT13_lli.kd
    .uniform_work_group_size: 1
    .uses_dynamic_stack: false
    .vgpr_count:     44
    .vgpr_spill_count: 0
    .wavefront_size: 32
    .workgroup_processor_mode: 1
  - .args:
      - .offset:         0
        .size:           8
        .value_kind:     by_value
      - .offset:         8
        .size:           8
        .value_kind:     by_value
      - .offset:         16
        .size:           8
        .value_kind:     by_value
      - .offset:         24
        .size:           4
        .value_kind:     by_value
      - .address_space:  global
        .offset:         32
        .size:           8
        .value_kind:     global_buffer
      - .offset:         40
        .size:           8
        .value_kind:     by_value
      - .offset:         48
        .size:           8
        .value_kind:     by_value
      - .address_space:  global
        .offset:         56
        .size:           8
        .value_kind:     global_buffer
      - .offset:         64
        .size:           8
        .value_kind:     by_value
      - .offset:         72
        .size:           8
        .value_kind:     by_value
      - .offset:         80
        .size:           4
        .value_kind:     by_value
      - .address_space:  global
        .offset:         88
        .size:           8
        .value_kind:     global_buffer
      - .offset:         96
        .size:           8
        .value_kind:     by_value
      - .offset:         104
        .size:           8
        .value_kind:     by_value
      - .address_space:  global
        .offset:         112
        .size:           8
        .value_kind:     global_buffer
      - .offset:         120
        .size:           8
        .value_kind:     by_value
      - .offset:         128
        .size:           8
        .value_kind:     by_value
      - .offset:         136
        .size:           4
        .value_kind:     by_value
    .group_segment_fixed_size: 2048
    .kernarg_segment_align: 8
    .kernarg_segment_size: 140
    .language:       OpenCL C
    .language_version:
      - 2
      - 0
    .max_flat_workgroup_size: 256
    .name:           _ZN12_GLOBAL__N_135rocblas_gemm_batched_general_kernelIfLi16ELi16ELi32ELi32ELi8ELi32ELi8ELi8ELi32ELc67ELc67EK16rocblas_bfloat16S2_S1_EEvlllT_PT11_llS5_llS3_PT12_llPT13_lli
    .private_segment_fixed_size: 0
    .sgpr_count:     32
    .sgpr_spill_count: 0
    .symbol:         _ZN12_GLOBAL__N_135rocblas_gemm_batched_general_kernelIfLi16ELi16ELi32ELi32ELi8ELi32ELi8ELi8ELi32ELc67ELc67EK16rocblas_bfloat16S2_S1_EEvlllT_PT11_llS5_llS3_PT12_llPT13_lli.kd
    .uniform_work_group_size: 1
    .uses_dynamic_stack: false
    .vgpr_count:     44
    .vgpr_spill_count: 0
    .wavefront_size: 32
    .workgroup_processor_mode: 1
  - .args:
      - .offset:         0
        .size:           8
        .value_kind:     by_value
      - .offset:         8
        .size:           8
        .value_kind:     by_value
      - .offset:         16
        .size:           8
        .value_kind:     by_value
      - .offset:         24
        .size:           4
        .value_kind:     by_value
      - .address_space:  global
        .offset:         32
        .size:           8
        .value_kind:     global_buffer
      - .offset:         40
        .size:           8
        .value_kind:     by_value
      - .offset:         48
        .size:           8
        .value_kind:     by_value
      - .address_space:  global
        .offset:         56
        .size:           8
        .value_kind:     global_buffer
      - .offset:         64
        .size:           8
        .value_kind:     by_value
      - .offset:         72
        .size:           8
        .value_kind:     by_value
      - .offset:         80
        .size:           4
        .value_kind:     by_value
      - .address_space:  global
        .offset:         88
        .size:           8
        .value_kind:     global_buffer
      - .offset:         96
        .size:           8
        .value_kind:     by_value
      - .offset:         104
        .size:           8
        .value_kind:     by_value
      - .address_space:  global
        .offset:         112
        .size:           8
        .value_kind:     global_buffer
      - .offset:         120
        .size:           8
        .value_kind:     by_value
      - .offset:         128
        .size:           8
        .value_kind:     by_value
      - .offset:         136
        .size:           4
        .value_kind:     by_value
    .group_segment_fixed_size: 2048
    .kernarg_segment_align: 8
    .kernarg_segment_size: 140
    .language:       OpenCL C
    .language_version:
      - 2
      - 0
    .max_flat_workgroup_size: 256
    .name:           _ZN12_GLOBAL__N_135rocblas_gemm_batched_general_kernelIfLi16ELi16ELi32ELi32ELi8ELi32ELi8ELi8ELi32ELc67ELc78EK16rocblas_bfloat16S2_S1_EEvlllT_PT11_llS5_llS3_PT12_llPT13_lli
    .private_segment_fixed_size: 0
    .sgpr_count:     30
    .sgpr_spill_count: 0
    .symbol:         _ZN12_GLOBAL__N_135rocblas_gemm_batched_general_kernelIfLi16ELi16ELi32ELi32ELi8ELi32ELi8ELi8ELi32ELc67ELc78EK16rocblas_bfloat16S2_S1_EEvlllT_PT11_llS5_llS3_PT12_llPT13_lli.kd
    .uniform_work_group_size: 1
    .uses_dynamic_stack: false
    .vgpr_count:     44
    .vgpr_spill_count: 0
    .wavefront_size: 32
    .workgroup_processor_mode: 1
  - .args:
      - .offset:         0
        .size:           8
        .value_kind:     by_value
      - .offset:         8
        .size:           8
        .value_kind:     by_value
      - .offset:         16
        .size:           8
        .value_kind:     by_value
      - .offset:         24
        .size:           4
        .value_kind:     by_value
      - .address_space:  global
        .offset:         32
        .size:           8
        .value_kind:     global_buffer
      - .offset:         40
        .size:           8
        .value_kind:     by_value
      - .offset:         48
        .size:           8
        .value_kind:     by_value
      - .address_space:  global
        .offset:         56
        .size:           8
        .value_kind:     global_buffer
      - .offset:         64
        .size:           8
        .value_kind:     by_value
      - .offset:         72
        .size:           8
        .value_kind:     by_value
      - .offset:         80
        .size:           4
        .value_kind:     by_value
      - .address_space:  global
        .offset:         88
        .size:           8
        .value_kind:     global_buffer
      - .offset:         96
        .size:           8
        .value_kind:     by_value
      - .offset:         104
        .size:           8
        .value_kind:     by_value
      - .address_space:  global
        .offset:         112
        .size:           8
        .value_kind:     global_buffer
      - .offset:         120
        .size:           8
        .value_kind:     by_value
      - .offset:         128
        .size:           8
        .value_kind:     by_value
      - .offset:         136
        .size:           4
        .value_kind:     by_value
    .group_segment_fixed_size: 2048
    .kernarg_segment_align: 8
    .kernarg_segment_size: 140
    .language:       OpenCL C
    .language_version:
      - 2
      - 0
    .max_flat_workgroup_size: 256
    .name:           _ZN12_GLOBAL__N_135rocblas_gemm_batched_general_kernelIfLi16ELi16ELi32ELi32ELi8ELi32ELi8ELi8ELi32ELc67ELc84EK16rocblas_bfloat16S2_S1_EEvlllT_PT11_llS5_llS3_PT12_llPT13_lli
    .private_segment_fixed_size: 0
    .sgpr_count:     32
    .sgpr_spill_count: 0
    .symbol:         _ZN12_GLOBAL__N_135rocblas_gemm_batched_general_kernelIfLi16ELi16ELi32ELi32ELi8ELi32ELi8ELi8ELi32ELc67ELc84EK16rocblas_bfloat16S2_S1_EEvlllT_PT11_llS5_llS3_PT12_llPT13_lli.kd
    .uniform_work_group_size: 1
    .uses_dynamic_stack: false
    .vgpr_count:     44
    .vgpr_spill_count: 0
    .wavefront_size: 32
    .workgroup_processor_mode: 1
  - .args:
      - .offset:         0
        .size:           8
        .value_kind:     by_value
      - .offset:         8
        .size:           8
        .value_kind:     by_value
      - .offset:         16
        .size:           8
        .value_kind:     by_value
      - .offset:         24
        .size:           4
        .value_kind:     by_value
      - .address_space:  global
        .offset:         32
        .size:           8
        .value_kind:     global_buffer
      - .offset:         40
        .size:           8
        .value_kind:     by_value
      - .offset:         48
        .size:           8
        .value_kind:     by_value
      - .address_space:  global
        .offset:         56
        .size:           8
        .value_kind:     global_buffer
      - .offset:         64
        .size:           8
        .value_kind:     by_value
      - .offset:         72
        .size:           8
        .value_kind:     by_value
      - .offset:         80
        .size:           4
        .value_kind:     by_value
      - .address_space:  global
        .offset:         88
        .size:           8
        .value_kind:     global_buffer
      - .offset:         96
        .size:           8
        .value_kind:     by_value
      - .offset:         104
        .size:           8
        .value_kind:     by_value
      - .address_space:  global
        .offset:         112
        .size:           8
        .value_kind:     global_buffer
      - .offset:         120
        .size:           8
        .value_kind:     by_value
      - .offset:         128
        .size:           8
        .value_kind:     by_value
      - .offset:         136
        .size:           4
        .value_kind:     by_value
    .group_segment_fixed_size: 2048
    .kernarg_segment_align: 8
    .kernarg_segment_size: 140
    .language:       OpenCL C
    .language_version:
      - 2
      - 0
    .max_flat_workgroup_size: 256
    .name:           _ZN12_GLOBAL__N_135rocblas_gemm_batched_general_kernelIfLi16ELi16ELi32ELi32ELi8ELi32ELi8ELi8ELi32ELc78ELc67EK16rocblas_bfloat16S2_S1_EEvlllT_PT11_llS5_llS3_PT12_llPT13_lli
    .private_segment_fixed_size: 0
    .sgpr_count:     36
    .sgpr_spill_count: 0
    .symbol:         _ZN12_GLOBAL__N_135rocblas_gemm_batched_general_kernelIfLi16ELi16ELi32ELi32ELi8ELi32ELi8ELi8ELi32ELc78ELc67EK16rocblas_bfloat16S2_S1_EEvlllT_PT11_llS5_llS3_PT12_llPT13_lli.kd
    .uniform_work_group_size: 1
    .uses_dynamic_stack: false
    .vgpr_count:     44
    .vgpr_spill_count: 0
    .wavefront_size: 32
    .workgroup_processor_mode: 1
  - .args:
      - .offset:         0
        .size:           8
        .value_kind:     by_value
      - .offset:         8
        .size:           8
        .value_kind:     by_value
      - .offset:         16
        .size:           8
        .value_kind:     by_value
      - .offset:         24
        .size:           4
        .value_kind:     by_value
      - .address_space:  global
        .offset:         32
        .size:           8
        .value_kind:     global_buffer
      - .offset:         40
        .size:           8
        .value_kind:     by_value
      - .offset:         48
        .size:           8
        .value_kind:     by_value
      - .address_space:  global
        .offset:         56
        .size:           8
        .value_kind:     global_buffer
      - .offset:         64
        .size:           8
        .value_kind:     by_value
      - .offset:         72
        .size:           8
        .value_kind:     by_value
      - .offset:         80
        .size:           4
        .value_kind:     by_value
      - .address_space:  global
        .offset:         88
        .size:           8
        .value_kind:     global_buffer
      - .offset:         96
        .size:           8
        .value_kind:     by_value
      - .offset:         104
        .size:           8
        .value_kind:     by_value
      - .address_space:  global
        .offset:         112
        .size:           8
        .value_kind:     global_buffer
      - .offset:         120
        .size:           8
        .value_kind:     by_value
      - .offset:         128
        .size:           8
        .value_kind:     by_value
      - .offset:         136
        .size:           4
        .value_kind:     by_value
    .group_segment_fixed_size: 2048
    .kernarg_segment_align: 8
    .kernarg_segment_size: 140
    .language:       OpenCL C
    .language_version:
      - 2
      - 0
    .max_flat_workgroup_size: 256
    .name:           _ZN12_GLOBAL__N_135rocblas_gemm_batched_general_kernelIfLi16ELi16ELi32ELi32ELi8ELi32ELi8ELi8ELi32ELc84ELc67EK16rocblas_bfloat16S2_S1_EEvlllT_PT11_llS5_llS3_PT12_llPT13_lli
    .private_segment_fixed_size: 0
    .sgpr_count:     32
    .sgpr_spill_count: 0
    .symbol:         _ZN12_GLOBAL__N_135rocblas_gemm_batched_general_kernelIfLi16ELi16ELi32ELi32ELi8ELi32ELi8ELi8ELi32ELc84ELc67EK16rocblas_bfloat16S2_S1_EEvlllT_PT11_llS5_llS3_PT12_llPT13_lli.kd
    .uniform_work_group_size: 1
    .uses_dynamic_stack: false
    .vgpr_count:     44
    .vgpr_spill_count: 0
    .wavefront_size: 32
    .workgroup_processor_mode: 1
  - .args:
      - .offset:         0
        .size:           8
        .value_kind:     by_value
      - .offset:         8
        .size:           8
        .value_kind:     by_value
      - .offset:         16
        .size:           8
        .value_kind:     by_value
      - .offset:         24
        .size:           4
        .value_kind:     by_value
      - .address_space:  global
        .offset:         32
        .size:           8
        .value_kind:     global_buffer
      - .offset:         40
        .size:           8
        .value_kind:     by_value
      - .offset:         48
        .size:           8
        .value_kind:     by_value
      - .address_space:  global
        .offset:         56
        .size:           8
        .value_kind:     global_buffer
      - .offset:         64
        .size:           8
        .value_kind:     by_value
      - .offset:         72
        .size:           8
        .value_kind:     by_value
      - .offset:         80
        .size:           4
        .value_kind:     by_value
      - .address_space:  global
        .offset:         88
        .size:           8
        .value_kind:     global_buffer
      - .offset:         96
        .size:           8
        .value_kind:     by_value
      - .offset:         104
        .size:           8
        .value_kind:     by_value
      - .address_space:  global
        .offset:         112
        .size:           8
        .value_kind:     global_buffer
      - .offset:         120
        .size:           8
        .value_kind:     by_value
      - .offset:         128
        .size:           8
        .value_kind:     by_value
      - .offset:         136
        .size:           4
        .value_kind:     by_value
    .group_segment_fixed_size: 2048
    .kernarg_segment_align: 8
    .kernarg_segment_size: 140
    .language:       OpenCL C
    .language_version:
      - 2
      - 0
    .max_flat_workgroup_size: 256
    .name:           _ZN12_GLOBAL__N_127rocblas_gemm_batched_kernelIfLi16ELi16ELi64ELi64ELi4ELi64ELi4ELi4ELi64ELc78ELc78EK16rocblas_bfloat16KffEEvlllT_PT11_llS6_llS4_PT12_llPT13_lli
    .private_segment_fixed_size: 0
    .sgpr_count:     24
    .sgpr_spill_count: 0
    .symbol:         _ZN12_GLOBAL__N_127rocblas_gemm_batched_kernelIfLi16ELi16ELi64ELi64ELi4ELi64ELi4ELi4ELi64ELc78ELc78EK16rocblas_bfloat16KffEEvlllT_PT11_llS6_llS4_PT12_llPT13_lli.kd
    .uniform_work_group_size: 1
    .uses_dynamic_stack: false
    .vgpr_count:     58
    .vgpr_spill_count: 0
    .wavefront_size: 32
    .workgroup_processor_mode: 1
  - .args:
      - .offset:         0
        .size:           8
        .value_kind:     by_value
      - .offset:         8
        .size:           8
        .value_kind:     by_value
      - .offset:         16
        .size:           8
        .value_kind:     by_value
      - .offset:         24
        .size:           4
        .value_kind:     by_value
      - .address_space:  global
        .offset:         32
        .size:           8
        .value_kind:     global_buffer
      - .offset:         40
        .size:           8
        .value_kind:     by_value
      - .offset:         48
        .size:           8
        .value_kind:     by_value
      - .address_space:  global
        .offset:         56
        .size:           8
        .value_kind:     global_buffer
      - .offset:         64
        .size:           8
        .value_kind:     by_value
      - .offset:         72
        .size:           8
        .value_kind:     by_value
      - .offset:         80
        .size:           4
        .value_kind:     by_value
      - .address_space:  global
        .offset:         88
        .size:           8
        .value_kind:     global_buffer
      - .offset:         96
        .size:           8
        .value_kind:     by_value
      - .offset:         104
        .size:           8
        .value_kind:     by_value
      - .address_space:  global
        .offset:         112
        .size:           8
        .value_kind:     global_buffer
      - .offset:         120
        .size:           8
        .value_kind:     by_value
      - .offset:         128
        .size:           8
        .value_kind:     by_value
      - .offset:         136
        .size:           4
        .value_kind:     by_value
    .group_segment_fixed_size: 2048
    .kernarg_segment_align: 8
    .kernarg_segment_size: 140
    .language:       OpenCL C
    .language_version:
      - 2
      - 0
    .max_flat_workgroup_size: 256
    .name:           _ZN12_GLOBAL__N_127rocblas_gemm_batched_kernelIfLi16ELi16ELi64ELi64ELi4ELi64ELi4ELi4ELi64ELc84ELc78EK16rocblas_bfloat16KffEEvlllT_PT11_llS6_llS4_PT12_llPT13_lli
    .private_segment_fixed_size: 0
    .sgpr_count:     24
    .sgpr_spill_count: 0
    .symbol:         _ZN12_GLOBAL__N_127rocblas_gemm_batched_kernelIfLi16ELi16ELi64ELi64ELi4ELi64ELi4ELi4ELi64ELc84ELc78EK16rocblas_bfloat16KffEEvlllT_PT11_llS6_llS4_PT12_llPT13_lli.kd
    .uniform_work_group_size: 1
    .uses_dynamic_stack: false
    .vgpr_count:     58
    .vgpr_spill_count: 0
    .wavefront_size: 32
    .workgroup_processor_mode: 1
  - .args:
      - .offset:         0
        .size:           8
        .value_kind:     by_value
      - .offset:         8
        .size:           8
        .value_kind:     by_value
      - .offset:         16
        .size:           8
        .value_kind:     by_value
      - .offset:         24
        .size:           4
        .value_kind:     by_value
      - .address_space:  global
        .offset:         32
        .size:           8
        .value_kind:     global_buffer
      - .offset:         40
        .size:           8
        .value_kind:     by_value
      - .offset:         48
        .size:           8
        .value_kind:     by_value
      - .address_space:  global
        .offset:         56
        .size:           8
        .value_kind:     global_buffer
      - .offset:         64
        .size:           8
        .value_kind:     by_value
      - .offset:         72
        .size:           8
        .value_kind:     by_value
      - .offset:         80
        .size:           4
        .value_kind:     by_value
      - .address_space:  global
        .offset:         88
        .size:           8
        .value_kind:     global_buffer
      - .offset:         96
        .size:           8
        .value_kind:     by_value
      - .offset:         104
        .size:           8
        .value_kind:     by_value
      - .address_space:  global
        .offset:         112
        .size:           8
        .value_kind:     global_buffer
      - .offset:         120
        .size:           8
        .value_kind:     by_value
      - .offset:         128
        .size:           8
        .value_kind:     by_value
      - .offset:         136
        .size:           4
        .value_kind:     by_value
    .group_segment_fixed_size: 2048
    .kernarg_segment_align: 8
    .kernarg_segment_size: 140
    .language:       OpenCL C
    .language_version:
      - 2
      - 0
    .max_flat_workgroup_size: 256
    .name:           _ZN12_GLOBAL__N_127rocblas_gemm_batched_kernelIfLi16ELi16ELi64ELi64ELi4ELi64ELi4ELi4ELi64ELc78ELc84EK16rocblas_bfloat16KffEEvlllT_PT11_llS6_llS4_PT12_llPT13_lli
    .private_segment_fixed_size: 0
    .sgpr_count:     25
    .sgpr_spill_count: 0
    .symbol:         _ZN12_GLOBAL__N_127rocblas_gemm_batched_kernelIfLi16ELi16ELi64ELi64ELi4ELi64ELi4ELi4ELi64ELc78ELc84EK16rocblas_bfloat16KffEEvlllT_PT11_llS6_llS4_PT12_llPT13_lli.kd
    .uniform_work_group_size: 1
    .uses_dynamic_stack: false
    .vgpr_count:     58
    .vgpr_spill_count: 0
    .wavefront_size: 32
    .workgroup_processor_mode: 1
  - .args:
      - .offset:         0
        .size:           8
        .value_kind:     by_value
      - .offset:         8
        .size:           8
        .value_kind:     by_value
      - .offset:         16
        .size:           8
        .value_kind:     by_value
      - .offset:         24
        .size:           4
        .value_kind:     by_value
      - .address_space:  global
        .offset:         32
        .size:           8
        .value_kind:     global_buffer
      - .offset:         40
        .size:           8
        .value_kind:     by_value
      - .offset:         48
        .size:           8
        .value_kind:     by_value
      - .address_space:  global
        .offset:         56
        .size:           8
        .value_kind:     global_buffer
      - .offset:         64
        .size:           8
        .value_kind:     by_value
      - .offset:         72
        .size:           8
        .value_kind:     by_value
      - .offset:         80
        .size:           4
        .value_kind:     by_value
      - .address_space:  global
        .offset:         88
        .size:           8
        .value_kind:     global_buffer
      - .offset:         96
        .size:           8
        .value_kind:     by_value
      - .offset:         104
        .size:           8
        .value_kind:     by_value
      - .address_space:  global
        .offset:         112
        .size:           8
        .value_kind:     global_buffer
      - .offset:         120
        .size:           8
        .value_kind:     by_value
      - .offset:         128
        .size:           8
        .value_kind:     by_value
      - .offset:         136
        .size:           4
        .value_kind:     by_value
    .group_segment_fixed_size: 2048
    .kernarg_segment_align: 8
    .kernarg_segment_size: 140
    .language:       OpenCL C
    .language_version:
      - 2
      - 0
    .max_flat_workgroup_size: 256
    .name:           _ZN12_GLOBAL__N_127rocblas_gemm_batched_kernelIfLi16ELi16ELi64ELi64ELi4ELi64ELi4ELi4ELi64ELc84ELc84EK16rocblas_bfloat16KffEEvlllT_PT11_llS6_llS4_PT12_llPT13_lli
    .private_segment_fixed_size: 0
    .sgpr_count:     24
    .sgpr_spill_count: 0
    .symbol:         _ZN12_GLOBAL__N_127rocblas_gemm_batched_kernelIfLi16ELi16ELi64ELi64ELi4ELi64ELi4ELi4ELi64ELc84ELc84EK16rocblas_bfloat16KffEEvlllT_PT11_llS6_llS4_PT12_llPT13_lli.kd
    .uniform_work_group_size: 1
    .uses_dynamic_stack: false
    .vgpr_count:     58
    .vgpr_spill_count: 0
    .wavefront_size: 32
    .workgroup_processor_mode: 1
  - .args:
      - .offset:         0
        .size:           8
        .value_kind:     by_value
      - .offset:         8
        .size:           8
        .value_kind:     by_value
      - .offset:         16
        .size:           8
        .value_kind:     by_value
      - .offset:         24
        .size:           4
        .value_kind:     by_value
      - .address_space:  global
        .offset:         32
        .size:           8
        .value_kind:     global_buffer
      - .offset:         40
        .size:           8
        .value_kind:     by_value
      - .offset:         48
        .size:           8
        .value_kind:     by_value
      - .address_space:  global
        .offset:         56
        .size:           8
        .value_kind:     global_buffer
      - .offset:         64
        .size:           8
        .value_kind:     by_value
      - .offset:         72
        .size:           8
        .value_kind:     by_value
      - .offset:         80
        .size:           4
        .value_kind:     by_value
      - .address_space:  global
        .offset:         88
        .size:           8
        .value_kind:     global_buffer
      - .offset:         96
        .size:           8
        .value_kind:     by_value
      - .offset:         104
        .size:           8
        .value_kind:     by_value
      - .address_space:  global
        .offset:         112
        .size:           8
        .value_kind:     global_buffer
      - .offset:         120
        .size:           8
        .value_kind:     by_value
      - .offset:         128
        .size:           8
        .value_kind:     by_value
      - .offset:         136
        .size:           4
        .value_kind:     by_value
    .group_segment_fixed_size: 2048
    .kernarg_segment_align: 8
    .kernarg_segment_size: 140
    .language:       OpenCL C
    .language_version:
      - 2
      - 0
    .max_flat_workgroup_size: 256
    .name:           _ZN12_GLOBAL__N_127rocblas_gemm_batched_kernelIfLi16ELi16ELi64ELi64ELi4ELi64ELi4ELi4ELi64ELc67ELc67EK16rocblas_bfloat16KffEEvlllT_PT11_llS6_llS4_PT12_llPT13_lli
    .private_segment_fixed_size: 0
    .sgpr_count:     24
    .sgpr_spill_count: 0
    .symbol:         _ZN12_GLOBAL__N_127rocblas_gemm_batched_kernelIfLi16ELi16ELi64ELi64ELi4ELi64ELi4ELi4ELi64ELc67ELc67EK16rocblas_bfloat16KffEEvlllT_PT11_llS6_llS4_PT12_llPT13_lli.kd
    .uniform_work_group_size: 1
    .uses_dynamic_stack: false
    .vgpr_count:     58
    .vgpr_spill_count: 0
    .wavefront_size: 32
    .workgroup_processor_mode: 1
  - .args:
      - .offset:         0
        .size:           8
        .value_kind:     by_value
      - .offset:         8
        .size:           8
        .value_kind:     by_value
      - .offset:         16
        .size:           8
        .value_kind:     by_value
      - .offset:         24
        .size:           4
        .value_kind:     by_value
      - .address_space:  global
        .offset:         32
        .size:           8
        .value_kind:     global_buffer
      - .offset:         40
        .size:           8
        .value_kind:     by_value
      - .offset:         48
        .size:           8
        .value_kind:     by_value
      - .address_space:  global
        .offset:         56
        .size:           8
        .value_kind:     global_buffer
      - .offset:         64
        .size:           8
        .value_kind:     by_value
      - .offset:         72
        .size:           8
        .value_kind:     by_value
      - .offset:         80
        .size:           4
        .value_kind:     by_value
      - .address_space:  global
        .offset:         88
        .size:           8
        .value_kind:     global_buffer
      - .offset:         96
        .size:           8
        .value_kind:     by_value
      - .offset:         104
        .size:           8
        .value_kind:     by_value
      - .address_space:  global
        .offset:         112
        .size:           8
        .value_kind:     global_buffer
      - .offset:         120
        .size:           8
        .value_kind:     by_value
      - .offset:         128
        .size:           8
        .value_kind:     by_value
      - .offset:         136
        .size:           4
        .value_kind:     by_value
    .group_segment_fixed_size: 2048
    .kernarg_segment_align: 8
    .kernarg_segment_size: 140
    .language:       OpenCL C
    .language_version:
      - 2
      - 0
    .max_flat_workgroup_size: 256
    .name:           _ZN12_GLOBAL__N_127rocblas_gemm_batched_kernelIfLi16ELi16ELi64ELi64ELi4ELi64ELi4ELi4ELi64ELc67ELc78EK16rocblas_bfloat16KffEEvlllT_PT11_llS6_llS4_PT12_llPT13_lli
    .private_segment_fixed_size: 0
    .sgpr_count:     24
    .sgpr_spill_count: 0
    .symbol:         _ZN12_GLOBAL__N_127rocblas_gemm_batched_kernelIfLi16ELi16ELi64ELi64ELi4ELi64ELi4ELi4ELi64ELc67ELc78EK16rocblas_bfloat16KffEEvlllT_PT11_llS6_llS4_PT12_llPT13_lli.kd
    .uniform_work_group_size: 1
    .uses_dynamic_stack: false
    .vgpr_count:     58
    .vgpr_spill_count: 0
    .wavefront_size: 32
    .workgroup_processor_mode: 1
  - .args:
      - .offset:         0
        .size:           8
        .value_kind:     by_value
      - .offset:         8
        .size:           8
        .value_kind:     by_value
      - .offset:         16
        .size:           8
        .value_kind:     by_value
      - .offset:         24
        .size:           4
        .value_kind:     by_value
      - .address_space:  global
        .offset:         32
        .size:           8
        .value_kind:     global_buffer
      - .offset:         40
        .size:           8
        .value_kind:     by_value
      - .offset:         48
        .size:           8
        .value_kind:     by_value
      - .address_space:  global
        .offset:         56
        .size:           8
        .value_kind:     global_buffer
      - .offset:         64
        .size:           8
        .value_kind:     by_value
      - .offset:         72
        .size:           8
        .value_kind:     by_value
      - .offset:         80
        .size:           4
        .value_kind:     by_value
      - .address_space:  global
        .offset:         88
        .size:           8
        .value_kind:     global_buffer
      - .offset:         96
        .size:           8
        .value_kind:     by_value
      - .offset:         104
        .size:           8
        .value_kind:     by_value
      - .address_space:  global
        .offset:         112
        .size:           8
        .value_kind:     global_buffer
      - .offset:         120
        .size:           8
        .value_kind:     by_value
      - .offset:         128
        .size:           8
        .value_kind:     by_value
      - .offset:         136
        .size:           4
        .value_kind:     by_value
    .group_segment_fixed_size: 2048
    .kernarg_segment_align: 8
    .kernarg_segment_size: 140
    .language:       OpenCL C
    .language_version:
      - 2
      - 0
    .max_flat_workgroup_size: 256
    .name:           _ZN12_GLOBAL__N_127rocblas_gemm_batched_kernelIfLi16ELi16ELi64ELi64ELi4ELi64ELi4ELi4ELi64ELc67ELc84EK16rocblas_bfloat16KffEEvlllT_PT11_llS6_llS4_PT12_llPT13_lli
    .private_segment_fixed_size: 0
    .sgpr_count:     24
    .sgpr_spill_count: 0
    .symbol:         _ZN12_GLOBAL__N_127rocblas_gemm_batched_kernelIfLi16ELi16ELi64ELi64ELi4ELi64ELi4ELi4ELi64ELc67ELc84EK16rocblas_bfloat16KffEEvlllT_PT11_llS6_llS4_PT12_llPT13_lli.kd
    .uniform_work_group_size: 1
    .uses_dynamic_stack: false
    .vgpr_count:     58
    .vgpr_spill_count: 0
    .wavefront_size: 32
    .workgroup_processor_mode: 1
  - .args:
      - .offset:         0
        .size:           8
        .value_kind:     by_value
      - .offset:         8
        .size:           8
        .value_kind:     by_value
      - .offset:         16
        .size:           8
        .value_kind:     by_value
      - .offset:         24
        .size:           4
        .value_kind:     by_value
      - .address_space:  global
        .offset:         32
        .size:           8
        .value_kind:     global_buffer
      - .offset:         40
        .size:           8
        .value_kind:     by_value
      - .offset:         48
        .size:           8
        .value_kind:     by_value
      - .address_space:  global
        .offset:         56
        .size:           8
        .value_kind:     global_buffer
      - .offset:         64
        .size:           8
        .value_kind:     by_value
      - .offset:         72
        .size:           8
        .value_kind:     by_value
      - .offset:         80
        .size:           4
        .value_kind:     by_value
      - .address_space:  global
        .offset:         88
        .size:           8
        .value_kind:     global_buffer
      - .offset:         96
        .size:           8
        .value_kind:     by_value
      - .offset:         104
        .size:           8
        .value_kind:     by_value
      - .address_space:  global
        .offset:         112
        .size:           8
        .value_kind:     global_buffer
      - .offset:         120
        .size:           8
        .value_kind:     by_value
      - .offset:         128
        .size:           8
        .value_kind:     by_value
      - .offset:         136
        .size:           4
        .value_kind:     by_value
    .group_segment_fixed_size: 2048
    .kernarg_segment_align: 8
    .kernarg_segment_size: 140
    .language:       OpenCL C
    .language_version:
      - 2
      - 0
    .max_flat_workgroup_size: 256
    .name:           _ZN12_GLOBAL__N_127rocblas_gemm_batched_kernelIfLi16ELi16ELi64ELi64ELi4ELi64ELi4ELi4ELi64ELc78ELc67EK16rocblas_bfloat16KffEEvlllT_PT11_llS6_llS4_PT12_llPT13_lli
    .private_segment_fixed_size: 0
    .sgpr_count:     25
    .sgpr_spill_count: 0
    .symbol:         _ZN12_GLOBAL__N_127rocblas_gemm_batched_kernelIfLi16ELi16ELi64ELi64ELi4ELi64ELi4ELi4ELi64ELc78ELc67EK16rocblas_bfloat16KffEEvlllT_PT11_llS6_llS4_PT12_llPT13_lli.kd
    .uniform_work_group_size: 1
    .uses_dynamic_stack: false
    .vgpr_count:     58
    .vgpr_spill_count: 0
    .wavefront_size: 32
    .workgroup_processor_mode: 1
  - .args:
      - .offset:         0
        .size:           8
        .value_kind:     by_value
      - .offset:         8
        .size:           8
        .value_kind:     by_value
      - .offset:         16
        .size:           8
        .value_kind:     by_value
      - .offset:         24
        .size:           4
        .value_kind:     by_value
      - .address_space:  global
        .offset:         32
        .size:           8
        .value_kind:     global_buffer
      - .offset:         40
        .size:           8
        .value_kind:     by_value
      - .offset:         48
        .size:           8
        .value_kind:     by_value
      - .address_space:  global
        .offset:         56
        .size:           8
        .value_kind:     global_buffer
      - .offset:         64
        .size:           8
        .value_kind:     by_value
      - .offset:         72
        .size:           8
        .value_kind:     by_value
      - .offset:         80
        .size:           4
        .value_kind:     by_value
      - .address_space:  global
        .offset:         88
        .size:           8
        .value_kind:     global_buffer
      - .offset:         96
        .size:           8
        .value_kind:     by_value
      - .offset:         104
        .size:           8
        .value_kind:     by_value
      - .address_space:  global
        .offset:         112
        .size:           8
        .value_kind:     global_buffer
      - .offset:         120
        .size:           8
        .value_kind:     by_value
      - .offset:         128
        .size:           8
        .value_kind:     by_value
      - .offset:         136
        .size:           4
        .value_kind:     by_value
    .group_segment_fixed_size: 2048
    .kernarg_segment_align: 8
    .kernarg_segment_size: 140
    .language:       OpenCL C
    .language_version:
      - 2
      - 0
    .max_flat_workgroup_size: 256
    .name:           _ZN12_GLOBAL__N_127rocblas_gemm_batched_kernelIfLi16ELi16ELi64ELi64ELi4ELi64ELi4ELi4ELi64ELc84ELc67EK16rocblas_bfloat16KffEEvlllT_PT11_llS6_llS4_PT12_llPT13_lli
    .private_segment_fixed_size: 0
    .sgpr_count:     24
    .sgpr_spill_count: 0
    .symbol:         _ZN12_GLOBAL__N_127rocblas_gemm_batched_kernelIfLi16ELi16ELi64ELi64ELi4ELi64ELi4ELi4ELi64ELc84ELc67EK16rocblas_bfloat16KffEEvlllT_PT11_llS6_llS4_PT12_llPT13_lli.kd
    .uniform_work_group_size: 1
    .uses_dynamic_stack: false
    .vgpr_count:     58
    .vgpr_spill_count: 0
    .wavefront_size: 32
    .workgroup_processor_mode: 1
  - .args:
      - .offset:         0
        .size:           8
        .value_kind:     by_value
      - .offset:         8
        .size:           8
        .value_kind:     by_value
      - .offset:         16
        .size:           8
        .value_kind:     by_value
      - .offset:         24
        .size:           4
        .value_kind:     by_value
      - .address_space:  global
        .offset:         32
        .size:           8
        .value_kind:     global_buffer
      - .offset:         40
        .size:           8
        .value_kind:     by_value
      - .offset:         48
        .size:           8
        .value_kind:     by_value
      - .address_space:  global
        .offset:         56
        .size:           8
        .value_kind:     global_buffer
      - .offset:         64
        .size:           8
        .value_kind:     by_value
      - .offset:         72
        .size:           8
        .value_kind:     by_value
      - .offset:         80
        .size:           4
        .value_kind:     by_value
      - .address_space:  global
        .offset:         88
        .size:           8
        .value_kind:     global_buffer
      - .offset:         96
        .size:           8
        .value_kind:     by_value
      - .offset:         104
        .size:           8
        .value_kind:     by_value
      - .address_space:  global
        .offset:         112
        .size:           8
        .value_kind:     global_buffer
      - .offset:         120
        .size:           8
        .value_kind:     by_value
      - .offset:         128
        .size:           8
        .value_kind:     by_value
      - .offset:         136
        .size:           4
        .value_kind:     by_value
    .group_segment_fixed_size: 2048
    .kernarg_segment_align: 8
    .kernarg_segment_size: 140
    .language:       OpenCL C
    .language_version:
      - 2
      - 0
    .max_flat_workgroup_size: 256
    .name:           _ZN12_GLOBAL__N_127rocblas_gemm_batched_kernelIfLi16ELi16ELi32ELi32ELi8ELi32ELi8ELi8ELi32ELc78ELc78EK16rocblas_bfloat16KffEEvlllT_PT11_llS6_llS4_PT12_llPT13_lli
    .private_segment_fixed_size: 0
    .sgpr_count:     24
    .sgpr_spill_count: 0
    .symbol:         _ZN12_GLOBAL__N_127rocblas_gemm_batched_kernelIfLi16ELi16ELi32ELi32ELi8ELi32ELi8ELi8ELi32ELc78ELc78EK16rocblas_bfloat16KffEEvlllT_PT11_llS6_llS4_PT12_llPT13_lli.kd
    .uniform_work_group_size: 1
    .uses_dynamic_stack: false
    .vgpr_count:     46
    .vgpr_spill_count: 0
    .wavefront_size: 32
    .workgroup_processor_mode: 1
  - .args:
      - .offset:         0
        .size:           8
        .value_kind:     by_value
      - .offset:         8
        .size:           8
        .value_kind:     by_value
      - .offset:         16
        .size:           8
        .value_kind:     by_value
      - .offset:         24
        .size:           4
        .value_kind:     by_value
      - .address_space:  global
        .offset:         32
        .size:           8
        .value_kind:     global_buffer
      - .offset:         40
        .size:           8
        .value_kind:     by_value
      - .offset:         48
        .size:           8
        .value_kind:     by_value
      - .address_space:  global
        .offset:         56
        .size:           8
        .value_kind:     global_buffer
      - .offset:         64
        .size:           8
        .value_kind:     by_value
      - .offset:         72
        .size:           8
        .value_kind:     by_value
      - .offset:         80
        .size:           4
        .value_kind:     by_value
      - .address_space:  global
        .offset:         88
        .size:           8
        .value_kind:     global_buffer
      - .offset:         96
        .size:           8
        .value_kind:     by_value
      - .offset:         104
        .size:           8
        .value_kind:     by_value
      - .address_space:  global
        .offset:         112
        .size:           8
        .value_kind:     global_buffer
      - .offset:         120
        .size:           8
        .value_kind:     by_value
      - .offset:         128
        .size:           8
        .value_kind:     by_value
      - .offset:         136
        .size:           4
        .value_kind:     by_value
    .group_segment_fixed_size: 2048
    .kernarg_segment_align: 8
    .kernarg_segment_size: 140
    .language:       OpenCL C
    .language_version:
      - 2
      - 0
    .max_flat_workgroup_size: 256
    .name:           _ZN12_GLOBAL__N_127rocblas_gemm_batched_kernelIfLi16ELi16ELi32ELi32ELi8ELi32ELi8ELi8ELi32ELc84ELc78EK16rocblas_bfloat16KffEEvlllT_PT11_llS6_llS4_PT12_llPT13_lli
    .private_segment_fixed_size: 0
    .sgpr_count:     24
    .sgpr_spill_count: 0
    .symbol:         _ZN12_GLOBAL__N_127rocblas_gemm_batched_kernelIfLi16ELi16ELi32ELi32ELi8ELi32ELi8ELi8ELi32ELc84ELc78EK16rocblas_bfloat16KffEEvlllT_PT11_llS6_llS4_PT12_llPT13_lli.kd
    .uniform_work_group_size: 1
    .uses_dynamic_stack: false
    .vgpr_count:     46
    .vgpr_spill_count: 0
    .wavefront_size: 32
    .workgroup_processor_mode: 1
  - .args:
      - .offset:         0
        .size:           8
        .value_kind:     by_value
      - .offset:         8
        .size:           8
        .value_kind:     by_value
      - .offset:         16
        .size:           8
        .value_kind:     by_value
      - .offset:         24
        .size:           4
        .value_kind:     by_value
      - .address_space:  global
        .offset:         32
        .size:           8
        .value_kind:     global_buffer
      - .offset:         40
        .size:           8
        .value_kind:     by_value
      - .offset:         48
        .size:           8
        .value_kind:     by_value
      - .address_space:  global
        .offset:         56
        .size:           8
        .value_kind:     global_buffer
      - .offset:         64
        .size:           8
        .value_kind:     by_value
      - .offset:         72
        .size:           8
        .value_kind:     by_value
      - .offset:         80
        .size:           4
        .value_kind:     by_value
      - .address_space:  global
        .offset:         88
        .size:           8
        .value_kind:     global_buffer
      - .offset:         96
        .size:           8
        .value_kind:     by_value
      - .offset:         104
        .size:           8
        .value_kind:     by_value
      - .address_space:  global
        .offset:         112
        .size:           8
        .value_kind:     global_buffer
      - .offset:         120
        .size:           8
        .value_kind:     by_value
      - .offset:         128
        .size:           8
        .value_kind:     by_value
      - .offset:         136
        .size:           4
        .value_kind:     by_value
    .group_segment_fixed_size: 2048
    .kernarg_segment_align: 8
    .kernarg_segment_size: 140
    .language:       OpenCL C
    .language_version:
      - 2
      - 0
    .max_flat_workgroup_size: 256
    .name:           _ZN12_GLOBAL__N_127rocblas_gemm_batched_kernelIfLi16ELi16ELi32ELi32ELi8ELi32ELi8ELi8ELi32ELc78ELc84EK16rocblas_bfloat16KffEEvlllT_PT11_llS6_llS4_PT12_llPT13_lli
    .private_segment_fixed_size: 0
    .sgpr_count:     24
    .sgpr_spill_count: 0
    .symbol:         _ZN12_GLOBAL__N_127rocblas_gemm_batched_kernelIfLi16ELi16ELi32ELi32ELi8ELi32ELi8ELi8ELi32ELc78ELc84EK16rocblas_bfloat16KffEEvlllT_PT11_llS6_llS4_PT12_llPT13_lli.kd
    .uniform_work_group_size: 1
    .uses_dynamic_stack: false
    .vgpr_count:     46
    .vgpr_spill_count: 0
    .wavefront_size: 32
    .workgroup_processor_mode: 1
  - .args:
      - .offset:         0
        .size:           8
        .value_kind:     by_value
      - .offset:         8
        .size:           8
        .value_kind:     by_value
      - .offset:         16
        .size:           8
        .value_kind:     by_value
      - .offset:         24
        .size:           4
        .value_kind:     by_value
      - .address_space:  global
        .offset:         32
        .size:           8
        .value_kind:     global_buffer
      - .offset:         40
        .size:           8
        .value_kind:     by_value
      - .offset:         48
        .size:           8
        .value_kind:     by_value
      - .address_space:  global
        .offset:         56
        .size:           8
        .value_kind:     global_buffer
      - .offset:         64
        .size:           8
        .value_kind:     by_value
      - .offset:         72
        .size:           8
        .value_kind:     by_value
      - .offset:         80
        .size:           4
        .value_kind:     by_value
      - .address_space:  global
        .offset:         88
        .size:           8
        .value_kind:     global_buffer
      - .offset:         96
        .size:           8
        .value_kind:     by_value
      - .offset:         104
        .size:           8
        .value_kind:     by_value
      - .address_space:  global
        .offset:         112
        .size:           8
        .value_kind:     global_buffer
      - .offset:         120
        .size:           8
        .value_kind:     by_value
      - .offset:         128
        .size:           8
        .value_kind:     by_value
      - .offset:         136
        .size:           4
        .value_kind:     by_value
    .group_segment_fixed_size: 2048
    .kernarg_segment_align: 8
    .kernarg_segment_size: 140
    .language:       OpenCL C
    .language_version:
      - 2
      - 0
    .max_flat_workgroup_size: 256
    .name:           _ZN12_GLOBAL__N_127rocblas_gemm_batched_kernelIfLi16ELi16ELi32ELi32ELi8ELi32ELi8ELi8ELi32ELc84ELc84EK16rocblas_bfloat16KffEEvlllT_PT11_llS6_llS4_PT12_llPT13_lli
    .private_segment_fixed_size: 0
    .sgpr_count:     24
    .sgpr_spill_count: 0
    .symbol:         _ZN12_GLOBAL__N_127rocblas_gemm_batched_kernelIfLi16ELi16ELi32ELi32ELi8ELi32ELi8ELi8ELi32ELc84ELc84EK16rocblas_bfloat16KffEEvlllT_PT11_llS6_llS4_PT12_llPT13_lli.kd
    .uniform_work_group_size: 1
    .uses_dynamic_stack: false
    .vgpr_count:     46
    .vgpr_spill_count: 0
    .wavefront_size: 32
    .workgroup_processor_mode: 1
  - .args:
      - .offset:         0
        .size:           8
        .value_kind:     by_value
      - .offset:         8
        .size:           8
        .value_kind:     by_value
      - .offset:         16
        .size:           8
        .value_kind:     by_value
      - .offset:         24
        .size:           4
        .value_kind:     by_value
      - .address_space:  global
        .offset:         32
        .size:           8
        .value_kind:     global_buffer
      - .offset:         40
        .size:           8
        .value_kind:     by_value
      - .offset:         48
        .size:           8
        .value_kind:     by_value
      - .address_space:  global
        .offset:         56
        .size:           8
        .value_kind:     global_buffer
      - .offset:         64
        .size:           8
        .value_kind:     by_value
      - .offset:         72
        .size:           8
        .value_kind:     by_value
      - .offset:         80
        .size:           4
        .value_kind:     by_value
      - .address_space:  global
        .offset:         88
        .size:           8
        .value_kind:     global_buffer
      - .offset:         96
        .size:           8
        .value_kind:     by_value
      - .offset:         104
        .size:           8
        .value_kind:     by_value
      - .address_space:  global
        .offset:         112
        .size:           8
        .value_kind:     global_buffer
      - .offset:         120
        .size:           8
        .value_kind:     by_value
      - .offset:         128
        .size:           8
        .value_kind:     by_value
      - .offset:         136
        .size:           4
        .value_kind:     by_value
    .group_segment_fixed_size: 2048
    .kernarg_segment_align: 8
    .kernarg_segment_size: 140
    .language:       OpenCL C
    .language_version:
      - 2
      - 0
    .max_flat_workgroup_size: 256
    .name:           _ZN12_GLOBAL__N_127rocblas_gemm_batched_kernelIfLi16ELi16ELi32ELi32ELi8ELi32ELi8ELi8ELi32ELc67ELc67EK16rocblas_bfloat16KffEEvlllT_PT11_llS6_llS4_PT12_llPT13_lli
    .private_segment_fixed_size: 0
    .sgpr_count:     24
    .sgpr_spill_count: 0
    .symbol:         _ZN12_GLOBAL__N_127rocblas_gemm_batched_kernelIfLi16ELi16ELi32ELi32ELi8ELi32ELi8ELi8ELi32ELc67ELc67EK16rocblas_bfloat16KffEEvlllT_PT11_llS6_llS4_PT12_llPT13_lli.kd
    .uniform_work_group_size: 1
    .uses_dynamic_stack: false
    .vgpr_count:     46
    .vgpr_spill_count: 0
    .wavefront_size: 32
    .workgroup_processor_mode: 1
  - .args:
      - .offset:         0
        .size:           8
        .value_kind:     by_value
      - .offset:         8
        .size:           8
        .value_kind:     by_value
      - .offset:         16
        .size:           8
        .value_kind:     by_value
      - .offset:         24
        .size:           4
        .value_kind:     by_value
      - .address_space:  global
        .offset:         32
        .size:           8
        .value_kind:     global_buffer
      - .offset:         40
        .size:           8
        .value_kind:     by_value
      - .offset:         48
        .size:           8
        .value_kind:     by_value
      - .address_space:  global
        .offset:         56
        .size:           8
        .value_kind:     global_buffer
      - .offset:         64
        .size:           8
        .value_kind:     by_value
      - .offset:         72
        .size:           8
        .value_kind:     by_value
      - .offset:         80
        .size:           4
        .value_kind:     by_value
      - .address_space:  global
        .offset:         88
        .size:           8
        .value_kind:     global_buffer
      - .offset:         96
        .size:           8
        .value_kind:     by_value
      - .offset:         104
        .size:           8
        .value_kind:     by_value
      - .address_space:  global
        .offset:         112
        .size:           8
        .value_kind:     global_buffer
      - .offset:         120
        .size:           8
        .value_kind:     by_value
      - .offset:         128
        .size:           8
        .value_kind:     by_value
      - .offset:         136
        .size:           4
        .value_kind:     by_value
    .group_segment_fixed_size: 2048
    .kernarg_segment_align: 8
    .kernarg_segment_size: 140
    .language:       OpenCL C
    .language_version:
      - 2
      - 0
    .max_flat_workgroup_size: 256
    .name:           _ZN12_GLOBAL__N_127rocblas_gemm_batched_kernelIfLi16ELi16ELi32ELi32ELi8ELi32ELi8ELi8ELi32ELc67ELc78EK16rocblas_bfloat16KffEEvlllT_PT11_llS6_llS4_PT12_llPT13_lli
    .private_segment_fixed_size: 0
    .sgpr_count:     24
    .sgpr_spill_count: 0
    .symbol:         _ZN12_GLOBAL__N_127rocblas_gemm_batched_kernelIfLi16ELi16ELi32ELi32ELi8ELi32ELi8ELi8ELi32ELc67ELc78EK16rocblas_bfloat16KffEEvlllT_PT11_llS6_llS4_PT12_llPT13_lli.kd
    .uniform_work_group_size: 1
    .uses_dynamic_stack: false
    .vgpr_count:     46
    .vgpr_spill_count: 0
    .wavefront_size: 32
    .workgroup_processor_mode: 1
  - .args:
      - .offset:         0
        .size:           8
        .value_kind:     by_value
      - .offset:         8
        .size:           8
        .value_kind:     by_value
      - .offset:         16
        .size:           8
        .value_kind:     by_value
      - .offset:         24
        .size:           4
        .value_kind:     by_value
      - .address_space:  global
        .offset:         32
        .size:           8
        .value_kind:     global_buffer
      - .offset:         40
        .size:           8
        .value_kind:     by_value
      - .offset:         48
        .size:           8
        .value_kind:     by_value
      - .address_space:  global
        .offset:         56
        .size:           8
        .value_kind:     global_buffer
      - .offset:         64
        .size:           8
        .value_kind:     by_value
      - .offset:         72
        .size:           8
        .value_kind:     by_value
      - .offset:         80
        .size:           4
        .value_kind:     by_value
      - .address_space:  global
        .offset:         88
        .size:           8
        .value_kind:     global_buffer
      - .offset:         96
        .size:           8
        .value_kind:     by_value
      - .offset:         104
        .size:           8
        .value_kind:     by_value
      - .address_space:  global
        .offset:         112
        .size:           8
        .value_kind:     global_buffer
      - .offset:         120
        .size:           8
        .value_kind:     by_value
      - .offset:         128
        .size:           8
        .value_kind:     by_value
      - .offset:         136
        .size:           4
        .value_kind:     by_value
    .group_segment_fixed_size: 2048
    .kernarg_segment_align: 8
    .kernarg_segment_size: 140
    .language:       OpenCL C
    .language_version:
      - 2
      - 0
    .max_flat_workgroup_size: 256
    .name:           _ZN12_GLOBAL__N_127rocblas_gemm_batched_kernelIfLi16ELi16ELi32ELi32ELi8ELi32ELi8ELi8ELi32ELc67ELc84EK16rocblas_bfloat16KffEEvlllT_PT11_llS6_llS4_PT12_llPT13_lli
    .private_segment_fixed_size: 0
    .sgpr_count:     24
    .sgpr_spill_count: 0
    .symbol:         _ZN12_GLOBAL__N_127rocblas_gemm_batched_kernelIfLi16ELi16ELi32ELi32ELi8ELi32ELi8ELi8ELi32ELc67ELc84EK16rocblas_bfloat16KffEEvlllT_PT11_llS6_llS4_PT12_llPT13_lli.kd
    .uniform_work_group_size: 1
    .uses_dynamic_stack: false
    .vgpr_count:     46
    .vgpr_spill_count: 0
    .wavefront_size: 32
    .workgroup_processor_mode: 1
  - .args:
      - .offset:         0
        .size:           8
        .value_kind:     by_value
      - .offset:         8
        .size:           8
        .value_kind:     by_value
      - .offset:         16
        .size:           8
        .value_kind:     by_value
      - .offset:         24
        .size:           4
        .value_kind:     by_value
      - .address_space:  global
        .offset:         32
        .size:           8
        .value_kind:     global_buffer
      - .offset:         40
        .size:           8
        .value_kind:     by_value
      - .offset:         48
        .size:           8
        .value_kind:     by_value
      - .address_space:  global
        .offset:         56
        .size:           8
        .value_kind:     global_buffer
      - .offset:         64
        .size:           8
        .value_kind:     by_value
      - .offset:         72
        .size:           8
        .value_kind:     by_value
      - .offset:         80
        .size:           4
        .value_kind:     by_value
      - .address_space:  global
        .offset:         88
        .size:           8
        .value_kind:     global_buffer
      - .offset:         96
        .size:           8
        .value_kind:     by_value
      - .offset:         104
        .size:           8
        .value_kind:     by_value
      - .address_space:  global
        .offset:         112
        .size:           8
        .value_kind:     global_buffer
      - .offset:         120
        .size:           8
        .value_kind:     by_value
      - .offset:         128
        .size:           8
        .value_kind:     by_value
      - .offset:         136
        .size:           4
        .value_kind:     by_value
    .group_segment_fixed_size: 2048
    .kernarg_segment_align: 8
    .kernarg_segment_size: 140
    .language:       OpenCL C
    .language_version:
      - 2
      - 0
    .max_flat_workgroup_size: 256
    .name:           _ZN12_GLOBAL__N_127rocblas_gemm_batched_kernelIfLi16ELi16ELi32ELi32ELi8ELi32ELi8ELi8ELi32ELc78ELc67EK16rocblas_bfloat16KffEEvlllT_PT11_llS6_llS4_PT12_llPT13_lli
    .private_segment_fixed_size: 0
    .sgpr_count:     24
    .sgpr_spill_count: 0
    .symbol:         _ZN12_GLOBAL__N_127rocblas_gemm_batched_kernelIfLi16ELi16ELi32ELi32ELi8ELi32ELi8ELi8ELi32ELc78ELc67EK16rocblas_bfloat16KffEEvlllT_PT11_llS6_llS4_PT12_llPT13_lli.kd
    .uniform_work_group_size: 1
    .uses_dynamic_stack: false
    .vgpr_count:     46
    .vgpr_spill_count: 0
    .wavefront_size: 32
    .workgroup_processor_mode: 1
  - .args:
      - .offset:         0
        .size:           8
        .value_kind:     by_value
      - .offset:         8
        .size:           8
        .value_kind:     by_value
      - .offset:         16
        .size:           8
        .value_kind:     by_value
      - .offset:         24
        .size:           4
        .value_kind:     by_value
      - .address_space:  global
        .offset:         32
        .size:           8
        .value_kind:     global_buffer
      - .offset:         40
        .size:           8
        .value_kind:     by_value
      - .offset:         48
        .size:           8
        .value_kind:     by_value
      - .address_space:  global
        .offset:         56
        .size:           8
        .value_kind:     global_buffer
      - .offset:         64
        .size:           8
        .value_kind:     by_value
      - .offset:         72
        .size:           8
        .value_kind:     by_value
      - .offset:         80
        .size:           4
        .value_kind:     by_value
      - .address_space:  global
        .offset:         88
        .size:           8
        .value_kind:     global_buffer
      - .offset:         96
        .size:           8
        .value_kind:     by_value
      - .offset:         104
        .size:           8
        .value_kind:     by_value
      - .address_space:  global
        .offset:         112
        .size:           8
        .value_kind:     global_buffer
      - .offset:         120
        .size:           8
        .value_kind:     by_value
      - .offset:         128
        .size:           8
        .value_kind:     by_value
      - .offset:         136
        .size:           4
        .value_kind:     by_value
    .group_segment_fixed_size: 2048
    .kernarg_segment_align: 8
    .kernarg_segment_size: 140
    .language:       OpenCL C
    .language_version:
      - 2
      - 0
    .max_flat_workgroup_size: 256
    .name:           _ZN12_GLOBAL__N_127rocblas_gemm_batched_kernelIfLi16ELi16ELi32ELi32ELi8ELi32ELi8ELi8ELi32ELc84ELc67EK16rocblas_bfloat16KffEEvlllT_PT11_llS6_llS4_PT12_llPT13_lli
    .private_segment_fixed_size: 0
    .sgpr_count:     24
    .sgpr_spill_count: 0
    .symbol:         _ZN12_GLOBAL__N_127rocblas_gemm_batched_kernelIfLi16ELi16ELi32ELi32ELi8ELi32ELi8ELi8ELi32ELc84ELc67EK16rocblas_bfloat16KffEEvlllT_PT11_llS6_llS4_PT12_llPT13_lli.kd
    .uniform_work_group_size: 1
    .uses_dynamic_stack: false
    .vgpr_count:     46
    .vgpr_spill_count: 0
    .wavefront_size: 32
    .workgroup_processor_mode: 1
  - .args:
      - .offset:         0
        .size:           8
        .value_kind:     by_value
      - .offset:         8
        .size:           8
        .value_kind:     by_value
      - .offset:         16
        .size:           8
        .value_kind:     by_value
      - .offset:         24
        .size:           4
        .value_kind:     by_value
      - .address_space:  global
        .offset:         32
        .size:           8
        .value_kind:     global_buffer
      - .offset:         40
        .size:           8
        .value_kind:     by_value
      - .offset:         48
        .size:           8
        .value_kind:     by_value
      - .address_space:  global
        .offset:         56
        .size:           8
        .value_kind:     global_buffer
      - .offset:         64
        .size:           8
        .value_kind:     by_value
      - .offset:         72
        .size:           8
        .value_kind:     by_value
      - .offset:         80
        .size:           4
        .value_kind:     by_value
      - .address_space:  global
        .offset:         88
        .size:           8
        .value_kind:     global_buffer
      - .offset:         96
        .size:           8
        .value_kind:     by_value
      - .offset:         104
        .size:           8
        .value_kind:     by_value
      - .address_space:  global
        .offset:         112
        .size:           8
        .value_kind:     global_buffer
      - .offset:         120
        .size:           8
        .value_kind:     by_value
      - .offset:         128
        .size:           8
        .value_kind:     by_value
      - .offset:         136
        .size:           4
        .value_kind:     by_value
    .group_segment_fixed_size: 2048
    .kernarg_segment_align: 8
    .kernarg_segment_size: 140
    .language:       OpenCL C
    .language_version:
      - 2
      - 0
    .max_flat_workgroup_size: 256
    .name:           _ZN12_GLOBAL__N_135rocblas_gemm_batched_general_kernelIfLi16ELi16ELi32ELi32ELi8ELi32ELi8ELi8ELi32ELc78ELc78EK16rocblas_bfloat16KffEEvlllT_PT11_llS6_llS4_PT12_llPT13_lli
    .private_segment_fixed_size: 0
    .sgpr_count:     32
    .sgpr_spill_count: 0
    .symbol:         _ZN12_GLOBAL__N_135rocblas_gemm_batched_general_kernelIfLi16ELi16ELi32ELi32ELi8ELi32ELi8ELi8ELi32ELc78ELc78EK16rocblas_bfloat16KffEEvlllT_PT11_llS6_llS4_PT12_llPT13_lli.kd
    .uniform_work_group_size: 1
    .uses_dynamic_stack: false
    .vgpr_count:     44
    .vgpr_spill_count: 0
    .wavefront_size: 32
    .workgroup_processor_mode: 1
  - .args:
      - .offset:         0
        .size:           8
        .value_kind:     by_value
      - .offset:         8
        .size:           8
        .value_kind:     by_value
      - .offset:         16
        .size:           8
        .value_kind:     by_value
      - .offset:         24
        .size:           4
        .value_kind:     by_value
      - .address_space:  global
        .offset:         32
        .size:           8
        .value_kind:     global_buffer
      - .offset:         40
        .size:           8
        .value_kind:     by_value
      - .offset:         48
        .size:           8
        .value_kind:     by_value
      - .address_space:  global
        .offset:         56
        .size:           8
        .value_kind:     global_buffer
      - .offset:         64
        .size:           8
        .value_kind:     by_value
      - .offset:         72
        .size:           8
        .value_kind:     by_value
      - .offset:         80
        .size:           4
        .value_kind:     by_value
      - .address_space:  global
        .offset:         88
        .size:           8
        .value_kind:     global_buffer
      - .offset:         96
        .size:           8
        .value_kind:     by_value
      - .offset:         104
        .size:           8
        .value_kind:     by_value
      - .address_space:  global
        .offset:         112
        .size:           8
        .value_kind:     global_buffer
      - .offset:         120
        .size:           8
        .value_kind:     by_value
      - .offset:         128
        .size:           8
        .value_kind:     by_value
      - .offset:         136
        .size:           4
        .value_kind:     by_value
    .group_segment_fixed_size: 2048
    .kernarg_segment_align: 8
    .kernarg_segment_size: 140
    .language:       OpenCL C
    .language_version:
      - 2
      - 0
    .max_flat_workgroup_size: 256
    .name:           _ZN12_GLOBAL__N_135rocblas_gemm_batched_general_kernelIfLi16ELi16ELi32ELi32ELi8ELi32ELi8ELi8ELi32ELc84ELc78EK16rocblas_bfloat16KffEEvlllT_PT11_llS6_llS4_PT12_llPT13_lli
    .private_segment_fixed_size: 0
    .sgpr_count:     30
    .sgpr_spill_count: 0
    .symbol:         _ZN12_GLOBAL__N_135rocblas_gemm_batched_general_kernelIfLi16ELi16ELi32ELi32ELi8ELi32ELi8ELi8ELi32ELc84ELc78EK16rocblas_bfloat16KffEEvlllT_PT11_llS6_llS4_PT12_llPT13_lli.kd
    .uniform_work_group_size: 1
    .uses_dynamic_stack: false
    .vgpr_count:     44
    .vgpr_spill_count: 0
    .wavefront_size: 32
    .workgroup_processor_mode: 1
  - .args:
      - .offset:         0
        .size:           8
        .value_kind:     by_value
      - .offset:         8
        .size:           8
        .value_kind:     by_value
      - .offset:         16
        .size:           8
        .value_kind:     by_value
      - .offset:         24
        .size:           4
        .value_kind:     by_value
      - .address_space:  global
        .offset:         32
        .size:           8
        .value_kind:     global_buffer
      - .offset:         40
        .size:           8
        .value_kind:     by_value
      - .offset:         48
        .size:           8
        .value_kind:     by_value
      - .address_space:  global
        .offset:         56
        .size:           8
        .value_kind:     global_buffer
      - .offset:         64
        .size:           8
        .value_kind:     by_value
      - .offset:         72
        .size:           8
        .value_kind:     by_value
      - .offset:         80
        .size:           4
        .value_kind:     by_value
      - .address_space:  global
        .offset:         88
        .size:           8
        .value_kind:     global_buffer
      - .offset:         96
        .size:           8
        .value_kind:     by_value
      - .offset:         104
        .size:           8
        .value_kind:     by_value
      - .address_space:  global
        .offset:         112
        .size:           8
        .value_kind:     global_buffer
      - .offset:         120
        .size:           8
        .value_kind:     by_value
      - .offset:         128
        .size:           8
        .value_kind:     by_value
      - .offset:         136
        .size:           4
        .value_kind:     by_value
    .group_segment_fixed_size: 2048
    .kernarg_segment_align: 8
    .kernarg_segment_size: 140
    .language:       OpenCL C
    .language_version:
      - 2
      - 0
    .max_flat_workgroup_size: 256
    .name:           _ZN12_GLOBAL__N_135rocblas_gemm_batched_general_kernelIfLi16ELi16ELi32ELi32ELi8ELi32ELi8ELi8ELi32ELc78ELc84EK16rocblas_bfloat16KffEEvlllT_PT11_llS6_llS4_PT12_llPT13_lli
    .private_segment_fixed_size: 0
    .sgpr_count:     36
    .sgpr_spill_count: 0
    .symbol:         _ZN12_GLOBAL__N_135rocblas_gemm_batched_general_kernelIfLi16ELi16ELi32ELi32ELi8ELi32ELi8ELi8ELi32ELc78ELc84EK16rocblas_bfloat16KffEEvlllT_PT11_llS6_llS4_PT12_llPT13_lli.kd
    .uniform_work_group_size: 1
    .uses_dynamic_stack: false
    .vgpr_count:     44
    .vgpr_spill_count: 0
    .wavefront_size: 32
    .workgroup_processor_mode: 1
  - .args:
      - .offset:         0
        .size:           8
        .value_kind:     by_value
      - .offset:         8
        .size:           8
        .value_kind:     by_value
      - .offset:         16
        .size:           8
        .value_kind:     by_value
      - .offset:         24
        .size:           4
        .value_kind:     by_value
      - .address_space:  global
        .offset:         32
        .size:           8
        .value_kind:     global_buffer
      - .offset:         40
        .size:           8
        .value_kind:     by_value
      - .offset:         48
        .size:           8
        .value_kind:     by_value
      - .address_space:  global
        .offset:         56
        .size:           8
        .value_kind:     global_buffer
      - .offset:         64
        .size:           8
        .value_kind:     by_value
      - .offset:         72
        .size:           8
        .value_kind:     by_value
      - .offset:         80
        .size:           4
        .value_kind:     by_value
      - .address_space:  global
        .offset:         88
        .size:           8
        .value_kind:     global_buffer
      - .offset:         96
        .size:           8
        .value_kind:     by_value
      - .offset:         104
        .size:           8
        .value_kind:     by_value
      - .address_space:  global
        .offset:         112
        .size:           8
        .value_kind:     global_buffer
      - .offset:         120
        .size:           8
        .value_kind:     by_value
      - .offset:         128
        .size:           8
        .value_kind:     by_value
      - .offset:         136
        .size:           4
        .value_kind:     by_value
    .group_segment_fixed_size: 2048
    .kernarg_segment_align: 8
    .kernarg_segment_size: 140
    .language:       OpenCL C
    .language_version:
      - 2
      - 0
    .max_flat_workgroup_size: 256
    .name:           _ZN12_GLOBAL__N_135rocblas_gemm_batched_general_kernelIfLi16ELi16ELi32ELi32ELi8ELi32ELi8ELi8ELi32ELc84ELc84EK16rocblas_bfloat16KffEEvlllT_PT11_llS6_llS4_PT12_llPT13_lli
    .private_segment_fixed_size: 0
    .sgpr_count:     32
    .sgpr_spill_count: 0
    .symbol:         _ZN12_GLOBAL__N_135rocblas_gemm_batched_general_kernelIfLi16ELi16ELi32ELi32ELi8ELi32ELi8ELi8ELi32ELc84ELc84EK16rocblas_bfloat16KffEEvlllT_PT11_llS6_llS4_PT12_llPT13_lli.kd
    .uniform_work_group_size: 1
    .uses_dynamic_stack: false
    .vgpr_count:     44
    .vgpr_spill_count: 0
    .wavefront_size: 32
    .workgroup_processor_mode: 1
  - .args:
      - .offset:         0
        .size:           8
        .value_kind:     by_value
      - .offset:         8
        .size:           8
        .value_kind:     by_value
      - .offset:         16
        .size:           8
        .value_kind:     by_value
      - .offset:         24
        .size:           4
        .value_kind:     by_value
      - .address_space:  global
        .offset:         32
        .size:           8
        .value_kind:     global_buffer
      - .offset:         40
        .size:           8
        .value_kind:     by_value
      - .offset:         48
        .size:           8
        .value_kind:     by_value
      - .address_space:  global
        .offset:         56
        .size:           8
        .value_kind:     global_buffer
      - .offset:         64
        .size:           8
        .value_kind:     by_value
      - .offset:         72
        .size:           8
        .value_kind:     by_value
      - .offset:         80
        .size:           4
        .value_kind:     by_value
      - .address_space:  global
        .offset:         88
        .size:           8
        .value_kind:     global_buffer
      - .offset:         96
        .size:           8
        .value_kind:     by_value
      - .offset:         104
        .size:           8
        .value_kind:     by_value
      - .address_space:  global
        .offset:         112
        .size:           8
        .value_kind:     global_buffer
      - .offset:         120
        .size:           8
        .value_kind:     by_value
      - .offset:         128
        .size:           8
        .value_kind:     by_value
      - .offset:         136
        .size:           4
        .value_kind:     by_value
    .group_segment_fixed_size: 2048
    .kernarg_segment_align: 8
    .kernarg_segment_size: 140
    .language:       OpenCL C
    .language_version:
      - 2
      - 0
    .max_flat_workgroup_size: 256
    .name:           _ZN12_GLOBAL__N_135rocblas_gemm_batched_general_kernelIfLi16ELi16ELi32ELi32ELi8ELi32ELi8ELi8ELi32ELc67ELc67EK16rocblas_bfloat16KffEEvlllT_PT11_llS6_llS4_PT12_llPT13_lli
    .private_segment_fixed_size: 0
    .sgpr_count:     32
    .sgpr_spill_count: 0
    .symbol:         _ZN12_GLOBAL__N_135rocblas_gemm_batched_general_kernelIfLi16ELi16ELi32ELi32ELi8ELi32ELi8ELi8ELi32ELc67ELc67EK16rocblas_bfloat16KffEEvlllT_PT11_llS6_llS4_PT12_llPT13_lli.kd
    .uniform_work_group_size: 1
    .uses_dynamic_stack: false
    .vgpr_count:     44
    .vgpr_spill_count: 0
    .wavefront_size: 32
    .workgroup_processor_mode: 1
  - .args:
      - .offset:         0
        .size:           8
        .value_kind:     by_value
      - .offset:         8
        .size:           8
        .value_kind:     by_value
      - .offset:         16
        .size:           8
        .value_kind:     by_value
      - .offset:         24
        .size:           4
        .value_kind:     by_value
      - .address_space:  global
        .offset:         32
        .size:           8
        .value_kind:     global_buffer
      - .offset:         40
        .size:           8
        .value_kind:     by_value
      - .offset:         48
        .size:           8
        .value_kind:     by_value
      - .address_space:  global
        .offset:         56
        .size:           8
        .value_kind:     global_buffer
      - .offset:         64
        .size:           8
        .value_kind:     by_value
      - .offset:         72
        .size:           8
        .value_kind:     by_value
      - .offset:         80
        .size:           4
        .value_kind:     by_value
      - .address_space:  global
        .offset:         88
        .size:           8
        .value_kind:     global_buffer
      - .offset:         96
        .size:           8
        .value_kind:     by_value
      - .offset:         104
        .size:           8
        .value_kind:     by_value
      - .address_space:  global
        .offset:         112
        .size:           8
        .value_kind:     global_buffer
      - .offset:         120
        .size:           8
        .value_kind:     by_value
      - .offset:         128
        .size:           8
        .value_kind:     by_value
      - .offset:         136
        .size:           4
        .value_kind:     by_value
    .group_segment_fixed_size: 2048
    .kernarg_segment_align: 8
    .kernarg_segment_size: 140
    .language:       OpenCL C
    .language_version:
      - 2
      - 0
    .max_flat_workgroup_size: 256
    .name:           _ZN12_GLOBAL__N_135rocblas_gemm_batched_general_kernelIfLi16ELi16ELi32ELi32ELi8ELi32ELi8ELi8ELi32ELc67ELc78EK16rocblas_bfloat16KffEEvlllT_PT11_llS6_llS4_PT12_llPT13_lli
    .private_segment_fixed_size: 0
    .sgpr_count:     30
    .sgpr_spill_count: 0
    .symbol:         _ZN12_GLOBAL__N_135rocblas_gemm_batched_general_kernelIfLi16ELi16ELi32ELi32ELi8ELi32ELi8ELi8ELi32ELc67ELc78EK16rocblas_bfloat16KffEEvlllT_PT11_llS6_llS4_PT12_llPT13_lli.kd
    .uniform_work_group_size: 1
    .uses_dynamic_stack: false
    .vgpr_count:     44
    .vgpr_spill_count: 0
    .wavefront_size: 32
    .workgroup_processor_mode: 1
  - .args:
      - .offset:         0
        .size:           8
        .value_kind:     by_value
      - .offset:         8
        .size:           8
        .value_kind:     by_value
      - .offset:         16
        .size:           8
        .value_kind:     by_value
      - .offset:         24
        .size:           4
        .value_kind:     by_value
      - .address_space:  global
        .offset:         32
        .size:           8
        .value_kind:     global_buffer
      - .offset:         40
        .size:           8
        .value_kind:     by_value
      - .offset:         48
        .size:           8
        .value_kind:     by_value
      - .address_space:  global
        .offset:         56
        .size:           8
        .value_kind:     global_buffer
      - .offset:         64
        .size:           8
        .value_kind:     by_value
      - .offset:         72
        .size:           8
        .value_kind:     by_value
      - .offset:         80
        .size:           4
        .value_kind:     by_value
      - .address_space:  global
        .offset:         88
        .size:           8
        .value_kind:     global_buffer
      - .offset:         96
        .size:           8
        .value_kind:     by_value
      - .offset:         104
        .size:           8
        .value_kind:     by_value
      - .address_space:  global
        .offset:         112
        .size:           8
        .value_kind:     global_buffer
      - .offset:         120
        .size:           8
        .value_kind:     by_value
      - .offset:         128
        .size:           8
        .value_kind:     by_value
      - .offset:         136
        .size:           4
        .value_kind:     by_value
    .group_segment_fixed_size: 2048
    .kernarg_segment_align: 8
    .kernarg_segment_size: 140
    .language:       OpenCL C
    .language_version:
      - 2
      - 0
    .max_flat_workgroup_size: 256
    .name:           _ZN12_GLOBAL__N_135rocblas_gemm_batched_general_kernelIfLi16ELi16ELi32ELi32ELi8ELi32ELi8ELi8ELi32ELc67ELc84EK16rocblas_bfloat16KffEEvlllT_PT11_llS6_llS4_PT12_llPT13_lli
    .private_segment_fixed_size: 0
    .sgpr_count:     32
    .sgpr_spill_count: 0
    .symbol:         _ZN12_GLOBAL__N_135rocblas_gemm_batched_general_kernelIfLi16ELi16ELi32ELi32ELi8ELi32ELi8ELi8ELi32ELc67ELc84EK16rocblas_bfloat16KffEEvlllT_PT11_llS6_llS4_PT12_llPT13_lli.kd
    .uniform_work_group_size: 1
    .uses_dynamic_stack: false
    .vgpr_count:     44
    .vgpr_spill_count: 0
    .wavefront_size: 32
    .workgroup_processor_mode: 1
  - .args:
      - .offset:         0
        .size:           8
        .value_kind:     by_value
      - .offset:         8
        .size:           8
        .value_kind:     by_value
      - .offset:         16
        .size:           8
        .value_kind:     by_value
      - .offset:         24
        .size:           4
        .value_kind:     by_value
      - .address_space:  global
        .offset:         32
        .size:           8
        .value_kind:     global_buffer
      - .offset:         40
        .size:           8
        .value_kind:     by_value
      - .offset:         48
        .size:           8
        .value_kind:     by_value
      - .address_space:  global
        .offset:         56
        .size:           8
        .value_kind:     global_buffer
      - .offset:         64
        .size:           8
        .value_kind:     by_value
      - .offset:         72
        .size:           8
        .value_kind:     by_value
      - .offset:         80
        .size:           4
        .value_kind:     by_value
      - .address_space:  global
        .offset:         88
        .size:           8
        .value_kind:     global_buffer
      - .offset:         96
        .size:           8
        .value_kind:     by_value
      - .offset:         104
        .size:           8
        .value_kind:     by_value
      - .address_space:  global
        .offset:         112
        .size:           8
        .value_kind:     global_buffer
      - .offset:         120
        .size:           8
        .value_kind:     by_value
      - .offset:         128
        .size:           8
        .value_kind:     by_value
      - .offset:         136
        .size:           4
        .value_kind:     by_value
    .group_segment_fixed_size: 2048
    .kernarg_segment_align: 8
    .kernarg_segment_size: 140
    .language:       OpenCL C
    .language_version:
      - 2
      - 0
    .max_flat_workgroup_size: 256
    .name:           _ZN12_GLOBAL__N_135rocblas_gemm_batched_general_kernelIfLi16ELi16ELi32ELi32ELi8ELi32ELi8ELi8ELi32ELc78ELc67EK16rocblas_bfloat16KffEEvlllT_PT11_llS6_llS4_PT12_llPT13_lli
    .private_segment_fixed_size: 0
    .sgpr_count:     36
    .sgpr_spill_count: 0
    .symbol:         _ZN12_GLOBAL__N_135rocblas_gemm_batched_general_kernelIfLi16ELi16ELi32ELi32ELi8ELi32ELi8ELi8ELi32ELc78ELc67EK16rocblas_bfloat16KffEEvlllT_PT11_llS6_llS4_PT12_llPT13_lli.kd
    .uniform_work_group_size: 1
    .uses_dynamic_stack: false
    .vgpr_count:     44
    .vgpr_spill_count: 0
    .wavefront_size: 32
    .workgroup_processor_mode: 1
  - .args:
      - .offset:         0
        .size:           8
        .value_kind:     by_value
      - .offset:         8
        .size:           8
        .value_kind:     by_value
      - .offset:         16
        .size:           8
        .value_kind:     by_value
      - .offset:         24
        .size:           4
        .value_kind:     by_value
      - .address_space:  global
        .offset:         32
        .size:           8
        .value_kind:     global_buffer
      - .offset:         40
        .size:           8
        .value_kind:     by_value
      - .offset:         48
        .size:           8
        .value_kind:     by_value
      - .address_space:  global
        .offset:         56
        .size:           8
        .value_kind:     global_buffer
      - .offset:         64
        .size:           8
        .value_kind:     by_value
      - .offset:         72
        .size:           8
        .value_kind:     by_value
      - .offset:         80
        .size:           4
        .value_kind:     by_value
      - .address_space:  global
        .offset:         88
        .size:           8
        .value_kind:     global_buffer
      - .offset:         96
        .size:           8
        .value_kind:     by_value
      - .offset:         104
        .size:           8
        .value_kind:     by_value
      - .address_space:  global
        .offset:         112
        .size:           8
        .value_kind:     global_buffer
      - .offset:         120
        .size:           8
        .value_kind:     by_value
      - .offset:         128
        .size:           8
        .value_kind:     by_value
      - .offset:         136
        .size:           4
        .value_kind:     by_value
    .group_segment_fixed_size: 2048
    .kernarg_segment_align: 8
    .kernarg_segment_size: 140
    .language:       OpenCL C
    .language_version:
      - 2
      - 0
    .max_flat_workgroup_size: 256
    .name:           _ZN12_GLOBAL__N_135rocblas_gemm_batched_general_kernelIfLi16ELi16ELi32ELi32ELi8ELi32ELi8ELi8ELi32ELc84ELc67EK16rocblas_bfloat16KffEEvlllT_PT11_llS6_llS4_PT12_llPT13_lli
    .private_segment_fixed_size: 0
    .sgpr_count:     32
    .sgpr_spill_count: 0
    .symbol:         _ZN12_GLOBAL__N_135rocblas_gemm_batched_general_kernelIfLi16ELi16ELi32ELi32ELi8ELi32ELi8ELi8ELi32ELc84ELc67EK16rocblas_bfloat16KffEEvlllT_PT11_llS6_llS4_PT12_llPT13_lli.kd
    .uniform_work_group_size: 1
    .uses_dynamic_stack: false
    .vgpr_count:     44
    .vgpr_spill_count: 0
    .wavefront_size: 32
    .workgroup_processor_mode: 1
  - .args:
      - .offset:         0
        .size:           4
        .value_kind:     by_value
      - .offset:         4
        .size:           4
        .value_kind:     by_value
      - .offset:         8
        .size:           4
        .value_kind:     by_value
      - .address_space:  global
        .offset:         16
        .size:           8
        .value_kind:     global_buffer
      - .offset:         24
        .size:           8
        .value_kind:     by_value
      - .offset:         32
        .size:           8
        .value_kind:     by_value
      - .offset:         40
        .size:           8
        .value_kind:     by_value
      - .address_space:  global
        .offset:         48
        .size:           8
        .value_kind:     global_buffer
      - .offset:         56
        .size:           8
        .value_kind:     by_value
      - .offset:         64
        .size:           8
        .value_kind:     by_value
      - .offset:         72
        .size:           8
        .value_kind:     by_value
      - .offset:         80
        .size:           4
        .value_kind:     by_value
    .group_segment_fixed_size: 0
    .kernarg_segment_align: 8
    .kernarg_segment_size: 84
    .language:       OpenCL C
    .language_version:
      - 2
      - 0
    .max_flat_workgroup_size: 1024
    .name:           _ZN12_GLOBAL__N_120gemm_ex_scale_kernelILi32ELi32EiPKiPiEEviiT1_T2_lllT3_llli
    .private_segment_fixed_size: 0
    .sgpr_count:     30
    .sgpr_spill_count: 0
    .symbol:         _ZN12_GLOBAL__N_120gemm_ex_scale_kernelILi32ELi32EiPKiPiEEviiT1_T2_lllT3_llli.kd
    .uniform_work_group_size: 1
    .uses_dynamic_stack: false
    .vgpr_count:     7
    .vgpr_spill_count: 0
    .wavefront_size: 32
    .workgroup_processor_mode: 1
  - .args:
      - .offset:         0
        .size:           8
        .value_kind:     by_value
      - .offset:         8
        .size:           8
        .value_kind:     by_value
      - .offset:         16
        .size:           8
        .value_kind:     by_value
      - .offset:         24
        .size:           4
        .value_kind:     by_value
      - .address_space:  global
        .offset:         32
        .size:           8
        .value_kind:     global_buffer
      - .offset:         40
        .size:           8
        .value_kind:     by_value
      - .offset:         48
        .size:           8
        .value_kind:     by_value
      - .address_space:  global
        .offset:         56
        .size:           8
        .value_kind:     global_buffer
      - .offset:         64
        .size:           8
        .value_kind:     by_value
      - .offset:         72
        .size:           8
        .value_kind:     by_value
      - .offset:         80
        .size:           4
        .value_kind:     by_value
      - .address_space:  global
        .offset:         88
        .size:           8
        .value_kind:     global_buffer
      - .offset:         96
        .size:           8
        .value_kind:     by_value
      - .offset:         104
        .size:           8
        .value_kind:     by_value
      - .address_space:  global
        .offset:         112
        .size:           8
        .value_kind:     global_buffer
      - .offset:         120
        .size:           8
        .value_kind:     by_value
      - .offset:         128
        .size:           8
        .value_kind:     by_value
      - .offset:         136
        .size:           4
        .value_kind:     by_value
    .group_segment_fixed_size: 2048
    .kernarg_segment_align: 8
    .kernarg_segment_size: 140
    .language:       OpenCL C
    .language_version:
      - 2
      - 0
    .max_flat_workgroup_size: 256
    .name:           _ZN12_GLOBAL__N_127rocblas_gemm_batched_kernelIiLi16ELi16ELi64ELi64ELi4ELi64ELi4ELi4ELi64ELc78ELc78EKaKiiEEvlllT_PT11_llS5_llS3_PT12_llPT13_lli
    .private_segment_fixed_size: 0
    .sgpr_count:     30
    .sgpr_spill_count: 0
    .symbol:         _ZN12_GLOBAL__N_127rocblas_gemm_batched_kernelIiLi16ELi16ELi64ELi64ELi4ELi64ELi4ELi4ELi64ELc78ELc78EKaKiiEEvlllT_PT11_llS5_llS3_PT12_llPT13_lli.kd
    .uniform_work_group_size: 1
    .uses_dynamic_stack: false
    .vgpr_count:     58
    .vgpr_spill_count: 0
    .wavefront_size: 32
    .workgroup_processor_mode: 1
  - .args:
      - .offset:         0
        .size:           8
        .value_kind:     by_value
      - .offset:         8
        .size:           8
        .value_kind:     by_value
      - .offset:         16
        .size:           8
        .value_kind:     by_value
      - .offset:         24
        .size:           4
        .value_kind:     by_value
      - .address_space:  global
        .offset:         32
        .size:           8
        .value_kind:     global_buffer
      - .offset:         40
        .size:           8
        .value_kind:     by_value
      - .offset:         48
        .size:           8
        .value_kind:     by_value
      - .address_space:  global
        .offset:         56
        .size:           8
        .value_kind:     global_buffer
      - .offset:         64
        .size:           8
        .value_kind:     by_value
      - .offset:         72
        .size:           8
        .value_kind:     by_value
      - .offset:         80
        .size:           4
        .value_kind:     by_value
      - .address_space:  global
        .offset:         88
        .size:           8
        .value_kind:     global_buffer
      - .offset:         96
        .size:           8
        .value_kind:     by_value
      - .offset:         104
        .size:           8
        .value_kind:     by_value
      - .address_space:  global
        .offset:         112
        .size:           8
        .value_kind:     global_buffer
      - .offset:         120
        .size:           8
        .value_kind:     by_value
      - .offset:         128
        .size:           8
        .value_kind:     by_value
      - .offset:         136
        .size:           4
        .value_kind:     by_value
    .group_segment_fixed_size: 2048
    .kernarg_segment_align: 8
    .kernarg_segment_size: 140
    .language:       OpenCL C
    .language_version:
      - 2
      - 0
    .max_flat_workgroup_size: 256
    .name:           _ZN12_GLOBAL__N_127rocblas_gemm_batched_kernelIiLi16ELi16ELi64ELi64ELi4ELi64ELi4ELi4ELi64ELc84ELc78EKaKiiEEvlllT_PT11_llS5_llS3_PT12_llPT13_lli
    .private_segment_fixed_size: 0
    .sgpr_count:     30
    .sgpr_spill_count: 0
    .symbol:         _ZN12_GLOBAL__N_127rocblas_gemm_batched_kernelIiLi16ELi16ELi64ELi64ELi4ELi64ELi4ELi4ELi64ELc84ELc78EKaKiiEEvlllT_PT11_llS5_llS3_PT12_llPT13_lli.kd
    .uniform_work_group_size: 1
    .uses_dynamic_stack: false
    .vgpr_count:     58
    .vgpr_spill_count: 0
    .wavefront_size: 32
    .workgroup_processor_mode: 1
  - .args:
      - .offset:         0
        .size:           8
        .value_kind:     by_value
      - .offset:         8
        .size:           8
        .value_kind:     by_value
      - .offset:         16
        .size:           8
        .value_kind:     by_value
      - .offset:         24
        .size:           4
        .value_kind:     by_value
      - .address_space:  global
        .offset:         32
        .size:           8
        .value_kind:     global_buffer
      - .offset:         40
        .size:           8
        .value_kind:     by_value
      - .offset:         48
        .size:           8
        .value_kind:     by_value
      - .address_space:  global
        .offset:         56
        .size:           8
        .value_kind:     global_buffer
      - .offset:         64
        .size:           8
        .value_kind:     by_value
      - .offset:         72
        .size:           8
        .value_kind:     by_value
      - .offset:         80
        .size:           4
        .value_kind:     by_value
      - .address_space:  global
        .offset:         88
        .size:           8
        .value_kind:     global_buffer
      - .offset:         96
        .size:           8
        .value_kind:     by_value
      - .offset:         104
        .size:           8
        .value_kind:     by_value
      - .address_space:  global
        .offset:         112
        .size:           8
        .value_kind:     global_buffer
      - .offset:         120
        .size:           8
        .value_kind:     by_value
      - .offset:         128
        .size:           8
        .value_kind:     by_value
      - .offset:         136
        .size:           4
        .value_kind:     by_value
    .group_segment_fixed_size: 2048
    .kernarg_segment_align: 8
    .kernarg_segment_size: 140
    .language:       OpenCL C
    .language_version:
      - 2
      - 0
    .max_flat_workgroup_size: 256
    .name:           _ZN12_GLOBAL__N_127rocblas_gemm_batched_kernelIiLi16ELi16ELi64ELi64ELi4ELi64ELi4ELi4ELi64ELc78ELc84EKaKiiEEvlllT_PT11_llS5_llS3_PT12_llPT13_lli
    .private_segment_fixed_size: 0
    .sgpr_count:     27
    .sgpr_spill_count: 0
    .symbol:         _ZN12_GLOBAL__N_127rocblas_gemm_batched_kernelIiLi16ELi16ELi64ELi64ELi4ELi64ELi4ELi4ELi64ELc78ELc84EKaKiiEEvlllT_PT11_llS5_llS3_PT12_llPT13_lli.kd
    .uniform_work_group_size: 1
    .uses_dynamic_stack: false
    .vgpr_count:     58
    .vgpr_spill_count: 0
    .wavefront_size: 32
    .workgroup_processor_mode: 1
  - .args:
      - .offset:         0
        .size:           8
        .value_kind:     by_value
      - .offset:         8
        .size:           8
        .value_kind:     by_value
      - .offset:         16
        .size:           8
        .value_kind:     by_value
      - .offset:         24
        .size:           4
        .value_kind:     by_value
      - .address_space:  global
        .offset:         32
        .size:           8
        .value_kind:     global_buffer
      - .offset:         40
        .size:           8
        .value_kind:     by_value
      - .offset:         48
        .size:           8
        .value_kind:     by_value
      - .address_space:  global
        .offset:         56
        .size:           8
        .value_kind:     global_buffer
      - .offset:         64
        .size:           8
        .value_kind:     by_value
      - .offset:         72
        .size:           8
        .value_kind:     by_value
      - .offset:         80
        .size:           4
        .value_kind:     by_value
      - .address_space:  global
        .offset:         88
        .size:           8
        .value_kind:     global_buffer
      - .offset:         96
        .size:           8
        .value_kind:     by_value
      - .offset:         104
        .size:           8
        .value_kind:     by_value
      - .address_space:  global
        .offset:         112
        .size:           8
        .value_kind:     global_buffer
      - .offset:         120
        .size:           8
        .value_kind:     by_value
      - .offset:         128
        .size:           8
        .value_kind:     by_value
      - .offset:         136
        .size:           4
        .value_kind:     by_value
    .group_segment_fixed_size: 2048
    .kernarg_segment_align: 8
    .kernarg_segment_size: 140
    .language:       OpenCL C
    .language_version:
      - 2
      - 0
    .max_flat_workgroup_size: 256
    .name:           _ZN12_GLOBAL__N_127rocblas_gemm_batched_kernelIiLi16ELi16ELi64ELi64ELi4ELi64ELi4ELi4ELi64ELc84ELc84EKaKiiEEvlllT_PT11_llS5_llS3_PT12_llPT13_lli
    .private_segment_fixed_size: 0
    .sgpr_count:     26
    .sgpr_spill_count: 0
    .symbol:         _ZN12_GLOBAL__N_127rocblas_gemm_batched_kernelIiLi16ELi16ELi64ELi64ELi4ELi64ELi4ELi4ELi64ELc84ELc84EKaKiiEEvlllT_PT11_llS5_llS3_PT12_llPT13_lli.kd
    .uniform_work_group_size: 1
    .uses_dynamic_stack: false
    .vgpr_count:     58
    .vgpr_spill_count: 0
    .wavefront_size: 32
    .workgroup_processor_mode: 1
  - .args:
      - .offset:         0
        .size:           8
        .value_kind:     by_value
      - .offset:         8
        .size:           8
        .value_kind:     by_value
      - .offset:         16
        .size:           8
        .value_kind:     by_value
      - .offset:         24
        .size:           4
        .value_kind:     by_value
      - .address_space:  global
        .offset:         32
        .size:           8
        .value_kind:     global_buffer
      - .offset:         40
        .size:           8
        .value_kind:     by_value
      - .offset:         48
        .size:           8
        .value_kind:     by_value
      - .address_space:  global
        .offset:         56
        .size:           8
        .value_kind:     global_buffer
      - .offset:         64
        .size:           8
        .value_kind:     by_value
      - .offset:         72
        .size:           8
        .value_kind:     by_value
      - .offset:         80
        .size:           4
        .value_kind:     by_value
      - .address_space:  global
        .offset:         88
        .size:           8
        .value_kind:     global_buffer
      - .offset:         96
        .size:           8
        .value_kind:     by_value
      - .offset:         104
        .size:           8
        .value_kind:     by_value
      - .address_space:  global
        .offset:         112
        .size:           8
        .value_kind:     global_buffer
      - .offset:         120
        .size:           8
        .value_kind:     by_value
      - .offset:         128
        .size:           8
        .value_kind:     by_value
      - .offset:         136
        .size:           4
        .value_kind:     by_value
    .group_segment_fixed_size: 2048
    .kernarg_segment_align: 8
    .kernarg_segment_size: 140
    .language:       OpenCL C
    .language_version:
      - 2
      - 0
    .max_flat_workgroup_size: 256
    .name:           _ZN12_GLOBAL__N_127rocblas_gemm_batched_kernelIiLi16ELi16ELi64ELi64ELi4ELi64ELi4ELi4ELi64ELc67ELc67EKaKiiEEvlllT_PT11_llS5_llS3_PT12_llPT13_lli
    .private_segment_fixed_size: 0
    .sgpr_count:     26
    .sgpr_spill_count: 0
    .symbol:         _ZN12_GLOBAL__N_127rocblas_gemm_batched_kernelIiLi16ELi16ELi64ELi64ELi4ELi64ELi4ELi4ELi64ELc67ELc67EKaKiiEEvlllT_PT11_llS5_llS3_PT12_llPT13_lli.kd
    .uniform_work_group_size: 1
    .uses_dynamic_stack: false
    .vgpr_count:     58
    .vgpr_spill_count: 0
    .wavefront_size: 32
    .workgroup_processor_mode: 1
  - .args:
      - .offset:         0
        .size:           8
        .value_kind:     by_value
      - .offset:         8
        .size:           8
        .value_kind:     by_value
      - .offset:         16
        .size:           8
        .value_kind:     by_value
      - .offset:         24
        .size:           4
        .value_kind:     by_value
      - .address_space:  global
        .offset:         32
        .size:           8
        .value_kind:     global_buffer
      - .offset:         40
        .size:           8
        .value_kind:     by_value
      - .offset:         48
        .size:           8
        .value_kind:     by_value
      - .address_space:  global
        .offset:         56
        .size:           8
        .value_kind:     global_buffer
      - .offset:         64
        .size:           8
        .value_kind:     by_value
      - .offset:         72
        .size:           8
        .value_kind:     by_value
      - .offset:         80
        .size:           4
        .value_kind:     by_value
      - .address_space:  global
        .offset:         88
        .size:           8
        .value_kind:     global_buffer
      - .offset:         96
        .size:           8
        .value_kind:     by_value
      - .offset:         104
        .size:           8
        .value_kind:     by_value
      - .address_space:  global
        .offset:         112
        .size:           8
        .value_kind:     global_buffer
      - .offset:         120
        .size:           8
        .value_kind:     by_value
      - .offset:         128
        .size:           8
        .value_kind:     by_value
      - .offset:         136
        .size:           4
        .value_kind:     by_value
    .group_segment_fixed_size: 2048
    .kernarg_segment_align: 8
    .kernarg_segment_size: 140
    .language:       OpenCL C
    .language_version:
      - 2
      - 0
    .max_flat_workgroup_size: 256
    .name:           _ZN12_GLOBAL__N_127rocblas_gemm_batched_kernelIiLi16ELi16ELi64ELi64ELi4ELi64ELi4ELi4ELi64ELc67ELc78EKaKiiEEvlllT_PT11_llS5_llS3_PT12_llPT13_lli
    .private_segment_fixed_size: 0
    .sgpr_count:     30
    .sgpr_spill_count: 0
    .symbol:         _ZN12_GLOBAL__N_127rocblas_gemm_batched_kernelIiLi16ELi16ELi64ELi64ELi4ELi64ELi4ELi4ELi64ELc67ELc78EKaKiiEEvlllT_PT11_llS5_llS3_PT12_llPT13_lli.kd
    .uniform_work_group_size: 1
    .uses_dynamic_stack: false
    .vgpr_count:     58
    .vgpr_spill_count: 0
    .wavefront_size: 32
    .workgroup_processor_mode: 1
  - .args:
      - .offset:         0
        .size:           8
        .value_kind:     by_value
      - .offset:         8
        .size:           8
        .value_kind:     by_value
      - .offset:         16
        .size:           8
        .value_kind:     by_value
      - .offset:         24
        .size:           4
        .value_kind:     by_value
      - .address_space:  global
        .offset:         32
        .size:           8
        .value_kind:     global_buffer
      - .offset:         40
        .size:           8
        .value_kind:     by_value
      - .offset:         48
        .size:           8
        .value_kind:     by_value
      - .address_space:  global
        .offset:         56
        .size:           8
        .value_kind:     global_buffer
      - .offset:         64
        .size:           8
        .value_kind:     by_value
      - .offset:         72
        .size:           8
        .value_kind:     by_value
      - .offset:         80
        .size:           4
        .value_kind:     by_value
      - .address_space:  global
        .offset:         88
        .size:           8
        .value_kind:     global_buffer
      - .offset:         96
        .size:           8
        .value_kind:     by_value
      - .offset:         104
        .size:           8
        .value_kind:     by_value
      - .address_space:  global
        .offset:         112
        .size:           8
        .value_kind:     global_buffer
      - .offset:         120
        .size:           8
        .value_kind:     by_value
      - .offset:         128
        .size:           8
        .value_kind:     by_value
      - .offset:         136
        .size:           4
        .value_kind:     by_value
    .group_segment_fixed_size: 2048
    .kernarg_segment_align: 8
    .kernarg_segment_size: 140
    .language:       OpenCL C
    .language_version:
      - 2
      - 0
    .max_flat_workgroup_size: 256
    .name:           _ZN12_GLOBAL__N_127rocblas_gemm_batched_kernelIiLi16ELi16ELi64ELi64ELi4ELi64ELi4ELi4ELi64ELc67ELc84EKaKiiEEvlllT_PT11_llS5_llS3_PT12_llPT13_lli
    .private_segment_fixed_size: 0
    .sgpr_count:     26
    .sgpr_spill_count: 0
    .symbol:         _ZN12_GLOBAL__N_127rocblas_gemm_batched_kernelIiLi16ELi16ELi64ELi64ELi4ELi64ELi4ELi4ELi64ELc67ELc84EKaKiiEEvlllT_PT11_llS5_llS3_PT12_llPT13_lli.kd
    .uniform_work_group_size: 1
    .uses_dynamic_stack: false
    .vgpr_count:     58
    .vgpr_spill_count: 0
    .wavefront_size: 32
    .workgroup_processor_mode: 1
  - .args:
      - .offset:         0
        .size:           8
        .value_kind:     by_value
      - .offset:         8
        .size:           8
        .value_kind:     by_value
      - .offset:         16
        .size:           8
        .value_kind:     by_value
      - .offset:         24
        .size:           4
        .value_kind:     by_value
      - .address_space:  global
        .offset:         32
        .size:           8
        .value_kind:     global_buffer
      - .offset:         40
        .size:           8
        .value_kind:     by_value
      - .offset:         48
        .size:           8
        .value_kind:     by_value
      - .address_space:  global
        .offset:         56
        .size:           8
        .value_kind:     global_buffer
      - .offset:         64
        .size:           8
        .value_kind:     by_value
      - .offset:         72
        .size:           8
        .value_kind:     by_value
      - .offset:         80
        .size:           4
        .value_kind:     by_value
      - .address_space:  global
        .offset:         88
        .size:           8
        .value_kind:     global_buffer
      - .offset:         96
        .size:           8
        .value_kind:     by_value
      - .offset:         104
        .size:           8
        .value_kind:     by_value
      - .address_space:  global
        .offset:         112
        .size:           8
        .value_kind:     global_buffer
      - .offset:         120
        .size:           8
        .value_kind:     by_value
      - .offset:         128
        .size:           8
        .value_kind:     by_value
      - .offset:         136
        .size:           4
        .value_kind:     by_value
    .group_segment_fixed_size: 2048
    .kernarg_segment_align: 8
    .kernarg_segment_size: 140
    .language:       OpenCL C
    .language_version:
      - 2
      - 0
    .max_flat_workgroup_size: 256
    .name:           _ZN12_GLOBAL__N_127rocblas_gemm_batched_kernelIiLi16ELi16ELi64ELi64ELi4ELi64ELi4ELi4ELi64ELc78ELc67EKaKiiEEvlllT_PT11_llS5_llS3_PT12_llPT13_lli
    .private_segment_fixed_size: 0
    .sgpr_count:     27
    .sgpr_spill_count: 0
    .symbol:         _ZN12_GLOBAL__N_127rocblas_gemm_batched_kernelIiLi16ELi16ELi64ELi64ELi4ELi64ELi4ELi4ELi64ELc78ELc67EKaKiiEEvlllT_PT11_llS5_llS3_PT12_llPT13_lli.kd
    .uniform_work_group_size: 1
    .uses_dynamic_stack: false
    .vgpr_count:     58
    .vgpr_spill_count: 0
    .wavefront_size: 32
    .workgroup_processor_mode: 1
  - .args:
      - .offset:         0
        .size:           8
        .value_kind:     by_value
      - .offset:         8
        .size:           8
        .value_kind:     by_value
      - .offset:         16
        .size:           8
        .value_kind:     by_value
      - .offset:         24
        .size:           4
        .value_kind:     by_value
      - .address_space:  global
        .offset:         32
        .size:           8
        .value_kind:     global_buffer
      - .offset:         40
        .size:           8
        .value_kind:     by_value
      - .offset:         48
        .size:           8
        .value_kind:     by_value
      - .address_space:  global
        .offset:         56
        .size:           8
        .value_kind:     global_buffer
      - .offset:         64
        .size:           8
        .value_kind:     by_value
      - .offset:         72
        .size:           8
        .value_kind:     by_value
      - .offset:         80
        .size:           4
        .value_kind:     by_value
      - .address_space:  global
        .offset:         88
        .size:           8
        .value_kind:     global_buffer
      - .offset:         96
        .size:           8
        .value_kind:     by_value
      - .offset:         104
        .size:           8
        .value_kind:     by_value
      - .address_space:  global
        .offset:         112
        .size:           8
        .value_kind:     global_buffer
      - .offset:         120
        .size:           8
        .value_kind:     by_value
      - .offset:         128
        .size:           8
        .value_kind:     by_value
      - .offset:         136
        .size:           4
        .value_kind:     by_value
    .group_segment_fixed_size: 2048
    .kernarg_segment_align: 8
    .kernarg_segment_size: 140
    .language:       OpenCL C
    .language_version:
      - 2
      - 0
    .max_flat_workgroup_size: 256
    .name:           _ZN12_GLOBAL__N_127rocblas_gemm_batched_kernelIiLi16ELi16ELi64ELi64ELi4ELi64ELi4ELi4ELi64ELc84ELc67EKaKiiEEvlllT_PT11_llS5_llS3_PT12_llPT13_lli
    .private_segment_fixed_size: 0
    .sgpr_count:     26
    .sgpr_spill_count: 0
    .symbol:         _ZN12_GLOBAL__N_127rocblas_gemm_batched_kernelIiLi16ELi16ELi64ELi64ELi4ELi64ELi4ELi4ELi64ELc84ELc67EKaKiiEEvlllT_PT11_llS5_llS3_PT12_llPT13_lli.kd
    .uniform_work_group_size: 1
    .uses_dynamic_stack: false
    .vgpr_count:     58
    .vgpr_spill_count: 0
    .wavefront_size: 32
    .workgroup_processor_mode: 1
  - .args:
      - .offset:         0
        .size:           8
        .value_kind:     by_value
      - .offset:         8
        .size:           8
        .value_kind:     by_value
      - .offset:         16
        .size:           8
        .value_kind:     by_value
      - .offset:         24
        .size:           4
        .value_kind:     by_value
      - .address_space:  global
        .offset:         32
        .size:           8
        .value_kind:     global_buffer
      - .offset:         40
        .size:           8
        .value_kind:     by_value
      - .offset:         48
        .size:           8
        .value_kind:     by_value
      - .address_space:  global
        .offset:         56
        .size:           8
        .value_kind:     global_buffer
      - .offset:         64
        .size:           8
        .value_kind:     by_value
      - .offset:         72
        .size:           8
        .value_kind:     by_value
      - .offset:         80
        .size:           4
        .value_kind:     by_value
      - .address_space:  global
        .offset:         88
        .size:           8
        .value_kind:     global_buffer
      - .offset:         96
        .size:           8
        .value_kind:     by_value
      - .offset:         104
        .size:           8
        .value_kind:     by_value
      - .address_space:  global
        .offset:         112
        .size:           8
        .value_kind:     global_buffer
      - .offset:         120
        .size:           8
        .value_kind:     by_value
      - .offset:         128
        .size:           8
        .value_kind:     by_value
      - .offset:         136
        .size:           4
        .value_kind:     by_value
    .group_segment_fixed_size: 2048
    .kernarg_segment_align: 8
    .kernarg_segment_size: 140
    .language:       OpenCL C
    .language_version:
      - 2
      - 0
    .max_flat_workgroup_size: 256
    .name:           _ZN12_GLOBAL__N_127rocblas_gemm_batched_kernelIiLi16ELi16ELi32ELi32ELi8ELi32ELi8ELi8ELi32ELc78ELc78EKaKiiEEvlllT_PT11_llS5_llS3_PT12_llPT13_lli
    .private_segment_fixed_size: 0
    .sgpr_count:     27
    .sgpr_spill_count: 0
    .symbol:         _ZN12_GLOBAL__N_127rocblas_gemm_batched_kernelIiLi16ELi16ELi32ELi32ELi8ELi32ELi8ELi8ELi32ELc78ELc78EKaKiiEEvlllT_PT11_llS5_llS3_PT12_llPT13_lli.kd
    .uniform_work_group_size: 1
    .uses_dynamic_stack: false
    .vgpr_count:     47
    .vgpr_spill_count: 0
    .wavefront_size: 32
    .workgroup_processor_mode: 1
  - .args:
      - .offset:         0
        .size:           8
        .value_kind:     by_value
      - .offset:         8
        .size:           8
        .value_kind:     by_value
      - .offset:         16
        .size:           8
        .value_kind:     by_value
      - .offset:         24
        .size:           4
        .value_kind:     by_value
      - .address_space:  global
        .offset:         32
        .size:           8
        .value_kind:     global_buffer
      - .offset:         40
        .size:           8
        .value_kind:     by_value
      - .offset:         48
        .size:           8
        .value_kind:     by_value
      - .address_space:  global
        .offset:         56
        .size:           8
        .value_kind:     global_buffer
      - .offset:         64
        .size:           8
        .value_kind:     by_value
      - .offset:         72
        .size:           8
        .value_kind:     by_value
      - .offset:         80
        .size:           4
        .value_kind:     by_value
      - .address_space:  global
        .offset:         88
        .size:           8
        .value_kind:     global_buffer
      - .offset:         96
        .size:           8
        .value_kind:     by_value
      - .offset:         104
        .size:           8
        .value_kind:     by_value
      - .address_space:  global
        .offset:         112
        .size:           8
        .value_kind:     global_buffer
      - .offset:         120
        .size:           8
        .value_kind:     by_value
      - .offset:         128
        .size:           8
        .value_kind:     by_value
      - .offset:         136
        .size:           4
        .value_kind:     by_value
    .group_segment_fixed_size: 2048
    .kernarg_segment_align: 8
    .kernarg_segment_size: 140
    .language:       OpenCL C
    .language_version:
      - 2
      - 0
    .max_flat_workgroup_size: 256
    .name:           _ZN12_GLOBAL__N_127rocblas_gemm_batched_kernelIiLi16ELi16ELi32ELi32ELi8ELi32ELi8ELi8ELi32ELc84ELc78EKaKiiEEvlllT_PT11_llS5_llS3_PT12_llPT13_lli
    .private_segment_fixed_size: 0
    .sgpr_count:     30
    .sgpr_spill_count: 0
    .symbol:         _ZN12_GLOBAL__N_127rocblas_gemm_batched_kernelIiLi16ELi16ELi32ELi32ELi8ELi32ELi8ELi8ELi32ELc84ELc78EKaKiiEEvlllT_PT11_llS5_llS3_PT12_llPT13_lli.kd
    .uniform_work_group_size: 1
    .uses_dynamic_stack: false
    .vgpr_count:     47
    .vgpr_spill_count: 0
    .wavefront_size: 32
    .workgroup_processor_mode: 1
  - .args:
      - .offset:         0
        .size:           8
        .value_kind:     by_value
      - .offset:         8
        .size:           8
        .value_kind:     by_value
      - .offset:         16
        .size:           8
        .value_kind:     by_value
      - .offset:         24
        .size:           4
        .value_kind:     by_value
      - .address_space:  global
        .offset:         32
        .size:           8
        .value_kind:     global_buffer
      - .offset:         40
        .size:           8
        .value_kind:     by_value
      - .offset:         48
        .size:           8
        .value_kind:     by_value
      - .address_space:  global
        .offset:         56
        .size:           8
        .value_kind:     global_buffer
      - .offset:         64
        .size:           8
        .value_kind:     by_value
      - .offset:         72
        .size:           8
        .value_kind:     by_value
      - .offset:         80
        .size:           4
        .value_kind:     by_value
      - .address_space:  global
        .offset:         88
        .size:           8
        .value_kind:     global_buffer
      - .offset:         96
        .size:           8
        .value_kind:     by_value
      - .offset:         104
        .size:           8
        .value_kind:     by_value
      - .address_space:  global
        .offset:         112
        .size:           8
        .value_kind:     global_buffer
      - .offset:         120
        .size:           8
        .value_kind:     by_value
      - .offset:         128
        .size:           8
        .value_kind:     by_value
      - .offset:         136
        .size:           4
        .value_kind:     by_value
    .group_segment_fixed_size: 2048
    .kernarg_segment_align: 8
    .kernarg_segment_size: 140
    .language:       OpenCL C
    .language_version:
      - 2
      - 0
    .max_flat_workgroup_size: 256
    .name:           _ZN12_GLOBAL__N_127rocblas_gemm_batched_kernelIiLi16ELi16ELi32ELi32ELi8ELi32ELi8ELi8ELi32ELc78ELc84EKaKiiEEvlllT_PT11_llS5_llS3_PT12_llPT13_lli
    .private_segment_fixed_size: 0
    .sgpr_count:     27
    .sgpr_spill_count: 0
    .symbol:         _ZN12_GLOBAL__N_127rocblas_gemm_batched_kernelIiLi16ELi16ELi32ELi32ELi8ELi32ELi8ELi8ELi32ELc78ELc84EKaKiiEEvlllT_PT11_llS5_llS3_PT12_llPT13_lli.kd
    .uniform_work_group_size: 1
    .uses_dynamic_stack: false
    .vgpr_count:     47
    .vgpr_spill_count: 0
    .wavefront_size: 32
    .workgroup_processor_mode: 1
  - .args:
      - .offset:         0
        .size:           8
        .value_kind:     by_value
      - .offset:         8
        .size:           8
        .value_kind:     by_value
      - .offset:         16
        .size:           8
        .value_kind:     by_value
      - .offset:         24
        .size:           4
        .value_kind:     by_value
      - .address_space:  global
        .offset:         32
        .size:           8
        .value_kind:     global_buffer
      - .offset:         40
        .size:           8
        .value_kind:     by_value
      - .offset:         48
        .size:           8
        .value_kind:     by_value
      - .address_space:  global
        .offset:         56
        .size:           8
        .value_kind:     global_buffer
      - .offset:         64
        .size:           8
        .value_kind:     by_value
      - .offset:         72
        .size:           8
        .value_kind:     by_value
      - .offset:         80
        .size:           4
        .value_kind:     by_value
      - .address_space:  global
        .offset:         88
        .size:           8
        .value_kind:     global_buffer
      - .offset:         96
        .size:           8
        .value_kind:     by_value
      - .offset:         104
        .size:           8
        .value_kind:     by_value
      - .address_space:  global
        .offset:         112
        .size:           8
        .value_kind:     global_buffer
      - .offset:         120
        .size:           8
        .value_kind:     by_value
      - .offset:         128
        .size:           8
        .value_kind:     by_value
      - .offset:         136
        .size:           4
        .value_kind:     by_value
    .group_segment_fixed_size: 2048
    .kernarg_segment_align: 8
    .kernarg_segment_size: 140
    .language:       OpenCL C
    .language_version:
      - 2
      - 0
    .max_flat_workgroup_size: 256
    .name:           _ZN12_GLOBAL__N_127rocblas_gemm_batched_kernelIiLi16ELi16ELi32ELi32ELi8ELi32ELi8ELi8ELi32ELc84ELc84EKaKiiEEvlllT_PT11_llS5_llS3_PT12_llPT13_lli
    .private_segment_fixed_size: 0
    .sgpr_count:     26
    .sgpr_spill_count: 0
    .symbol:         _ZN12_GLOBAL__N_127rocblas_gemm_batched_kernelIiLi16ELi16ELi32ELi32ELi8ELi32ELi8ELi8ELi32ELc84ELc84EKaKiiEEvlllT_PT11_llS5_llS3_PT12_llPT13_lli.kd
    .uniform_work_group_size: 1
    .uses_dynamic_stack: false
    .vgpr_count:     47
    .vgpr_spill_count: 0
    .wavefront_size: 32
    .workgroup_processor_mode: 1
  - .args:
      - .offset:         0
        .size:           8
        .value_kind:     by_value
      - .offset:         8
        .size:           8
        .value_kind:     by_value
      - .offset:         16
        .size:           8
        .value_kind:     by_value
      - .offset:         24
        .size:           4
        .value_kind:     by_value
      - .address_space:  global
        .offset:         32
        .size:           8
        .value_kind:     global_buffer
      - .offset:         40
        .size:           8
        .value_kind:     by_value
      - .offset:         48
        .size:           8
        .value_kind:     by_value
      - .address_space:  global
        .offset:         56
        .size:           8
        .value_kind:     global_buffer
      - .offset:         64
        .size:           8
        .value_kind:     by_value
      - .offset:         72
        .size:           8
        .value_kind:     by_value
      - .offset:         80
        .size:           4
        .value_kind:     by_value
      - .address_space:  global
        .offset:         88
        .size:           8
        .value_kind:     global_buffer
      - .offset:         96
        .size:           8
        .value_kind:     by_value
      - .offset:         104
        .size:           8
        .value_kind:     by_value
      - .address_space:  global
        .offset:         112
        .size:           8
        .value_kind:     global_buffer
      - .offset:         120
        .size:           8
        .value_kind:     by_value
      - .offset:         128
        .size:           8
        .value_kind:     by_value
      - .offset:         136
        .size:           4
        .value_kind:     by_value
    .group_segment_fixed_size: 2048
    .kernarg_segment_align: 8
    .kernarg_segment_size: 140
    .language:       OpenCL C
    .language_version:
      - 2
      - 0
    .max_flat_workgroup_size: 256
    .name:           _ZN12_GLOBAL__N_127rocblas_gemm_batched_kernelIiLi16ELi16ELi32ELi32ELi8ELi32ELi8ELi8ELi32ELc67ELc67EKaKiiEEvlllT_PT11_llS5_llS3_PT12_llPT13_lli
    .private_segment_fixed_size: 0
    .sgpr_count:     26
    .sgpr_spill_count: 0
    .symbol:         _ZN12_GLOBAL__N_127rocblas_gemm_batched_kernelIiLi16ELi16ELi32ELi32ELi8ELi32ELi8ELi8ELi32ELc67ELc67EKaKiiEEvlllT_PT11_llS5_llS3_PT12_llPT13_lli.kd
    .uniform_work_group_size: 1
    .uses_dynamic_stack: false
    .vgpr_count:     47
    .vgpr_spill_count: 0
    .wavefront_size: 32
    .workgroup_processor_mode: 1
  - .args:
      - .offset:         0
        .size:           8
        .value_kind:     by_value
      - .offset:         8
        .size:           8
        .value_kind:     by_value
      - .offset:         16
        .size:           8
        .value_kind:     by_value
      - .offset:         24
        .size:           4
        .value_kind:     by_value
      - .address_space:  global
        .offset:         32
        .size:           8
        .value_kind:     global_buffer
      - .offset:         40
        .size:           8
        .value_kind:     by_value
      - .offset:         48
        .size:           8
        .value_kind:     by_value
      - .address_space:  global
        .offset:         56
        .size:           8
        .value_kind:     global_buffer
      - .offset:         64
        .size:           8
        .value_kind:     by_value
      - .offset:         72
        .size:           8
        .value_kind:     by_value
      - .offset:         80
        .size:           4
        .value_kind:     by_value
      - .address_space:  global
        .offset:         88
        .size:           8
        .value_kind:     global_buffer
      - .offset:         96
        .size:           8
        .value_kind:     by_value
      - .offset:         104
        .size:           8
        .value_kind:     by_value
      - .address_space:  global
        .offset:         112
        .size:           8
        .value_kind:     global_buffer
      - .offset:         120
        .size:           8
        .value_kind:     by_value
      - .offset:         128
        .size:           8
        .value_kind:     by_value
      - .offset:         136
        .size:           4
        .value_kind:     by_value
    .group_segment_fixed_size: 2048
    .kernarg_segment_align: 8
    .kernarg_segment_size: 140
    .language:       OpenCL C
    .language_version:
      - 2
      - 0
    .max_flat_workgroup_size: 256
    .name:           _ZN12_GLOBAL__N_127rocblas_gemm_batched_kernelIiLi16ELi16ELi32ELi32ELi8ELi32ELi8ELi8ELi32ELc67ELc78EKaKiiEEvlllT_PT11_llS5_llS3_PT12_llPT13_lli
    .private_segment_fixed_size: 0
    .sgpr_count:     30
    .sgpr_spill_count: 0
    .symbol:         _ZN12_GLOBAL__N_127rocblas_gemm_batched_kernelIiLi16ELi16ELi32ELi32ELi8ELi32ELi8ELi8ELi32ELc67ELc78EKaKiiEEvlllT_PT11_llS5_llS3_PT12_llPT13_lli.kd
    .uniform_work_group_size: 1
    .uses_dynamic_stack: false
    .vgpr_count:     47
    .vgpr_spill_count: 0
    .wavefront_size: 32
    .workgroup_processor_mode: 1
  - .args:
      - .offset:         0
        .size:           8
        .value_kind:     by_value
      - .offset:         8
        .size:           8
        .value_kind:     by_value
      - .offset:         16
        .size:           8
        .value_kind:     by_value
      - .offset:         24
        .size:           4
        .value_kind:     by_value
      - .address_space:  global
        .offset:         32
        .size:           8
        .value_kind:     global_buffer
      - .offset:         40
        .size:           8
        .value_kind:     by_value
      - .offset:         48
        .size:           8
        .value_kind:     by_value
      - .address_space:  global
        .offset:         56
        .size:           8
        .value_kind:     global_buffer
      - .offset:         64
        .size:           8
        .value_kind:     by_value
      - .offset:         72
        .size:           8
        .value_kind:     by_value
      - .offset:         80
        .size:           4
        .value_kind:     by_value
      - .address_space:  global
        .offset:         88
        .size:           8
        .value_kind:     global_buffer
      - .offset:         96
        .size:           8
        .value_kind:     by_value
      - .offset:         104
        .size:           8
        .value_kind:     by_value
      - .address_space:  global
        .offset:         112
        .size:           8
        .value_kind:     global_buffer
      - .offset:         120
        .size:           8
        .value_kind:     by_value
      - .offset:         128
        .size:           8
        .value_kind:     by_value
      - .offset:         136
        .size:           4
        .value_kind:     by_value
    .group_segment_fixed_size: 2048
    .kernarg_segment_align: 8
    .kernarg_segment_size: 140
    .language:       OpenCL C
    .language_version:
      - 2
      - 0
    .max_flat_workgroup_size: 256
    .name:           _ZN12_GLOBAL__N_127rocblas_gemm_batched_kernelIiLi16ELi16ELi32ELi32ELi8ELi32ELi8ELi8ELi32ELc67ELc84EKaKiiEEvlllT_PT11_llS5_llS3_PT12_llPT13_lli
    .private_segment_fixed_size: 0
    .sgpr_count:     26
    .sgpr_spill_count: 0
    .symbol:         _ZN12_GLOBAL__N_127rocblas_gemm_batched_kernelIiLi16ELi16ELi32ELi32ELi8ELi32ELi8ELi8ELi32ELc67ELc84EKaKiiEEvlllT_PT11_llS5_llS3_PT12_llPT13_lli.kd
    .uniform_work_group_size: 1
    .uses_dynamic_stack: false
    .vgpr_count:     47
    .vgpr_spill_count: 0
    .wavefront_size: 32
    .workgroup_processor_mode: 1
  - .args:
      - .offset:         0
        .size:           8
        .value_kind:     by_value
      - .offset:         8
        .size:           8
        .value_kind:     by_value
      - .offset:         16
        .size:           8
        .value_kind:     by_value
      - .offset:         24
        .size:           4
        .value_kind:     by_value
      - .address_space:  global
        .offset:         32
        .size:           8
        .value_kind:     global_buffer
      - .offset:         40
        .size:           8
        .value_kind:     by_value
      - .offset:         48
        .size:           8
        .value_kind:     by_value
      - .address_space:  global
        .offset:         56
        .size:           8
        .value_kind:     global_buffer
      - .offset:         64
        .size:           8
        .value_kind:     by_value
      - .offset:         72
        .size:           8
        .value_kind:     by_value
      - .offset:         80
        .size:           4
        .value_kind:     by_value
      - .address_space:  global
        .offset:         88
        .size:           8
        .value_kind:     global_buffer
      - .offset:         96
        .size:           8
        .value_kind:     by_value
      - .offset:         104
        .size:           8
        .value_kind:     by_value
      - .address_space:  global
        .offset:         112
        .size:           8
        .value_kind:     global_buffer
      - .offset:         120
        .size:           8
        .value_kind:     by_value
      - .offset:         128
        .size:           8
        .value_kind:     by_value
      - .offset:         136
        .size:           4
        .value_kind:     by_value
    .group_segment_fixed_size: 2048
    .kernarg_segment_align: 8
    .kernarg_segment_size: 140
    .language:       OpenCL C
    .language_version:
      - 2
      - 0
    .max_flat_workgroup_size: 256
    .name:           _ZN12_GLOBAL__N_127rocblas_gemm_batched_kernelIiLi16ELi16ELi32ELi32ELi8ELi32ELi8ELi8ELi32ELc78ELc67EKaKiiEEvlllT_PT11_llS5_llS3_PT12_llPT13_lli
    .private_segment_fixed_size: 0
    .sgpr_count:     27
    .sgpr_spill_count: 0
    .symbol:         _ZN12_GLOBAL__N_127rocblas_gemm_batched_kernelIiLi16ELi16ELi32ELi32ELi8ELi32ELi8ELi8ELi32ELc78ELc67EKaKiiEEvlllT_PT11_llS5_llS3_PT12_llPT13_lli.kd
    .uniform_work_group_size: 1
    .uses_dynamic_stack: false
    .vgpr_count:     47
    .vgpr_spill_count: 0
    .wavefront_size: 32
    .workgroup_processor_mode: 1
  - .args:
      - .offset:         0
        .size:           8
        .value_kind:     by_value
      - .offset:         8
        .size:           8
        .value_kind:     by_value
      - .offset:         16
        .size:           8
        .value_kind:     by_value
      - .offset:         24
        .size:           4
        .value_kind:     by_value
      - .address_space:  global
        .offset:         32
        .size:           8
        .value_kind:     global_buffer
      - .offset:         40
        .size:           8
        .value_kind:     by_value
      - .offset:         48
        .size:           8
        .value_kind:     by_value
      - .address_space:  global
        .offset:         56
        .size:           8
        .value_kind:     global_buffer
      - .offset:         64
        .size:           8
        .value_kind:     by_value
      - .offset:         72
        .size:           8
        .value_kind:     by_value
      - .offset:         80
        .size:           4
        .value_kind:     by_value
      - .address_space:  global
        .offset:         88
        .size:           8
        .value_kind:     global_buffer
      - .offset:         96
        .size:           8
        .value_kind:     by_value
      - .offset:         104
        .size:           8
        .value_kind:     by_value
      - .address_space:  global
        .offset:         112
        .size:           8
        .value_kind:     global_buffer
      - .offset:         120
        .size:           8
        .value_kind:     by_value
      - .offset:         128
        .size:           8
        .value_kind:     by_value
      - .offset:         136
        .size:           4
        .value_kind:     by_value
    .group_segment_fixed_size: 2048
    .kernarg_segment_align: 8
    .kernarg_segment_size: 140
    .language:       OpenCL C
    .language_version:
      - 2
      - 0
    .max_flat_workgroup_size: 256
    .name:           _ZN12_GLOBAL__N_127rocblas_gemm_batched_kernelIiLi16ELi16ELi32ELi32ELi8ELi32ELi8ELi8ELi32ELc84ELc67EKaKiiEEvlllT_PT11_llS5_llS3_PT12_llPT13_lli
    .private_segment_fixed_size: 0
    .sgpr_count:     26
    .sgpr_spill_count: 0
    .symbol:         _ZN12_GLOBAL__N_127rocblas_gemm_batched_kernelIiLi16ELi16ELi32ELi32ELi8ELi32ELi8ELi8ELi32ELc84ELc67EKaKiiEEvlllT_PT11_llS5_llS3_PT12_llPT13_lli.kd
    .uniform_work_group_size: 1
    .uses_dynamic_stack: false
    .vgpr_count:     47
    .vgpr_spill_count: 0
    .wavefront_size: 32
    .workgroup_processor_mode: 1
  - .args:
      - .offset:         0
        .size:           8
        .value_kind:     by_value
      - .offset:         8
        .size:           8
        .value_kind:     by_value
      - .offset:         16
        .size:           8
        .value_kind:     by_value
      - .offset:         24
        .size:           4
        .value_kind:     by_value
      - .address_space:  global
        .offset:         32
        .size:           8
        .value_kind:     global_buffer
      - .offset:         40
        .size:           8
        .value_kind:     by_value
      - .offset:         48
        .size:           8
        .value_kind:     by_value
      - .address_space:  global
        .offset:         56
        .size:           8
        .value_kind:     global_buffer
      - .offset:         64
        .size:           8
        .value_kind:     by_value
      - .offset:         72
        .size:           8
        .value_kind:     by_value
      - .offset:         80
        .size:           4
        .value_kind:     by_value
      - .address_space:  global
        .offset:         88
        .size:           8
        .value_kind:     global_buffer
      - .offset:         96
        .size:           8
        .value_kind:     by_value
      - .offset:         104
        .size:           8
        .value_kind:     by_value
      - .address_space:  global
        .offset:         112
        .size:           8
        .value_kind:     global_buffer
      - .offset:         120
        .size:           8
        .value_kind:     by_value
      - .offset:         128
        .size:           8
        .value_kind:     by_value
      - .offset:         136
        .size:           4
        .value_kind:     by_value
    .group_segment_fixed_size: 2048
    .kernarg_segment_align: 8
    .kernarg_segment_size: 140
    .language:       OpenCL C
    .language_version:
      - 2
      - 0
    .max_flat_workgroup_size: 256
    .name:           _ZN12_GLOBAL__N_135rocblas_gemm_batched_general_kernelIiLi16ELi16ELi32ELi32ELi8ELi32ELi8ELi8ELi32ELc78ELc78EKaKiiEEvlllT_PT11_llS5_llS3_PT12_llPT13_lli
    .private_segment_fixed_size: 0
    .sgpr_count:     30
    .sgpr_spill_count: 0
    .symbol:         _ZN12_GLOBAL__N_135rocblas_gemm_batched_general_kernelIiLi16ELi16ELi32ELi32ELi8ELi32ELi8ELi8ELi32ELc78ELc78EKaKiiEEvlllT_PT11_llS5_llS3_PT12_llPT13_lli.kd
    .uniform_work_group_size: 1
    .uses_dynamic_stack: false
    .vgpr_count:     45
    .vgpr_spill_count: 0
    .wavefront_size: 32
    .workgroup_processor_mode: 1
  - .args:
      - .offset:         0
        .size:           8
        .value_kind:     by_value
      - .offset:         8
        .size:           8
        .value_kind:     by_value
      - .offset:         16
        .size:           8
        .value_kind:     by_value
      - .offset:         24
        .size:           4
        .value_kind:     by_value
      - .address_space:  global
        .offset:         32
        .size:           8
        .value_kind:     global_buffer
      - .offset:         40
        .size:           8
        .value_kind:     by_value
      - .offset:         48
        .size:           8
        .value_kind:     by_value
      - .address_space:  global
        .offset:         56
        .size:           8
        .value_kind:     global_buffer
      - .offset:         64
        .size:           8
        .value_kind:     by_value
      - .offset:         72
        .size:           8
        .value_kind:     by_value
      - .offset:         80
        .size:           4
        .value_kind:     by_value
      - .address_space:  global
        .offset:         88
        .size:           8
        .value_kind:     global_buffer
      - .offset:         96
        .size:           8
        .value_kind:     by_value
      - .offset:         104
        .size:           8
        .value_kind:     by_value
      - .address_space:  global
        .offset:         112
        .size:           8
        .value_kind:     global_buffer
      - .offset:         120
        .size:           8
        .value_kind:     by_value
      - .offset:         128
        .size:           8
        .value_kind:     by_value
      - .offset:         136
        .size:           4
        .value_kind:     by_value
    .group_segment_fixed_size: 2048
    .kernarg_segment_align: 8
    .kernarg_segment_size: 140
    .language:       OpenCL C
    .language_version:
      - 2
      - 0
    .max_flat_workgroup_size: 256
    .name:           _ZN12_GLOBAL__N_135rocblas_gemm_batched_general_kernelIiLi16ELi16ELi32ELi32ELi8ELi32ELi8ELi8ELi32ELc84ELc78EKaKiiEEvlllT_PT11_llS5_llS3_PT12_llPT13_lli
    .private_segment_fixed_size: 0
    .sgpr_count:     30
    .sgpr_spill_count: 0
    .symbol:         _ZN12_GLOBAL__N_135rocblas_gemm_batched_general_kernelIiLi16ELi16ELi32ELi32ELi8ELi32ELi8ELi8ELi32ELc84ELc78EKaKiiEEvlllT_PT11_llS5_llS3_PT12_llPT13_lli.kd
    .uniform_work_group_size: 1
    .uses_dynamic_stack: false
    .vgpr_count:     45
    .vgpr_spill_count: 0
    .wavefront_size: 32
    .workgroup_processor_mode: 1
  - .args:
      - .offset:         0
        .size:           8
        .value_kind:     by_value
      - .offset:         8
        .size:           8
        .value_kind:     by_value
      - .offset:         16
        .size:           8
        .value_kind:     by_value
      - .offset:         24
        .size:           4
        .value_kind:     by_value
      - .address_space:  global
        .offset:         32
        .size:           8
        .value_kind:     global_buffer
      - .offset:         40
        .size:           8
        .value_kind:     by_value
      - .offset:         48
        .size:           8
        .value_kind:     by_value
      - .address_space:  global
        .offset:         56
        .size:           8
        .value_kind:     global_buffer
      - .offset:         64
        .size:           8
        .value_kind:     by_value
      - .offset:         72
        .size:           8
        .value_kind:     by_value
      - .offset:         80
        .size:           4
        .value_kind:     by_value
      - .address_space:  global
        .offset:         88
        .size:           8
        .value_kind:     global_buffer
      - .offset:         96
        .size:           8
        .value_kind:     by_value
      - .offset:         104
        .size:           8
        .value_kind:     by_value
      - .address_space:  global
        .offset:         112
        .size:           8
        .value_kind:     global_buffer
      - .offset:         120
        .size:           8
        .value_kind:     by_value
      - .offset:         128
        .size:           8
        .value_kind:     by_value
      - .offset:         136
        .size:           4
        .value_kind:     by_value
    .group_segment_fixed_size: 2048
    .kernarg_segment_align: 8
    .kernarg_segment_size: 140
    .language:       OpenCL C
    .language_version:
      - 2
      - 0
    .max_flat_workgroup_size: 256
    .name:           _ZN12_GLOBAL__N_135rocblas_gemm_batched_general_kernelIiLi16ELi16ELi32ELi32ELi8ELi32ELi8ELi8ELi32ELc78ELc84EKaKiiEEvlllT_PT11_llS5_llS3_PT12_llPT13_lli
    .private_segment_fixed_size: 0
    .sgpr_count:     30
    .sgpr_spill_count: 0
    .symbol:         _ZN12_GLOBAL__N_135rocblas_gemm_batched_general_kernelIiLi16ELi16ELi32ELi32ELi8ELi32ELi8ELi8ELi32ELc78ELc84EKaKiiEEvlllT_PT11_llS5_llS3_PT12_llPT13_lli.kd
    .uniform_work_group_size: 1
    .uses_dynamic_stack: false
    .vgpr_count:     45
    .vgpr_spill_count: 0
    .wavefront_size: 32
    .workgroup_processor_mode: 1
  - .args:
      - .offset:         0
        .size:           8
        .value_kind:     by_value
      - .offset:         8
        .size:           8
        .value_kind:     by_value
      - .offset:         16
        .size:           8
        .value_kind:     by_value
      - .offset:         24
        .size:           4
        .value_kind:     by_value
      - .address_space:  global
        .offset:         32
        .size:           8
        .value_kind:     global_buffer
      - .offset:         40
        .size:           8
        .value_kind:     by_value
      - .offset:         48
        .size:           8
        .value_kind:     by_value
      - .address_space:  global
        .offset:         56
        .size:           8
        .value_kind:     global_buffer
      - .offset:         64
        .size:           8
        .value_kind:     by_value
      - .offset:         72
        .size:           8
        .value_kind:     by_value
      - .offset:         80
        .size:           4
        .value_kind:     by_value
      - .address_space:  global
        .offset:         88
        .size:           8
        .value_kind:     global_buffer
      - .offset:         96
        .size:           8
        .value_kind:     by_value
      - .offset:         104
        .size:           8
        .value_kind:     by_value
      - .address_space:  global
        .offset:         112
        .size:           8
        .value_kind:     global_buffer
      - .offset:         120
        .size:           8
        .value_kind:     by_value
      - .offset:         128
        .size:           8
        .value_kind:     by_value
      - .offset:         136
        .size:           4
        .value_kind:     by_value
    .group_segment_fixed_size: 2048
    .kernarg_segment_align: 8
    .kernarg_segment_size: 140
    .language:       OpenCL C
    .language_version:
      - 2
      - 0
    .max_flat_workgroup_size: 256
    .name:           _ZN12_GLOBAL__N_135rocblas_gemm_batched_general_kernelIiLi16ELi16ELi32ELi32ELi8ELi32ELi8ELi8ELi32ELc84ELc84EKaKiiEEvlllT_PT11_llS5_llS3_PT12_llPT13_lli
    .private_segment_fixed_size: 0
    .sgpr_count:     30
    .sgpr_spill_count: 0
    .symbol:         _ZN12_GLOBAL__N_135rocblas_gemm_batched_general_kernelIiLi16ELi16ELi32ELi32ELi8ELi32ELi8ELi8ELi32ELc84ELc84EKaKiiEEvlllT_PT11_llS5_llS3_PT12_llPT13_lli.kd
    .uniform_work_group_size: 1
    .uses_dynamic_stack: false
    .vgpr_count:     45
    .vgpr_spill_count: 0
    .wavefront_size: 32
    .workgroup_processor_mode: 1
  - .args:
      - .offset:         0
        .size:           8
        .value_kind:     by_value
      - .offset:         8
        .size:           8
        .value_kind:     by_value
      - .offset:         16
        .size:           8
        .value_kind:     by_value
      - .offset:         24
        .size:           4
        .value_kind:     by_value
      - .address_space:  global
        .offset:         32
        .size:           8
        .value_kind:     global_buffer
      - .offset:         40
        .size:           8
        .value_kind:     by_value
      - .offset:         48
        .size:           8
        .value_kind:     by_value
      - .address_space:  global
        .offset:         56
        .size:           8
        .value_kind:     global_buffer
      - .offset:         64
        .size:           8
        .value_kind:     by_value
      - .offset:         72
        .size:           8
        .value_kind:     by_value
      - .offset:         80
        .size:           4
        .value_kind:     by_value
      - .address_space:  global
        .offset:         88
        .size:           8
        .value_kind:     global_buffer
      - .offset:         96
        .size:           8
        .value_kind:     by_value
      - .offset:         104
        .size:           8
        .value_kind:     by_value
      - .address_space:  global
        .offset:         112
        .size:           8
        .value_kind:     global_buffer
      - .offset:         120
        .size:           8
        .value_kind:     by_value
      - .offset:         128
        .size:           8
        .value_kind:     by_value
      - .offset:         136
        .size:           4
        .value_kind:     by_value
    .group_segment_fixed_size: 2048
    .kernarg_segment_align: 8
    .kernarg_segment_size: 140
    .language:       OpenCL C
    .language_version:
      - 2
      - 0
    .max_flat_workgroup_size: 256
    .name:           _ZN12_GLOBAL__N_135rocblas_gemm_batched_general_kernelIiLi16ELi16ELi32ELi32ELi8ELi32ELi8ELi8ELi32ELc67ELc67EKaKiiEEvlllT_PT11_llS5_llS3_PT12_llPT13_lli
    .private_segment_fixed_size: 0
    .sgpr_count:     30
    .sgpr_spill_count: 0
    .symbol:         _ZN12_GLOBAL__N_135rocblas_gemm_batched_general_kernelIiLi16ELi16ELi32ELi32ELi8ELi32ELi8ELi8ELi32ELc67ELc67EKaKiiEEvlllT_PT11_llS5_llS3_PT12_llPT13_lli.kd
    .uniform_work_group_size: 1
    .uses_dynamic_stack: false
    .vgpr_count:     45
    .vgpr_spill_count: 0
    .wavefront_size: 32
    .workgroup_processor_mode: 1
  - .args:
      - .offset:         0
        .size:           8
        .value_kind:     by_value
      - .offset:         8
        .size:           8
        .value_kind:     by_value
      - .offset:         16
        .size:           8
        .value_kind:     by_value
      - .offset:         24
        .size:           4
        .value_kind:     by_value
      - .address_space:  global
        .offset:         32
        .size:           8
        .value_kind:     global_buffer
      - .offset:         40
        .size:           8
        .value_kind:     by_value
      - .offset:         48
        .size:           8
        .value_kind:     by_value
      - .address_space:  global
        .offset:         56
        .size:           8
        .value_kind:     global_buffer
      - .offset:         64
        .size:           8
        .value_kind:     by_value
      - .offset:         72
        .size:           8
        .value_kind:     by_value
      - .offset:         80
        .size:           4
        .value_kind:     by_value
      - .address_space:  global
        .offset:         88
        .size:           8
        .value_kind:     global_buffer
      - .offset:         96
        .size:           8
        .value_kind:     by_value
      - .offset:         104
        .size:           8
        .value_kind:     by_value
      - .address_space:  global
        .offset:         112
        .size:           8
        .value_kind:     global_buffer
      - .offset:         120
        .size:           8
        .value_kind:     by_value
      - .offset:         128
        .size:           8
        .value_kind:     by_value
      - .offset:         136
        .size:           4
        .value_kind:     by_value
    .group_segment_fixed_size: 2048
    .kernarg_segment_align: 8
    .kernarg_segment_size: 140
    .language:       OpenCL C
    .language_version:
      - 2
      - 0
    .max_flat_workgroup_size: 256
    .name:           _ZN12_GLOBAL__N_135rocblas_gemm_batched_general_kernelIiLi16ELi16ELi32ELi32ELi8ELi32ELi8ELi8ELi32ELc67ELc78EKaKiiEEvlllT_PT11_llS5_llS3_PT12_llPT13_lli
    .private_segment_fixed_size: 0
    .sgpr_count:     30
    .sgpr_spill_count: 0
    .symbol:         _ZN12_GLOBAL__N_135rocblas_gemm_batched_general_kernelIiLi16ELi16ELi32ELi32ELi8ELi32ELi8ELi8ELi32ELc67ELc78EKaKiiEEvlllT_PT11_llS5_llS3_PT12_llPT13_lli.kd
    .uniform_work_group_size: 1
    .uses_dynamic_stack: false
    .vgpr_count:     45
    .vgpr_spill_count: 0
    .wavefront_size: 32
    .workgroup_processor_mode: 1
  - .args:
      - .offset:         0
        .size:           8
        .value_kind:     by_value
      - .offset:         8
        .size:           8
        .value_kind:     by_value
      - .offset:         16
        .size:           8
        .value_kind:     by_value
      - .offset:         24
        .size:           4
        .value_kind:     by_value
      - .address_space:  global
        .offset:         32
        .size:           8
        .value_kind:     global_buffer
      - .offset:         40
        .size:           8
        .value_kind:     by_value
      - .offset:         48
        .size:           8
        .value_kind:     by_value
      - .address_space:  global
        .offset:         56
        .size:           8
        .value_kind:     global_buffer
      - .offset:         64
        .size:           8
        .value_kind:     by_value
      - .offset:         72
        .size:           8
        .value_kind:     by_value
      - .offset:         80
        .size:           4
        .value_kind:     by_value
      - .address_space:  global
        .offset:         88
        .size:           8
        .value_kind:     global_buffer
      - .offset:         96
        .size:           8
        .value_kind:     by_value
      - .offset:         104
        .size:           8
        .value_kind:     by_value
      - .address_space:  global
        .offset:         112
        .size:           8
        .value_kind:     global_buffer
      - .offset:         120
        .size:           8
        .value_kind:     by_value
      - .offset:         128
        .size:           8
        .value_kind:     by_value
      - .offset:         136
        .size:           4
        .value_kind:     by_value
    .group_segment_fixed_size: 2048
    .kernarg_segment_align: 8
    .kernarg_segment_size: 140
    .language:       OpenCL C
    .language_version:
      - 2
      - 0
    .max_flat_workgroup_size: 256
    .name:           _ZN12_GLOBAL__N_135rocblas_gemm_batched_general_kernelIiLi16ELi16ELi32ELi32ELi8ELi32ELi8ELi8ELi32ELc67ELc84EKaKiiEEvlllT_PT11_llS5_llS3_PT12_llPT13_lli
    .private_segment_fixed_size: 0
    .sgpr_count:     30
    .sgpr_spill_count: 0
    .symbol:         _ZN12_GLOBAL__N_135rocblas_gemm_batched_general_kernelIiLi16ELi16ELi32ELi32ELi8ELi32ELi8ELi8ELi32ELc67ELc84EKaKiiEEvlllT_PT11_llS5_llS3_PT12_llPT13_lli.kd
    .uniform_work_group_size: 1
    .uses_dynamic_stack: false
    .vgpr_count:     45
    .vgpr_spill_count: 0
    .wavefront_size: 32
    .workgroup_processor_mode: 1
  - .args:
      - .offset:         0
        .size:           8
        .value_kind:     by_value
      - .offset:         8
        .size:           8
        .value_kind:     by_value
      - .offset:         16
        .size:           8
        .value_kind:     by_value
      - .offset:         24
        .size:           4
        .value_kind:     by_value
      - .address_space:  global
        .offset:         32
        .size:           8
        .value_kind:     global_buffer
      - .offset:         40
        .size:           8
        .value_kind:     by_value
      - .offset:         48
        .size:           8
        .value_kind:     by_value
      - .address_space:  global
        .offset:         56
        .size:           8
        .value_kind:     global_buffer
      - .offset:         64
        .size:           8
        .value_kind:     by_value
      - .offset:         72
        .size:           8
        .value_kind:     by_value
      - .offset:         80
        .size:           4
        .value_kind:     by_value
      - .address_space:  global
        .offset:         88
        .size:           8
        .value_kind:     global_buffer
      - .offset:         96
        .size:           8
        .value_kind:     by_value
      - .offset:         104
        .size:           8
        .value_kind:     by_value
      - .address_space:  global
        .offset:         112
        .size:           8
        .value_kind:     global_buffer
      - .offset:         120
        .size:           8
        .value_kind:     by_value
      - .offset:         128
        .size:           8
        .value_kind:     by_value
      - .offset:         136
        .size:           4
        .value_kind:     by_value
    .group_segment_fixed_size: 2048
    .kernarg_segment_align: 8
    .kernarg_segment_size: 140
    .language:       OpenCL C
    .language_version:
      - 2
      - 0
    .max_flat_workgroup_size: 256
    .name:           _ZN12_GLOBAL__N_135rocblas_gemm_batched_general_kernelIiLi16ELi16ELi32ELi32ELi8ELi32ELi8ELi8ELi32ELc78ELc67EKaKiiEEvlllT_PT11_llS5_llS3_PT12_llPT13_lli
    .private_segment_fixed_size: 0
    .sgpr_count:     30
    .sgpr_spill_count: 0
    .symbol:         _ZN12_GLOBAL__N_135rocblas_gemm_batched_general_kernelIiLi16ELi16ELi32ELi32ELi8ELi32ELi8ELi8ELi32ELc78ELc67EKaKiiEEvlllT_PT11_llS5_llS3_PT12_llPT13_lli.kd
    .uniform_work_group_size: 1
    .uses_dynamic_stack: false
    .vgpr_count:     45
    .vgpr_spill_count: 0
    .wavefront_size: 32
    .workgroup_processor_mode: 1
  - .args:
      - .offset:         0
        .size:           8
        .value_kind:     by_value
      - .offset:         8
        .size:           8
        .value_kind:     by_value
      - .offset:         16
        .size:           8
        .value_kind:     by_value
      - .offset:         24
        .size:           4
        .value_kind:     by_value
      - .address_space:  global
        .offset:         32
        .size:           8
        .value_kind:     global_buffer
      - .offset:         40
        .size:           8
        .value_kind:     by_value
      - .offset:         48
        .size:           8
        .value_kind:     by_value
      - .address_space:  global
        .offset:         56
        .size:           8
        .value_kind:     global_buffer
      - .offset:         64
        .size:           8
        .value_kind:     by_value
      - .offset:         72
        .size:           8
        .value_kind:     by_value
      - .offset:         80
        .size:           4
        .value_kind:     by_value
      - .address_space:  global
        .offset:         88
        .size:           8
        .value_kind:     global_buffer
      - .offset:         96
        .size:           8
        .value_kind:     by_value
      - .offset:         104
        .size:           8
        .value_kind:     by_value
      - .address_space:  global
        .offset:         112
        .size:           8
        .value_kind:     global_buffer
      - .offset:         120
        .size:           8
        .value_kind:     by_value
      - .offset:         128
        .size:           8
        .value_kind:     by_value
      - .offset:         136
        .size:           4
        .value_kind:     by_value
    .group_segment_fixed_size: 2048
    .kernarg_segment_align: 8
    .kernarg_segment_size: 140
    .language:       OpenCL C
    .language_version:
      - 2
      - 0
    .max_flat_workgroup_size: 256
    .name:           _ZN12_GLOBAL__N_135rocblas_gemm_batched_general_kernelIiLi16ELi16ELi32ELi32ELi8ELi32ELi8ELi8ELi32ELc84ELc67EKaKiiEEvlllT_PT11_llS5_llS3_PT12_llPT13_lli
    .private_segment_fixed_size: 0
    .sgpr_count:     30
    .sgpr_spill_count: 0
    .symbol:         _ZN12_GLOBAL__N_135rocblas_gemm_batched_general_kernelIiLi16ELi16ELi32ELi32ELi8ELi32ELi8ELi8ELi32ELc84ELc67EKaKiiEEvlllT_PT11_llS5_llS3_PT12_llPT13_lli.kd
    .uniform_work_group_size: 1
    .uses_dynamic_stack: false
    .vgpr_count:     45
    .vgpr_spill_count: 0
    .wavefront_size: 32
    .workgroup_processor_mode: 1
  - .args:
      - .offset:         0
        .size:           4
        .value_kind:     by_value
      - .offset:         4
        .size:           4
        .value_kind:     by_value
      - .offset:         8
        .size:           8
        .value_kind:     by_value
      - .address_space:  global
        .offset:         16
        .size:           8
        .value_kind:     global_buffer
      - .offset:         24
        .size:           8
        .value_kind:     by_value
      - .offset:         32
        .size:           8
        .value_kind:     by_value
      - .offset:         40
        .size:           8
        .value_kind:     by_value
      - .address_space:  global
        .offset:         48
        .size:           8
        .value_kind:     global_buffer
      - .offset:         56
        .size:           8
        .value_kind:     by_value
      - .offset:         64
        .size:           8
        .value_kind:     by_value
      - .offset:         72
        .size:           8
        .value_kind:     by_value
      - .offset:         80
        .size:           4
        .value_kind:     by_value
    .group_segment_fixed_size: 0
    .kernarg_segment_align: 8
    .kernarg_segment_size: 84
    .language:       OpenCL C
    .language_version:
      - 2
      - 0
    .max_flat_workgroup_size: 1024
    .name:           _ZN12_GLOBAL__N_120gemm_ex_scale_kernelILi32ELi32E19rocblas_complex_numIfEPKS2_PS2_EEviiT1_T2_lllT3_llli
    .private_segment_fixed_size: 0
    .sgpr_count:     30
    .sgpr_spill_count: 0
    .symbol:         _ZN12_GLOBAL__N_120gemm_ex_scale_kernelILi32ELi32E19rocblas_complex_numIfEPKS2_PS2_EEviiT1_T2_lllT3_llli.kd
    .uniform_work_group_size: 1
    .uses_dynamic_stack: false
    .vgpr_count:     9
    .vgpr_spill_count: 0
    .wavefront_size: 32
    .workgroup_processor_mode: 1
  - .args:
      - .offset:         0
        .size:           8
        .value_kind:     by_value
      - .offset:         8
        .size:           8
        .value_kind:     by_value
      - .offset:         16
        .size:           8
        .value_kind:     by_value
      - .offset:         24
        .size:           8
        .value_kind:     by_value
      - .address_space:  global
        .offset:         32
        .size:           8
        .value_kind:     global_buffer
      - .offset:         40
        .size:           8
        .value_kind:     by_value
      - .offset:         48
        .size:           8
        .value_kind:     by_value
      - .address_space:  global
        .offset:         56
        .size:           8
        .value_kind:     global_buffer
      - .offset:         64
        .size:           8
        .value_kind:     by_value
      - .offset:         72
        .size:           8
        .value_kind:     by_value
      - .offset:         80
        .size:           8
        .value_kind:     by_value
      - .address_space:  global
        .offset:         88
        .size:           8
        .value_kind:     global_buffer
      - .offset:         96
        .size:           8
        .value_kind:     by_value
      - .offset:         104
        .size:           8
        .value_kind:     by_value
      - .address_space:  global
        .offset:         112
        .size:           8
        .value_kind:     global_buffer
      - .offset:         120
        .size:           8
        .value_kind:     by_value
      - .offset:         128
        .size:           8
        .value_kind:     by_value
      - .offset:         136
        .size:           4
        .value_kind:     by_value
    .group_segment_fixed_size: 4096
    .kernarg_segment_align: 8
    .kernarg_segment_size: 140
    .language:       OpenCL C
    .language_version:
      - 2
      - 0
    .max_flat_workgroup_size: 256
    .name:           _ZN12_GLOBAL__N_127rocblas_gemm_batched_kernelI19rocblas_complex_numIfELi16ELi16ELi64ELi64ELi4ELi64ELi4ELi4ELi64ELc78ELc78EKS2_S3_S2_EEvlllT_PT11_llS6_llS4_PT12_llPT13_lli
    .private_segment_fixed_size: 0
    .sgpr_count:     34
    .sgpr_spill_count: 0
    .symbol:         _ZN12_GLOBAL__N_127rocblas_gemm_batched_kernelI19rocblas_complex_numIfELi16ELi16ELi64ELi64ELi4ELi64ELi4ELi4ELi64ELc78ELc78EKS2_S3_S2_EEvlllT_PT11_llS6_llS4_PT12_llPT13_lli.kd
    .uniform_work_group_size: 1
    .uses_dynamic_stack: false
    .vgpr_count:     188
    .vgpr_spill_count: 0
    .wavefront_size: 32
    .workgroup_processor_mode: 1
  - .args:
      - .offset:         0
        .size:           8
        .value_kind:     by_value
      - .offset:         8
        .size:           8
        .value_kind:     by_value
      - .offset:         16
        .size:           8
        .value_kind:     by_value
      - .offset:         24
        .size:           8
        .value_kind:     by_value
      - .address_space:  global
        .offset:         32
        .size:           8
        .value_kind:     global_buffer
      - .offset:         40
        .size:           8
        .value_kind:     by_value
      - .offset:         48
        .size:           8
        .value_kind:     by_value
      - .address_space:  global
        .offset:         56
        .size:           8
        .value_kind:     global_buffer
      - .offset:         64
        .size:           8
        .value_kind:     by_value
      - .offset:         72
        .size:           8
        .value_kind:     by_value
      - .offset:         80
        .size:           8
        .value_kind:     by_value
      - .address_space:  global
        .offset:         88
        .size:           8
        .value_kind:     global_buffer
      - .offset:         96
        .size:           8
        .value_kind:     by_value
      - .offset:         104
        .size:           8
        .value_kind:     by_value
      - .address_space:  global
        .offset:         112
        .size:           8
        .value_kind:     global_buffer
      - .offset:         120
        .size:           8
        .value_kind:     by_value
      - .offset:         128
        .size:           8
        .value_kind:     by_value
      - .offset:         136
        .size:           4
        .value_kind:     by_value
    .group_segment_fixed_size: 4096
    .kernarg_segment_align: 8
    .kernarg_segment_size: 140
    .language:       OpenCL C
    .language_version:
      - 2
      - 0
    .max_flat_workgroup_size: 256
    .name:           _ZN12_GLOBAL__N_127rocblas_gemm_batched_kernelI19rocblas_complex_numIfELi16ELi16ELi64ELi64ELi4ELi64ELi4ELi4ELi64ELc84ELc78EKS2_S3_S2_EEvlllT_PT11_llS6_llS4_PT12_llPT13_lli
    .private_segment_fixed_size: 0
    .sgpr_count:     34
    .sgpr_spill_count: 0
    .symbol:         _ZN12_GLOBAL__N_127rocblas_gemm_batched_kernelI19rocblas_complex_numIfELi16ELi16ELi64ELi64ELi4ELi64ELi4ELi4ELi64ELc84ELc78EKS2_S3_S2_EEvlllT_PT11_llS6_llS4_PT12_llPT13_lli.kd
    .uniform_work_group_size: 1
    .uses_dynamic_stack: false
    .vgpr_count:     188
    .vgpr_spill_count: 0
    .wavefront_size: 32
    .workgroup_processor_mode: 1
  - .args:
      - .offset:         0
        .size:           8
        .value_kind:     by_value
      - .offset:         8
        .size:           8
        .value_kind:     by_value
      - .offset:         16
        .size:           8
        .value_kind:     by_value
      - .offset:         24
        .size:           8
        .value_kind:     by_value
      - .address_space:  global
        .offset:         32
        .size:           8
        .value_kind:     global_buffer
      - .offset:         40
        .size:           8
        .value_kind:     by_value
      - .offset:         48
        .size:           8
        .value_kind:     by_value
      - .address_space:  global
        .offset:         56
        .size:           8
        .value_kind:     global_buffer
      - .offset:         64
        .size:           8
        .value_kind:     by_value
      - .offset:         72
        .size:           8
        .value_kind:     by_value
      - .offset:         80
        .size:           8
        .value_kind:     by_value
      - .address_space:  global
        .offset:         88
        .size:           8
        .value_kind:     global_buffer
      - .offset:         96
        .size:           8
        .value_kind:     by_value
      - .offset:         104
        .size:           8
        .value_kind:     by_value
      - .address_space:  global
        .offset:         112
        .size:           8
        .value_kind:     global_buffer
      - .offset:         120
        .size:           8
        .value_kind:     by_value
      - .offset:         128
        .size:           8
        .value_kind:     by_value
      - .offset:         136
        .size:           4
        .value_kind:     by_value
    .group_segment_fixed_size: 4096
    .kernarg_segment_align: 8
    .kernarg_segment_size: 140
    .language:       OpenCL C
    .language_version:
      - 2
      - 0
    .max_flat_workgroup_size: 256
    .name:           _ZN12_GLOBAL__N_127rocblas_gemm_batched_kernelI19rocblas_complex_numIfELi16ELi16ELi64ELi64ELi4ELi64ELi4ELi4ELi64ELc78ELc84EKS2_S3_S2_EEvlllT_PT11_llS6_llS4_PT12_llPT13_lli
    .private_segment_fixed_size: 0
    .sgpr_count:     34
    .sgpr_spill_count: 0
    .symbol:         _ZN12_GLOBAL__N_127rocblas_gemm_batched_kernelI19rocblas_complex_numIfELi16ELi16ELi64ELi64ELi4ELi64ELi4ELi4ELi64ELc78ELc84EKS2_S3_S2_EEvlllT_PT11_llS6_llS4_PT12_llPT13_lli.kd
    .uniform_work_group_size: 1
    .uses_dynamic_stack: false
    .vgpr_count:     188
    .vgpr_spill_count: 0
    .wavefront_size: 32
    .workgroup_processor_mode: 1
  - .args:
      - .offset:         0
        .size:           8
        .value_kind:     by_value
      - .offset:         8
        .size:           8
        .value_kind:     by_value
      - .offset:         16
        .size:           8
        .value_kind:     by_value
      - .offset:         24
        .size:           8
        .value_kind:     by_value
      - .address_space:  global
        .offset:         32
        .size:           8
        .value_kind:     global_buffer
      - .offset:         40
        .size:           8
        .value_kind:     by_value
      - .offset:         48
        .size:           8
        .value_kind:     by_value
      - .address_space:  global
        .offset:         56
        .size:           8
        .value_kind:     global_buffer
      - .offset:         64
        .size:           8
        .value_kind:     by_value
      - .offset:         72
        .size:           8
        .value_kind:     by_value
      - .offset:         80
        .size:           8
        .value_kind:     by_value
      - .address_space:  global
        .offset:         88
        .size:           8
        .value_kind:     global_buffer
      - .offset:         96
        .size:           8
        .value_kind:     by_value
      - .offset:         104
        .size:           8
        .value_kind:     by_value
      - .address_space:  global
        .offset:         112
        .size:           8
        .value_kind:     global_buffer
      - .offset:         120
        .size:           8
        .value_kind:     by_value
      - .offset:         128
        .size:           8
        .value_kind:     by_value
      - .offset:         136
        .size:           4
        .value_kind:     by_value
    .group_segment_fixed_size: 4096
    .kernarg_segment_align: 8
    .kernarg_segment_size: 140
    .language:       OpenCL C
    .language_version:
      - 2
      - 0
    .max_flat_workgroup_size: 256
    .name:           _ZN12_GLOBAL__N_127rocblas_gemm_batched_kernelI19rocblas_complex_numIfELi16ELi16ELi64ELi64ELi4ELi64ELi4ELi4ELi64ELc84ELc84EKS2_S3_S2_EEvlllT_PT11_llS6_llS4_PT12_llPT13_lli
    .private_segment_fixed_size: 0
    .sgpr_count:     34
    .sgpr_spill_count: 0
    .symbol:         _ZN12_GLOBAL__N_127rocblas_gemm_batched_kernelI19rocblas_complex_numIfELi16ELi16ELi64ELi64ELi4ELi64ELi4ELi4ELi64ELc84ELc84EKS2_S3_S2_EEvlllT_PT11_llS6_llS4_PT12_llPT13_lli.kd
    .uniform_work_group_size: 1
    .uses_dynamic_stack: false
    .vgpr_count:     188
    .vgpr_spill_count: 0
    .wavefront_size: 32
    .workgroup_processor_mode: 1
  - .args:
      - .offset:         0
        .size:           8
        .value_kind:     by_value
      - .offset:         8
        .size:           8
        .value_kind:     by_value
      - .offset:         16
        .size:           8
        .value_kind:     by_value
      - .offset:         24
        .size:           8
        .value_kind:     by_value
      - .address_space:  global
        .offset:         32
        .size:           8
        .value_kind:     global_buffer
      - .offset:         40
        .size:           8
        .value_kind:     by_value
      - .offset:         48
        .size:           8
        .value_kind:     by_value
      - .address_space:  global
        .offset:         56
        .size:           8
        .value_kind:     global_buffer
      - .offset:         64
        .size:           8
        .value_kind:     by_value
      - .offset:         72
        .size:           8
        .value_kind:     by_value
      - .offset:         80
        .size:           8
        .value_kind:     by_value
      - .address_space:  global
        .offset:         88
        .size:           8
        .value_kind:     global_buffer
      - .offset:         96
        .size:           8
        .value_kind:     by_value
      - .offset:         104
        .size:           8
        .value_kind:     by_value
      - .address_space:  global
        .offset:         112
        .size:           8
        .value_kind:     global_buffer
      - .offset:         120
        .size:           8
        .value_kind:     by_value
      - .offset:         128
        .size:           8
        .value_kind:     by_value
      - .offset:         136
        .size:           4
        .value_kind:     by_value
    .group_segment_fixed_size: 4096
    .kernarg_segment_align: 8
    .kernarg_segment_size: 140
    .language:       OpenCL C
    .language_version:
      - 2
      - 0
    .max_flat_workgroup_size: 256
    .name:           _ZN12_GLOBAL__N_127rocblas_gemm_batched_kernelI19rocblas_complex_numIfELi16ELi16ELi64ELi64ELi4ELi64ELi4ELi4ELi64ELc67ELc67EKS2_S3_S2_EEvlllT_PT11_llS6_llS4_PT12_llPT13_lli
    .private_segment_fixed_size: 0
    .sgpr_count:     34
    .sgpr_spill_count: 0
    .symbol:         _ZN12_GLOBAL__N_127rocblas_gemm_batched_kernelI19rocblas_complex_numIfELi16ELi16ELi64ELi64ELi4ELi64ELi4ELi4ELi64ELc67ELc67EKS2_S3_S2_EEvlllT_PT11_llS6_llS4_PT12_llPT13_lli.kd
    .uniform_work_group_size: 1
    .uses_dynamic_stack: false
    .vgpr_count:     188
    .vgpr_spill_count: 0
    .wavefront_size: 32
    .workgroup_processor_mode: 1
  - .args:
      - .offset:         0
        .size:           8
        .value_kind:     by_value
      - .offset:         8
        .size:           8
        .value_kind:     by_value
      - .offset:         16
        .size:           8
        .value_kind:     by_value
      - .offset:         24
        .size:           8
        .value_kind:     by_value
      - .address_space:  global
        .offset:         32
        .size:           8
        .value_kind:     global_buffer
      - .offset:         40
        .size:           8
        .value_kind:     by_value
      - .offset:         48
        .size:           8
        .value_kind:     by_value
      - .address_space:  global
        .offset:         56
        .size:           8
        .value_kind:     global_buffer
      - .offset:         64
        .size:           8
        .value_kind:     by_value
      - .offset:         72
        .size:           8
        .value_kind:     by_value
      - .offset:         80
        .size:           8
        .value_kind:     by_value
      - .address_space:  global
        .offset:         88
        .size:           8
        .value_kind:     global_buffer
      - .offset:         96
        .size:           8
        .value_kind:     by_value
      - .offset:         104
        .size:           8
        .value_kind:     by_value
      - .address_space:  global
        .offset:         112
        .size:           8
        .value_kind:     global_buffer
      - .offset:         120
        .size:           8
        .value_kind:     by_value
      - .offset:         128
        .size:           8
        .value_kind:     by_value
      - .offset:         136
        .size:           4
        .value_kind:     by_value
    .group_segment_fixed_size: 4096
    .kernarg_segment_align: 8
    .kernarg_segment_size: 140
    .language:       OpenCL C
    .language_version:
      - 2
      - 0
    .max_flat_workgroup_size: 256
    .name:           _ZN12_GLOBAL__N_127rocblas_gemm_batched_kernelI19rocblas_complex_numIfELi16ELi16ELi64ELi64ELi4ELi64ELi4ELi4ELi64ELc67ELc78EKS2_S3_S2_EEvlllT_PT11_llS6_llS4_PT12_llPT13_lli
    .private_segment_fixed_size: 0
    .sgpr_count:     34
    .sgpr_spill_count: 0
    .symbol:         _ZN12_GLOBAL__N_127rocblas_gemm_batched_kernelI19rocblas_complex_numIfELi16ELi16ELi64ELi64ELi4ELi64ELi4ELi4ELi64ELc67ELc78EKS2_S3_S2_EEvlllT_PT11_llS6_llS4_PT12_llPT13_lli.kd
    .uniform_work_group_size: 1
    .uses_dynamic_stack: false
    .vgpr_count:     188
    .vgpr_spill_count: 0
    .wavefront_size: 32
    .workgroup_processor_mode: 1
  - .args:
      - .offset:         0
        .size:           8
        .value_kind:     by_value
      - .offset:         8
        .size:           8
        .value_kind:     by_value
      - .offset:         16
        .size:           8
        .value_kind:     by_value
      - .offset:         24
        .size:           8
        .value_kind:     by_value
      - .address_space:  global
        .offset:         32
        .size:           8
        .value_kind:     global_buffer
      - .offset:         40
        .size:           8
        .value_kind:     by_value
      - .offset:         48
        .size:           8
        .value_kind:     by_value
      - .address_space:  global
        .offset:         56
        .size:           8
        .value_kind:     global_buffer
      - .offset:         64
        .size:           8
        .value_kind:     by_value
      - .offset:         72
        .size:           8
        .value_kind:     by_value
      - .offset:         80
        .size:           8
        .value_kind:     by_value
      - .address_space:  global
        .offset:         88
        .size:           8
        .value_kind:     global_buffer
      - .offset:         96
        .size:           8
        .value_kind:     by_value
      - .offset:         104
        .size:           8
        .value_kind:     by_value
      - .address_space:  global
        .offset:         112
        .size:           8
        .value_kind:     global_buffer
      - .offset:         120
        .size:           8
        .value_kind:     by_value
      - .offset:         128
        .size:           8
        .value_kind:     by_value
      - .offset:         136
        .size:           4
        .value_kind:     by_value
    .group_segment_fixed_size: 4096
    .kernarg_segment_align: 8
    .kernarg_segment_size: 140
    .language:       OpenCL C
    .language_version:
      - 2
      - 0
    .max_flat_workgroup_size: 256
    .name:           _ZN12_GLOBAL__N_127rocblas_gemm_batched_kernelI19rocblas_complex_numIfELi16ELi16ELi64ELi64ELi4ELi64ELi4ELi4ELi64ELc67ELc84EKS2_S3_S2_EEvlllT_PT11_llS6_llS4_PT12_llPT13_lli
    .private_segment_fixed_size: 0
    .sgpr_count:     34
    .sgpr_spill_count: 0
    .symbol:         _ZN12_GLOBAL__N_127rocblas_gemm_batched_kernelI19rocblas_complex_numIfELi16ELi16ELi64ELi64ELi4ELi64ELi4ELi4ELi64ELc67ELc84EKS2_S3_S2_EEvlllT_PT11_llS6_llS4_PT12_llPT13_lli.kd
    .uniform_work_group_size: 1
    .uses_dynamic_stack: false
    .vgpr_count:     188
    .vgpr_spill_count: 0
    .wavefront_size: 32
    .workgroup_processor_mode: 1
  - .args:
      - .offset:         0
        .size:           8
        .value_kind:     by_value
      - .offset:         8
        .size:           8
        .value_kind:     by_value
      - .offset:         16
        .size:           8
        .value_kind:     by_value
      - .offset:         24
        .size:           8
        .value_kind:     by_value
      - .address_space:  global
        .offset:         32
        .size:           8
        .value_kind:     global_buffer
      - .offset:         40
        .size:           8
        .value_kind:     by_value
      - .offset:         48
        .size:           8
        .value_kind:     by_value
      - .address_space:  global
        .offset:         56
        .size:           8
        .value_kind:     global_buffer
      - .offset:         64
        .size:           8
        .value_kind:     by_value
      - .offset:         72
        .size:           8
        .value_kind:     by_value
      - .offset:         80
        .size:           8
        .value_kind:     by_value
      - .address_space:  global
        .offset:         88
        .size:           8
        .value_kind:     global_buffer
      - .offset:         96
        .size:           8
        .value_kind:     by_value
      - .offset:         104
        .size:           8
        .value_kind:     by_value
      - .address_space:  global
        .offset:         112
        .size:           8
        .value_kind:     global_buffer
      - .offset:         120
        .size:           8
        .value_kind:     by_value
      - .offset:         128
        .size:           8
        .value_kind:     by_value
      - .offset:         136
        .size:           4
        .value_kind:     by_value
    .group_segment_fixed_size: 4096
    .kernarg_segment_align: 8
    .kernarg_segment_size: 140
    .language:       OpenCL C
    .language_version:
      - 2
      - 0
    .max_flat_workgroup_size: 256
    .name:           _ZN12_GLOBAL__N_127rocblas_gemm_batched_kernelI19rocblas_complex_numIfELi16ELi16ELi64ELi64ELi4ELi64ELi4ELi4ELi64ELc78ELc67EKS2_S3_S2_EEvlllT_PT11_llS6_llS4_PT12_llPT13_lli
    .private_segment_fixed_size: 0
    .sgpr_count:     34
    .sgpr_spill_count: 0
    .symbol:         _ZN12_GLOBAL__N_127rocblas_gemm_batched_kernelI19rocblas_complex_numIfELi16ELi16ELi64ELi64ELi4ELi64ELi4ELi4ELi64ELc78ELc67EKS2_S3_S2_EEvlllT_PT11_llS6_llS4_PT12_llPT13_lli.kd
    .uniform_work_group_size: 1
    .uses_dynamic_stack: false
    .vgpr_count:     188
    .vgpr_spill_count: 0
    .wavefront_size: 32
    .workgroup_processor_mode: 1
  - .args:
      - .offset:         0
        .size:           8
        .value_kind:     by_value
      - .offset:         8
        .size:           8
        .value_kind:     by_value
      - .offset:         16
        .size:           8
        .value_kind:     by_value
      - .offset:         24
        .size:           8
        .value_kind:     by_value
      - .address_space:  global
        .offset:         32
        .size:           8
        .value_kind:     global_buffer
      - .offset:         40
        .size:           8
        .value_kind:     by_value
      - .offset:         48
        .size:           8
        .value_kind:     by_value
      - .address_space:  global
        .offset:         56
        .size:           8
        .value_kind:     global_buffer
      - .offset:         64
        .size:           8
        .value_kind:     by_value
      - .offset:         72
        .size:           8
        .value_kind:     by_value
      - .offset:         80
        .size:           8
        .value_kind:     by_value
      - .address_space:  global
        .offset:         88
        .size:           8
        .value_kind:     global_buffer
      - .offset:         96
        .size:           8
        .value_kind:     by_value
      - .offset:         104
        .size:           8
        .value_kind:     by_value
      - .address_space:  global
        .offset:         112
        .size:           8
        .value_kind:     global_buffer
      - .offset:         120
        .size:           8
        .value_kind:     by_value
      - .offset:         128
        .size:           8
        .value_kind:     by_value
      - .offset:         136
        .size:           4
        .value_kind:     by_value
    .group_segment_fixed_size: 4096
    .kernarg_segment_align: 8
    .kernarg_segment_size: 140
    .language:       OpenCL C
    .language_version:
      - 2
      - 0
    .max_flat_workgroup_size: 256
    .name:           _ZN12_GLOBAL__N_127rocblas_gemm_batched_kernelI19rocblas_complex_numIfELi16ELi16ELi64ELi64ELi4ELi64ELi4ELi4ELi64ELc84ELc67EKS2_S3_S2_EEvlllT_PT11_llS6_llS4_PT12_llPT13_lli
    .private_segment_fixed_size: 0
    .sgpr_count:     34
    .sgpr_spill_count: 0
    .symbol:         _ZN12_GLOBAL__N_127rocblas_gemm_batched_kernelI19rocblas_complex_numIfELi16ELi16ELi64ELi64ELi4ELi64ELi4ELi4ELi64ELc84ELc67EKS2_S3_S2_EEvlllT_PT11_llS6_llS4_PT12_llPT13_lli.kd
    .uniform_work_group_size: 1
    .uses_dynamic_stack: false
    .vgpr_count:     188
    .vgpr_spill_count: 0
    .wavefront_size: 32
    .workgroup_processor_mode: 1
  - .args:
      - .offset:         0
        .size:           8
        .value_kind:     by_value
      - .offset:         8
        .size:           8
        .value_kind:     by_value
      - .offset:         16
        .size:           8
        .value_kind:     by_value
      - .offset:         24
        .size:           8
        .value_kind:     by_value
      - .address_space:  global
        .offset:         32
        .size:           8
        .value_kind:     global_buffer
      - .offset:         40
        .size:           8
        .value_kind:     by_value
      - .offset:         48
        .size:           8
        .value_kind:     by_value
      - .address_space:  global
        .offset:         56
        .size:           8
        .value_kind:     global_buffer
      - .offset:         64
        .size:           8
        .value_kind:     by_value
      - .offset:         72
        .size:           8
        .value_kind:     by_value
      - .offset:         80
        .size:           8
        .value_kind:     by_value
      - .address_space:  global
        .offset:         88
        .size:           8
        .value_kind:     global_buffer
      - .offset:         96
        .size:           8
        .value_kind:     by_value
      - .offset:         104
        .size:           8
        .value_kind:     by_value
      - .address_space:  global
        .offset:         112
        .size:           8
        .value_kind:     global_buffer
      - .offset:         120
        .size:           8
        .value_kind:     by_value
      - .offset:         128
        .size:           8
        .value_kind:     by_value
      - .offset:         136
        .size:           4
        .value_kind:     by_value
    .group_segment_fixed_size: 4096
    .kernarg_segment_align: 8
    .kernarg_segment_size: 140
    .language:       OpenCL C
    .language_version:
      - 2
      - 0
    .max_flat_workgroup_size: 256
    .name:           _ZN12_GLOBAL__N_127rocblas_gemm_batched_kernelI19rocblas_complex_numIfELi16ELi16ELi32ELi32ELi8ELi32ELi8ELi8ELi32ELc78ELc78EKS2_S3_S2_EEvlllT_PT11_llS6_llS4_PT12_llPT13_lli
    .private_segment_fixed_size: 0
    .sgpr_count:     34
    .sgpr_spill_count: 0
    .symbol:         _ZN12_GLOBAL__N_127rocblas_gemm_batched_kernelI19rocblas_complex_numIfELi16ELi16ELi32ELi32ELi8ELi32ELi8ELi8ELi32ELc78ELc78EKS2_S3_S2_EEvlllT_PT11_llS6_llS4_PT12_llPT13_lli.kd
    .uniform_work_group_size: 1
    .uses_dynamic_stack: false
    .vgpr_count:     92
    .vgpr_spill_count: 0
    .wavefront_size: 32
    .workgroup_processor_mode: 1
  - .args:
      - .offset:         0
        .size:           8
        .value_kind:     by_value
      - .offset:         8
        .size:           8
        .value_kind:     by_value
      - .offset:         16
        .size:           8
        .value_kind:     by_value
      - .offset:         24
        .size:           8
        .value_kind:     by_value
      - .address_space:  global
        .offset:         32
        .size:           8
        .value_kind:     global_buffer
      - .offset:         40
        .size:           8
        .value_kind:     by_value
      - .offset:         48
        .size:           8
        .value_kind:     by_value
      - .address_space:  global
        .offset:         56
        .size:           8
        .value_kind:     global_buffer
      - .offset:         64
        .size:           8
        .value_kind:     by_value
      - .offset:         72
        .size:           8
        .value_kind:     by_value
      - .offset:         80
        .size:           8
        .value_kind:     by_value
      - .address_space:  global
        .offset:         88
        .size:           8
        .value_kind:     global_buffer
      - .offset:         96
        .size:           8
        .value_kind:     by_value
      - .offset:         104
        .size:           8
        .value_kind:     by_value
      - .address_space:  global
        .offset:         112
        .size:           8
        .value_kind:     global_buffer
      - .offset:         120
        .size:           8
        .value_kind:     by_value
      - .offset:         128
        .size:           8
        .value_kind:     by_value
      - .offset:         136
        .size:           4
        .value_kind:     by_value
    .group_segment_fixed_size: 4096
    .kernarg_segment_align: 8
    .kernarg_segment_size: 140
    .language:       OpenCL C
    .language_version:
      - 2
      - 0
    .max_flat_workgroup_size: 256
    .name:           _ZN12_GLOBAL__N_127rocblas_gemm_batched_kernelI19rocblas_complex_numIfELi16ELi16ELi32ELi32ELi8ELi32ELi8ELi8ELi32ELc84ELc78EKS2_S3_S2_EEvlllT_PT11_llS6_llS4_PT12_llPT13_lli
    .private_segment_fixed_size: 0
    .sgpr_count:     34
    .sgpr_spill_count: 0
    .symbol:         _ZN12_GLOBAL__N_127rocblas_gemm_batched_kernelI19rocblas_complex_numIfELi16ELi16ELi32ELi32ELi8ELi32ELi8ELi8ELi32ELc84ELc78EKS2_S3_S2_EEvlllT_PT11_llS6_llS4_PT12_llPT13_lli.kd
    .uniform_work_group_size: 1
    .uses_dynamic_stack: false
    .vgpr_count:     92
    .vgpr_spill_count: 0
    .wavefront_size: 32
    .workgroup_processor_mode: 1
  - .args:
      - .offset:         0
        .size:           8
        .value_kind:     by_value
      - .offset:         8
        .size:           8
        .value_kind:     by_value
      - .offset:         16
        .size:           8
        .value_kind:     by_value
      - .offset:         24
        .size:           8
        .value_kind:     by_value
      - .address_space:  global
        .offset:         32
        .size:           8
        .value_kind:     global_buffer
      - .offset:         40
        .size:           8
        .value_kind:     by_value
      - .offset:         48
        .size:           8
        .value_kind:     by_value
      - .address_space:  global
        .offset:         56
        .size:           8
        .value_kind:     global_buffer
      - .offset:         64
        .size:           8
        .value_kind:     by_value
      - .offset:         72
        .size:           8
        .value_kind:     by_value
      - .offset:         80
        .size:           8
        .value_kind:     by_value
      - .address_space:  global
        .offset:         88
        .size:           8
        .value_kind:     global_buffer
      - .offset:         96
        .size:           8
        .value_kind:     by_value
      - .offset:         104
        .size:           8
        .value_kind:     by_value
      - .address_space:  global
        .offset:         112
        .size:           8
        .value_kind:     global_buffer
      - .offset:         120
        .size:           8
        .value_kind:     by_value
      - .offset:         128
        .size:           8
        .value_kind:     by_value
      - .offset:         136
        .size:           4
        .value_kind:     by_value
    .group_segment_fixed_size: 4096
    .kernarg_segment_align: 8
    .kernarg_segment_size: 140
    .language:       OpenCL C
    .language_version:
      - 2
      - 0
    .max_flat_workgroup_size: 256
    .name:           _ZN12_GLOBAL__N_127rocblas_gemm_batched_kernelI19rocblas_complex_numIfELi16ELi16ELi32ELi32ELi8ELi32ELi8ELi8ELi32ELc78ELc84EKS2_S3_S2_EEvlllT_PT11_llS6_llS4_PT12_llPT13_lli
    .private_segment_fixed_size: 0
    .sgpr_count:     34
    .sgpr_spill_count: 0
    .symbol:         _ZN12_GLOBAL__N_127rocblas_gemm_batched_kernelI19rocblas_complex_numIfELi16ELi16ELi32ELi32ELi8ELi32ELi8ELi8ELi32ELc78ELc84EKS2_S3_S2_EEvlllT_PT11_llS6_llS4_PT12_llPT13_lli.kd
    .uniform_work_group_size: 1
    .uses_dynamic_stack: false
    .vgpr_count:     92
    .vgpr_spill_count: 0
    .wavefront_size: 32
    .workgroup_processor_mode: 1
  - .args:
      - .offset:         0
        .size:           8
        .value_kind:     by_value
      - .offset:         8
        .size:           8
        .value_kind:     by_value
      - .offset:         16
        .size:           8
        .value_kind:     by_value
      - .offset:         24
        .size:           8
        .value_kind:     by_value
      - .address_space:  global
        .offset:         32
        .size:           8
        .value_kind:     global_buffer
      - .offset:         40
        .size:           8
        .value_kind:     by_value
      - .offset:         48
        .size:           8
        .value_kind:     by_value
      - .address_space:  global
        .offset:         56
        .size:           8
        .value_kind:     global_buffer
      - .offset:         64
        .size:           8
        .value_kind:     by_value
      - .offset:         72
        .size:           8
        .value_kind:     by_value
      - .offset:         80
        .size:           8
        .value_kind:     by_value
      - .address_space:  global
        .offset:         88
        .size:           8
        .value_kind:     global_buffer
      - .offset:         96
        .size:           8
        .value_kind:     by_value
      - .offset:         104
        .size:           8
        .value_kind:     by_value
      - .address_space:  global
        .offset:         112
        .size:           8
        .value_kind:     global_buffer
      - .offset:         120
        .size:           8
        .value_kind:     by_value
      - .offset:         128
        .size:           8
        .value_kind:     by_value
      - .offset:         136
        .size:           4
        .value_kind:     by_value
    .group_segment_fixed_size: 4096
    .kernarg_segment_align: 8
    .kernarg_segment_size: 140
    .language:       OpenCL C
    .language_version:
      - 2
      - 0
    .max_flat_workgroup_size: 256
    .name:           _ZN12_GLOBAL__N_127rocblas_gemm_batched_kernelI19rocblas_complex_numIfELi16ELi16ELi32ELi32ELi8ELi32ELi8ELi8ELi32ELc84ELc84EKS2_S3_S2_EEvlllT_PT11_llS6_llS4_PT12_llPT13_lli
    .private_segment_fixed_size: 0
    .sgpr_count:     34
    .sgpr_spill_count: 0
    .symbol:         _ZN12_GLOBAL__N_127rocblas_gemm_batched_kernelI19rocblas_complex_numIfELi16ELi16ELi32ELi32ELi8ELi32ELi8ELi8ELi32ELc84ELc84EKS2_S3_S2_EEvlllT_PT11_llS6_llS4_PT12_llPT13_lli.kd
    .uniform_work_group_size: 1
    .uses_dynamic_stack: false
    .vgpr_count:     92
    .vgpr_spill_count: 0
    .wavefront_size: 32
    .workgroup_processor_mode: 1
  - .args:
      - .offset:         0
        .size:           8
        .value_kind:     by_value
      - .offset:         8
        .size:           8
        .value_kind:     by_value
      - .offset:         16
        .size:           8
        .value_kind:     by_value
      - .offset:         24
        .size:           8
        .value_kind:     by_value
      - .address_space:  global
        .offset:         32
        .size:           8
        .value_kind:     global_buffer
      - .offset:         40
        .size:           8
        .value_kind:     by_value
      - .offset:         48
        .size:           8
        .value_kind:     by_value
      - .address_space:  global
        .offset:         56
        .size:           8
        .value_kind:     global_buffer
      - .offset:         64
        .size:           8
        .value_kind:     by_value
      - .offset:         72
        .size:           8
        .value_kind:     by_value
      - .offset:         80
        .size:           8
        .value_kind:     by_value
      - .address_space:  global
        .offset:         88
        .size:           8
        .value_kind:     global_buffer
      - .offset:         96
        .size:           8
        .value_kind:     by_value
      - .offset:         104
        .size:           8
        .value_kind:     by_value
      - .address_space:  global
        .offset:         112
        .size:           8
        .value_kind:     global_buffer
      - .offset:         120
        .size:           8
        .value_kind:     by_value
      - .offset:         128
        .size:           8
        .value_kind:     by_value
      - .offset:         136
        .size:           4
        .value_kind:     by_value
    .group_segment_fixed_size: 4096
    .kernarg_segment_align: 8
    .kernarg_segment_size: 140
    .language:       OpenCL C
    .language_version:
      - 2
      - 0
    .max_flat_workgroup_size: 256
    .name:           _ZN12_GLOBAL__N_127rocblas_gemm_batched_kernelI19rocblas_complex_numIfELi16ELi16ELi32ELi32ELi8ELi32ELi8ELi8ELi32ELc67ELc67EKS2_S3_S2_EEvlllT_PT11_llS6_llS4_PT12_llPT13_lli
    .private_segment_fixed_size: 0
    .sgpr_count:     34
    .sgpr_spill_count: 0
    .symbol:         _ZN12_GLOBAL__N_127rocblas_gemm_batched_kernelI19rocblas_complex_numIfELi16ELi16ELi32ELi32ELi8ELi32ELi8ELi8ELi32ELc67ELc67EKS2_S3_S2_EEvlllT_PT11_llS6_llS4_PT12_llPT13_lli.kd
    .uniform_work_group_size: 1
    .uses_dynamic_stack: false
    .vgpr_count:     92
    .vgpr_spill_count: 0
    .wavefront_size: 32
    .workgroup_processor_mode: 1
  - .args:
      - .offset:         0
        .size:           8
        .value_kind:     by_value
      - .offset:         8
        .size:           8
        .value_kind:     by_value
      - .offset:         16
        .size:           8
        .value_kind:     by_value
      - .offset:         24
        .size:           8
        .value_kind:     by_value
      - .address_space:  global
        .offset:         32
        .size:           8
        .value_kind:     global_buffer
      - .offset:         40
        .size:           8
        .value_kind:     by_value
      - .offset:         48
        .size:           8
        .value_kind:     by_value
      - .address_space:  global
        .offset:         56
        .size:           8
        .value_kind:     global_buffer
      - .offset:         64
        .size:           8
        .value_kind:     by_value
      - .offset:         72
        .size:           8
        .value_kind:     by_value
      - .offset:         80
        .size:           8
        .value_kind:     by_value
      - .address_space:  global
        .offset:         88
        .size:           8
        .value_kind:     global_buffer
      - .offset:         96
        .size:           8
        .value_kind:     by_value
      - .offset:         104
        .size:           8
        .value_kind:     by_value
      - .address_space:  global
        .offset:         112
        .size:           8
        .value_kind:     global_buffer
      - .offset:         120
        .size:           8
        .value_kind:     by_value
      - .offset:         128
        .size:           8
        .value_kind:     by_value
      - .offset:         136
        .size:           4
        .value_kind:     by_value
    .group_segment_fixed_size: 4096
    .kernarg_segment_align: 8
    .kernarg_segment_size: 140
    .language:       OpenCL C
    .language_version:
      - 2
      - 0
    .max_flat_workgroup_size: 256
    .name:           _ZN12_GLOBAL__N_127rocblas_gemm_batched_kernelI19rocblas_complex_numIfELi16ELi16ELi32ELi32ELi8ELi32ELi8ELi8ELi32ELc67ELc78EKS2_S3_S2_EEvlllT_PT11_llS6_llS4_PT12_llPT13_lli
    .private_segment_fixed_size: 0
    .sgpr_count:     34
    .sgpr_spill_count: 0
    .symbol:         _ZN12_GLOBAL__N_127rocblas_gemm_batched_kernelI19rocblas_complex_numIfELi16ELi16ELi32ELi32ELi8ELi32ELi8ELi8ELi32ELc67ELc78EKS2_S3_S2_EEvlllT_PT11_llS6_llS4_PT12_llPT13_lli.kd
    .uniform_work_group_size: 1
    .uses_dynamic_stack: false
    .vgpr_count:     92
    .vgpr_spill_count: 0
    .wavefront_size: 32
    .workgroup_processor_mode: 1
  - .args:
      - .offset:         0
        .size:           8
        .value_kind:     by_value
      - .offset:         8
        .size:           8
        .value_kind:     by_value
      - .offset:         16
        .size:           8
        .value_kind:     by_value
      - .offset:         24
        .size:           8
        .value_kind:     by_value
      - .address_space:  global
        .offset:         32
        .size:           8
        .value_kind:     global_buffer
      - .offset:         40
        .size:           8
        .value_kind:     by_value
      - .offset:         48
        .size:           8
        .value_kind:     by_value
      - .address_space:  global
        .offset:         56
        .size:           8
        .value_kind:     global_buffer
      - .offset:         64
        .size:           8
        .value_kind:     by_value
      - .offset:         72
        .size:           8
        .value_kind:     by_value
      - .offset:         80
        .size:           8
        .value_kind:     by_value
      - .address_space:  global
        .offset:         88
        .size:           8
        .value_kind:     global_buffer
      - .offset:         96
        .size:           8
        .value_kind:     by_value
      - .offset:         104
        .size:           8
        .value_kind:     by_value
      - .address_space:  global
        .offset:         112
        .size:           8
        .value_kind:     global_buffer
      - .offset:         120
        .size:           8
        .value_kind:     by_value
      - .offset:         128
        .size:           8
        .value_kind:     by_value
      - .offset:         136
        .size:           4
        .value_kind:     by_value
    .group_segment_fixed_size: 4096
    .kernarg_segment_align: 8
    .kernarg_segment_size: 140
    .language:       OpenCL C
    .language_version:
      - 2
      - 0
    .max_flat_workgroup_size: 256
    .name:           _ZN12_GLOBAL__N_127rocblas_gemm_batched_kernelI19rocblas_complex_numIfELi16ELi16ELi32ELi32ELi8ELi32ELi8ELi8ELi32ELc67ELc84EKS2_S3_S2_EEvlllT_PT11_llS6_llS4_PT12_llPT13_lli
    .private_segment_fixed_size: 0
    .sgpr_count:     34
    .sgpr_spill_count: 0
    .symbol:         _ZN12_GLOBAL__N_127rocblas_gemm_batched_kernelI19rocblas_complex_numIfELi16ELi16ELi32ELi32ELi8ELi32ELi8ELi8ELi32ELc67ELc84EKS2_S3_S2_EEvlllT_PT11_llS6_llS4_PT12_llPT13_lli.kd
    .uniform_work_group_size: 1
    .uses_dynamic_stack: false
    .vgpr_count:     92
    .vgpr_spill_count: 0
    .wavefront_size: 32
    .workgroup_processor_mode: 1
  - .args:
      - .offset:         0
        .size:           8
        .value_kind:     by_value
      - .offset:         8
        .size:           8
        .value_kind:     by_value
      - .offset:         16
        .size:           8
        .value_kind:     by_value
      - .offset:         24
        .size:           8
        .value_kind:     by_value
      - .address_space:  global
        .offset:         32
        .size:           8
        .value_kind:     global_buffer
      - .offset:         40
        .size:           8
        .value_kind:     by_value
      - .offset:         48
        .size:           8
        .value_kind:     by_value
      - .address_space:  global
        .offset:         56
        .size:           8
        .value_kind:     global_buffer
      - .offset:         64
        .size:           8
        .value_kind:     by_value
      - .offset:         72
        .size:           8
        .value_kind:     by_value
      - .offset:         80
        .size:           8
        .value_kind:     by_value
      - .address_space:  global
        .offset:         88
        .size:           8
        .value_kind:     global_buffer
      - .offset:         96
        .size:           8
        .value_kind:     by_value
      - .offset:         104
        .size:           8
        .value_kind:     by_value
      - .address_space:  global
        .offset:         112
        .size:           8
        .value_kind:     global_buffer
      - .offset:         120
        .size:           8
        .value_kind:     by_value
      - .offset:         128
        .size:           8
        .value_kind:     by_value
      - .offset:         136
        .size:           4
        .value_kind:     by_value
    .group_segment_fixed_size: 4096
    .kernarg_segment_align: 8
    .kernarg_segment_size: 140
    .language:       OpenCL C
    .language_version:
      - 2
      - 0
    .max_flat_workgroup_size: 256
    .name:           _ZN12_GLOBAL__N_127rocblas_gemm_batched_kernelI19rocblas_complex_numIfELi16ELi16ELi32ELi32ELi8ELi32ELi8ELi8ELi32ELc78ELc67EKS2_S3_S2_EEvlllT_PT11_llS6_llS4_PT12_llPT13_lli
    .private_segment_fixed_size: 0
    .sgpr_count:     34
    .sgpr_spill_count: 0
    .symbol:         _ZN12_GLOBAL__N_127rocblas_gemm_batched_kernelI19rocblas_complex_numIfELi16ELi16ELi32ELi32ELi8ELi32ELi8ELi8ELi32ELc78ELc67EKS2_S3_S2_EEvlllT_PT11_llS6_llS4_PT12_llPT13_lli.kd
    .uniform_work_group_size: 1
    .uses_dynamic_stack: false
    .vgpr_count:     92
    .vgpr_spill_count: 0
    .wavefront_size: 32
    .workgroup_processor_mode: 1
  - .args:
      - .offset:         0
        .size:           8
        .value_kind:     by_value
      - .offset:         8
        .size:           8
        .value_kind:     by_value
      - .offset:         16
        .size:           8
        .value_kind:     by_value
      - .offset:         24
        .size:           8
        .value_kind:     by_value
      - .address_space:  global
        .offset:         32
        .size:           8
        .value_kind:     global_buffer
      - .offset:         40
        .size:           8
        .value_kind:     by_value
      - .offset:         48
        .size:           8
        .value_kind:     by_value
      - .address_space:  global
        .offset:         56
        .size:           8
        .value_kind:     global_buffer
      - .offset:         64
        .size:           8
        .value_kind:     by_value
      - .offset:         72
        .size:           8
        .value_kind:     by_value
      - .offset:         80
        .size:           8
        .value_kind:     by_value
      - .address_space:  global
        .offset:         88
        .size:           8
        .value_kind:     global_buffer
      - .offset:         96
        .size:           8
        .value_kind:     by_value
      - .offset:         104
        .size:           8
        .value_kind:     by_value
      - .address_space:  global
        .offset:         112
        .size:           8
        .value_kind:     global_buffer
      - .offset:         120
        .size:           8
        .value_kind:     by_value
      - .offset:         128
        .size:           8
        .value_kind:     by_value
      - .offset:         136
        .size:           4
        .value_kind:     by_value
    .group_segment_fixed_size: 4096
    .kernarg_segment_align: 8
    .kernarg_segment_size: 140
    .language:       OpenCL C
    .language_version:
      - 2
      - 0
    .max_flat_workgroup_size: 256
    .name:           _ZN12_GLOBAL__N_127rocblas_gemm_batched_kernelI19rocblas_complex_numIfELi16ELi16ELi32ELi32ELi8ELi32ELi8ELi8ELi32ELc84ELc67EKS2_S3_S2_EEvlllT_PT11_llS6_llS4_PT12_llPT13_lli
    .private_segment_fixed_size: 0
    .sgpr_count:     34
    .sgpr_spill_count: 0
    .symbol:         _ZN12_GLOBAL__N_127rocblas_gemm_batched_kernelI19rocblas_complex_numIfELi16ELi16ELi32ELi32ELi8ELi32ELi8ELi8ELi32ELc84ELc67EKS2_S3_S2_EEvlllT_PT11_llS6_llS4_PT12_llPT13_lli.kd
    .uniform_work_group_size: 1
    .uses_dynamic_stack: false
    .vgpr_count:     92
    .vgpr_spill_count: 0
    .wavefront_size: 32
    .workgroup_processor_mode: 1
  - .args:
      - .offset:         0
        .size:           8
        .value_kind:     by_value
      - .offset:         8
        .size:           8
        .value_kind:     by_value
      - .offset:         16
        .size:           8
        .value_kind:     by_value
      - .offset:         24
        .size:           8
        .value_kind:     by_value
      - .address_space:  global
        .offset:         32
        .size:           8
        .value_kind:     global_buffer
      - .offset:         40
        .size:           8
        .value_kind:     by_value
      - .offset:         48
        .size:           8
        .value_kind:     by_value
      - .address_space:  global
        .offset:         56
        .size:           8
        .value_kind:     global_buffer
      - .offset:         64
        .size:           8
        .value_kind:     by_value
      - .offset:         72
        .size:           8
        .value_kind:     by_value
      - .offset:         80
        .size:           8
        .value_kind:     by_value
      - .address_space:  global
        .offset:         88
        .size:           8
        .value_kind:     global_buffer
      - .offset:         96
        .size:           8
        .value_kind:     by_value
      - .offset:         104
        .size:           8
        .value_kind:     by_value
      - .address_space:  global
        .offset:         112
        .size:           8
        .value_kind:     global_buffer
      - .offset:         120
        .size:           8
        .value_kind:     by_value
      - .offset:         128
        .size:           8
        .value_kind:     by_value
      - .offset:         136
        .size:           4
        .value_kind:     by_value
    .group_segment_fixed_size: 4096
    .kernarg_segment_align: 8
    .kernarg_segment_size: 140
    .language:       OpenCL C
    .language_version:
      - 2
      - 0
    .max_flat_workgroup_size: 256
    .name:           _ZN12_GLOBAL__N_135rocblas_gemm_batched_general_kernelI19rocblas_complex_numIfELi16ELi16ELi32ELi32ELi8ELi32ELi8ELi8ELi32ELc78ELc78EKS2_S3_S2_EEvlllT_PT11_llS6_llS4_PT12_llPT13_lli
    .private_segment_fixed_size: 0
    .sgpr_count:     40
    .sgpr_spill_count: 0
    .symbol:         _ZN12_GLOBAL__N_135rocblas_gemm_batched_general_kernelI19rocblas_complex_numIfELi16ELi16ELi32ELi32ELi8ELi32ELi8ELi8ELi32ELc78ELc78EKS2_S3_S2_EEvlllT_PT11_llS6_llS4_PT12_llPT13_lli.kd
    .uniform_work_group_size: 1
    .uses_dynamic_stack: false
    .vgpr_count:     59
    .vgpr_spill_count: 0
    .wavefront_size: 32
    .workgroup_processor_mode: 1
  - .args:
      - .offset:         0
        .size:           8
        .value_kind:     by_value
      - .offset:         8
        .size:           8
        .value_kind:     by_value
      - .offset:         16
        .size:           8
        .value_kind:     by_value
      - .offset:         24
        .size:           8
        .value_kind:     by_value
      - .address_space:  global
        .offset:         32
        .size:           8
        .value_kind:     global_buffer
      - .offset:         40
        .size:           8
        .value_kind:     by_value
      - .offset:         48
        .size:           8
        .value_kind:     by_value
      - .address_space:  global
        .offset:         56
        .size:           8
        .value_kind:     global_buffer
      - .offset:         64
        .size:           8
        .value_kind:     by_value
      - .offset:         72
        .size:           8
        .value_kind:     by_value
      - .offset:         80
        .size:           8
        .value_kind:     by_value
      - .address_space:  global
        .offset:         88
        .size:           8
        .value_kind:     global_buffer
      - .offset:         96
        .size:           8
        .value_kind:     by_value
      - .offset:         104
        .size:           8
        .value_kind:     by_value
      - .address_space:  global
        .offset:         112
        .size:           8
        .value_kind:     global_buffer
      - .offset:         120
        .size:           8
        .value_kind:     by_value
      - .offset:         128
        .size:           8
        .value_kind:     by_value
      - .offset:         136
        .size:           4
        .value_kind:     by_value
    .group_segment_fixed_size: 4096
    .kernarg_segment_align: 8
    .kernarg_segment_size: 140
    .language:       OpenCL C
    .language_version:
      - 2
      - 0
    .max_flat_workgroup_size: 256
    .name:           _ZN12_GLOBAL__N_135rocblas_gemm_batched_general_kernelI19rocblas_complex_numIfELi16ELi16ELi32ELi32ELi8ELi32ELi8ELi8ELi32ELc84ELc78EKS2_S3_S2_EEvlllT_PT11_llS6_llS4_PT12_llPT13_lli
    .private_segment_fixed_size: 0
    .sgpr_count:     38
    .sgpr_spill_count: 0
    .symbol:         _ZN12_GLOBAL__N_135rocblas_gemm_batched_general_kernelI19rocblas_complex_numIfELi16ELi16ELi32ELi32ELi8ELi32ELi8ELi8ELi32ELc84ELc78EKS2_S3_S2_EEvlllT_PT11_llS6_llS4_PT12_llPT13_lli.kd
    .uniform_work_group_size: 1
    .uses_dynamic_stack: false
    .vgpr_count:     59
    .vgpr_spill_count: 0
    .wavefront_size: 32
    .workgroup_processor_mode: 1
  - .args:
      - .offset:         0
        .size:           8
        .value_kind:     by_value
      - .offset:         8
        .size:           8
        .value_kind:     by_value
      - .offset:         16
        .size:           8
        .value_kind:     by_value
      - .offset:         24
        .size:           8
        .value_kind:     by_value
      - .address_space:  global
        .offset:         32
        .size:           8
        .value_kind:     global_buffer
      - .offset:         40
        .size:           8
        .value_kind:     by_value
      - .offset:         48
        .size:           8
        .value_kind:     by_value
      - .address_space:  global
        .offset:         56
        .size:           8
        .value_kind:     global_buffer
      - .offset:         64
        .size:           8
        .value_kind:     by_value
      - .offset:         72
        .size:           8
        .value_kind:     by_value
      - .offset:         80
        .size:           8
        .value_kind:     by_value
      - .address_space:  global
        .offset:         88
        .size:           8
        .value_kind:     global_buffer
      - .offset:         96
        .size:           8
        .value_kind:     by_value
      - .offset:         104
        .size:           8
        .value_kind:     by_value
      - .address_space:  global
        .offset:         112
        .size:           8
        .value_kind:     global_buffer
      - .offset:         120
        .size:           8
        .value_kind:     by_value
      - .offset:         128
        .size:           8
        .value_kind:     by_value
      - .offset:         136
        .size:           4
        .value_kind:     by_value
    .group_segment_fixed_size: 4096
    .kernarg_segment_align: 8
    .kernarg_segment_size: 140
    .language:       OpenCL C
    .language_version:
      - 2
      - 0
    .max_flat_workgroup_size: 256
    .name:           _ZN12_GLOBAL__N_135rocblas_gemm_batched_general_kernelI19rocblas_complex_numIfELi16ELi16ELi32ELi32ELi8ELi32ELi8ELi8ELi32ELc78ELc84EKS2_S3_S2_EEvlllT_PT11_llS6_llS4_PT12_llPT13_lli
    .private_segment_fixed_size: 0
    .sgpr_count:     40
    .sgpr_spill_count: 0
    .symbol:         _ZN12_GLOBAL__N_135rocblas_gemm_batched_general_kernelI19rocblas_complex_numIfELi16ELi16ELi32ELi32ELi8ELi32ELi8ELi8ELi32ELc78ELc84EKS2_S3_S2_EEvlllT_PT11_llS6_llS4_PT12_llPT13_lli.kd
    .uniform_work_group_size: 1
    .uses_dynamic_stack: false
    .vgpr_count:     59
    .vgpr_spill_count: 0
    .wavefront_size: 32
    .workgroup_processor_mode: 1
  - .args:
      - .offset:         0
        .size:           8
        .value_kind:     by_value
      - .offset:         8
        .size:           8
        .value_kind:     by_value
      - .offset:         16
        .size:           8
        .value_kind:     by_value
      - .offset:         24
        .size:           8
        .value_kind:     by_value
      - .address_space:  global
        .offset:         32
        .size:           8
        .value_kind:     global_buffer
      - .offset:         40
        .size:           8
        .value_kind:     by_value
      - .offset:         48
        .size:           8
        .value_kind:     by_value
      - .address_space:  global
        .offset:         56
        .size:           8
        .value_kind:     global_buffer
      - .offset:         64
        .size:           8
        .value_kind:     by_value
      - .offset:         72
        .size:           8
        .value_kind:     by_value
      - .offset:         80
        .size:           8
        .value_kind:     by_value
      - .address_space:  global
        .offset:         88
        .size:           8
        .value_kind:     global_buffer
      - .offset:         96
        .size:           8
        .value_kind:     by_value
      - .offset:         104
        .size:           8
        .value_kind:     by_value
      - .address_space:  global
        .offset:         112
        .size:           8
        .value_kind:     global_buffer
      - .offset:         120
        .size:           8
        .value_kind:     by_value
      - .offset:         128
        .size:           8
        .value_kind:     by_value
      - .offset:         136
        .size:           4
        .value_kind:     by_value
    .group_segment_fixed_size: 4096
    .kernarg_segment_align: 8
    .kernarg_segment_size: 140
    .language:       OpenCL C
    .language_version:
      - 2
      - 0
    .max_flat_workgroup_size: 256
    .name:           _ZN12_GLOBAL__N_135rocblas_gemm_batched_general_kernelI19rocblas_complex_numIfELi16ELi16ELi32ELi32ELi8ELi32ELi8ELi8ELi32ELc84ELc84EKS2_S3_S2_EEvlllT_PT11_llS6_llS4_PT12_llPT13_lli
    .private_segment_fixed_size: 0
    .sgpr_count:     38
    .sgpr_spill_count: 0
    .symbol:         _ZN12_GLOBAL__N_135rocblas_gemm_batched_general_kernelI19rocblas_complex_numIfELi16ELi16ELi32ELi32ELi8ELi32ELi8ELi8ELi32ELc84ELc84EKS2_S3_S2_EEvlllT_PT11_llS6_llS4_PT12_llPT13_lli.kd
    .uniform_work_group_size: 1
    .uses_dynamic_stack: false
    .vgpr_count:     59
    .vgpr_spill_count: 0
    .wavefront_size: 32
    .workgroup_processor_mode: 1
  - .args:
      - .offset:         0
        .size:           8
        .value_kind:     by_value
      - .offset:         8
        .size:           8
        .value_kind:     by_value
      - .offset:         16
        .size:           8
        .value_kind:     by_value
      - .offset:         24
        .size:           8
        .value_kind:     by_value
      - .address_space:  global
        .offset:         32
        .size:           8
        .value_kind:     global_buffer
      - .offset:         40
        .size:           8
        .value_kind:     by_value
      - .offset:         48
        .size:           8
        .value_kind:     by_value
      - .address_space:  global
        .offset:         56
        .size:           8
        .value_kind:     global_buffer
      - .offset:         64
        .size:           8
        .value_kind:     by_value
      - .offset:         72
        .size:           8
        .value_kind:     by_value
      - .offset:         80
        .size:           8
        .value_kind:     by_value
      - .address_space:  global
        .offset:         88
        .size:           8
        .value_kind:     global_buffer
      - .offset:         96
        .size:           8
        .value_kind:     by_value
      - .offset:         104
        .size:           8
        .value_kind:     by_value
      - .address_space:  global
        .offset:         112
        .size:           8
        .value_kind:     global_buffer
      - .offset:         120
        .size:           8
        .value_kind:     by_value
      - .offset:         128
        .size:           8
        .value_kind:     by_value
      - .offset:         136
        .size:           4
        .value_kind:     by_value
    .group_segment_fixed_size: 4096
    .kernarg_segment_align: 8
    .kernarg_segment_size: 140
    .language:       OpenCL C
    .language_version:
      - 2
      - 0
    .max_flat_workgroup_size: 256
    .name:           _ZN12_GLOBAL__N_135rocblas_gemm_batched_general_kernelI19rocblas_complex_numIfELi16ELi16ELi32ELi32ELi8ELi32ELi8ELi8ELi32ELc67ELc67EKS2_S3_S2_EEvlllT_PT11_llS6_llS4_PT12_llPT13_lli
    .private_segment_fixed_size: 0
    .sgpr_count:     38
    .sgpr_spill_count: 0
    .symbol:         _ZN12_GLOBAL__N_135rocblas_gemm_batched_general_kernelI19rocblas_complex_numIfELi16ELi16ELi32ELi32ELi8ELi32ELi8ELi8ELi32ELc67ELc67EKS2_S3_S2_EEvlllT_PT11_llS6_llS4_PT12_llPT13_lli.kd
    .uniform_work_group_size: 1
    .uses_dynamic_stack: false
    .vgpr_count:     59
    .vgpr_spill_count: 0
    .wavefront_size: 32
    .workgroup_processor_mode: 1
  - .args:
      - .offset:         0
        .size:           8
        .value_kind:     by_value
      - .offset:         8
        .size:           8
        .value_kind:     by_value
      - .offset:         16
        .size:           8
        .value_kind:     by_value
      - .offset:         24
        .size:           8
        .value_kind:     by_value
      - .address_space:  global
        .offset:         32
        .size:           8
        .value_kind:     global_buffer
      - .offset:         40
        .size:           8
        .value_kind:     by_value
      - .offset:         48
        .size:           8
        .value_kind:     by_value
      - .address_space:  global
        .offset:         56
        .size:           8
        .value_kind:     global_buffer
      - .offset:         64
        .size:           8
        .value_kind:     by_value
      - .offset:         72
        .size:           8
        .value_kind:     by_value
      - .offset:         80
        .size:           8
        .value_kind:     by_value
      - .address_space:  global
        .offset:         88
        .size:           8
        .value_kind:     global_buffer
      - .offset:         96
        .size:           8
        .value_kind:     by_value
      - .offset:         104
        .size:           8
        .value_kind:     by_value
      - .address_space:  global
        .offset:         112
        .size:           8
        .value_kind:     global_buffer
      - .offset:         120
        .size:           8
        .value_kind:     by_value
      - .offset:         128
        .size:           8
        .value_kind:     by_value
      - .offset:         136
        .size:           4
        .value_kind:     by_value
    .group_segment_fixed_size: 4096
    .kernarg_segment_align: 8
    .kernarg_segment_size: 140
    .language:       OpenCL C
    .language_version:
      - 2
      - 0
    .max_flat_workgroup_size: 256
    .name:           _ZN12_GLOBAL__N_135rocblas_gemm_batched_general_kernelI19rocblas_complex_numIfELi16ELi16ELi32ELi32ELi8ELi32ELi8ELi8ELi32ELc67ELc78EKS2_S3_S2_EEvlllT_PT11_llS6_llS4_PT12_llPT13_lli
    .private_segment_fixed_size: 0
    .sgpr_count:     38
    .sgpr_spill_count: 0
    .symbol:         _ZN12_GLOBAL__N_135rocblas_gemm_batched_general_kernelI19rocblas_complex_numIfELi16ELi16ELi32ELi32ELi8ELi32ELi8ELi8ELi32ELc67ELc78EKS2_S3_S2_EEvlllT_PT11_llS6_llS4_PT12_llPT13_lli.kd
    .uniform_work_group_size: 1
    .uses_dynamic_stack: false
    .vgpr_count:     59
    .vgpr_spill_count: 0
    .wavefront_size: 32
    .workgroup_processor_mode: 1
  - .args:
      - .offset:         0
        .size:           8
        .value_kind:     by_value
      - .offset:         8
        .size:           8
        .value_kind:     by_value
      - .offset:         16
        .size:           8
        .value_kind:     by_value
      - .offset:         24
        .size:           8
        .value_kind:     by_value
      - .address_space:  global
        .offset:         32
        .size:           8
        .value_kind:     global_buffer
      - .offset:         40
        .size:           8
        .value_kind:     by_value
      - .offset:         48
        .size:           8
        .value_kind:     by_value
      - .address_space:  global
        .offset:         56
        .size:           8
        .value_kind:     global_buffer
      - .offset:         64
        .size:           8
        .value_kind:     by_value
      - .offset:         72
        .size:           8
        .value_kind:     by_value
      - .offset:         80
        .size:           8
        .value_kind:     by_value
      - .address_space:  global
        .offset:         88
        .size:           8
        .value_kind:     global_buffer
      - .offset:         96
        .size:           8
        .value_kind:     by_value
      - .offset:         104
        .size:           8
        .value_kind:     by_value
      - .address_space:  global
        .offset:         112
        .size:           8
        .value_kind:     global_buffer
      - .offset:         120
        .size:           8
        .value_kind:     by_value
      - .offset:         128
        .size:           8
        .value_kind:     by_value
      - .offset:         136
        .size:           4
        .value_kind:     by_value
    .group_segment_fixed_size: 4096
    .kernarg_segment_align: 8
    .kernarg_segment_size: 140
    .language:       OpenCL C
    .language_version:
      - 2
      - 0
    .max_flat_workgroup_size: 256
    .name:           _ZN12_GLOBAL__N_135rocblas_gemm_batched_general_kernelI19rocblas_complex_numIfELi16ELi16ELi32ELi32ELi8ELi32ELi8ELi8ELi32ELc67ELc84EKS2_S3_S2_EEvlllT_PT11_llS6_llS4_PT12_llPT13_lli
    .private_segment_fixed_size: 0
    .sgpr_count:     38
    .sgpr_spill_count: 0
    .symbol:         _ZN12_GLOBAL__N_135rocblas_gemm_batched_general_kernelI19rocblas_complex_numIfELi16ELi16ELi32ELi32ELi8ELi32ELi8ELi8ELi32ELc67ELc84EKS2_S3_S2_EEvlllT_PT11_llS6_llS4_PT12_llPT13_lli.kd
    .uniform_work_group_size: 1
    .uses_dynamic_stack: false
    .vgpr_count:     59
    .vgpr_spill_count: 0
    .wavefront_size: 32
    .workgroup_processor_mode: 1
  - .args:
      - .offset:         0
        .size:           8
        .value_kind:     by_value
      - .offset:         8
        .size:           8
        .value_kind:     by_value
      - .offset:         16
        .size:           8
        .value_kind:     by_value
      - .offset:         24
        .size:           8
        .value_kind:     by_value
      - .address_space:  global
        .offset:         32
        .size:           8
        .value_kind:     global_buffer
      - .offset:         40
        .size:           8
        .value_kind:     by_value
      - .offset:         48
        .size:           8
        .value_kind:     by_value
      - .address_space:  global
        .offset:         56
        .size:           8
        .value_kind:     global_buffer
      - .offset:         64
        .size:           8
        .value_kind:     by_value
      - .offset:         72
        .size:           8
        .value_kind:     by_value
      - .offset:         80
        .size:           8
        .value_kind:     by_value
      - .address_space:  global
        .offset:         88
        .size:           8
        .value_kind:     global_buffer
      - .offset:         96
        .size:           8
        .value_kind:     by_value
      - .offset:         104
        .size:           8
        .value_kind:     by_value
      - .address_space:  global
        .offset:         112
        .size:           8
        .value_kind:     global_buffer
      - .offset:         120
        .size:           8
        .value_kind:     by_value
      - .offset:         128
        .size:           8
        .value_kind:     by_value
      - .offset:         136
        .size:           4
        .value_kind:     by_value
    .group_segment_fixed_size: 4096
    .kernarg_segment_align: 8
    .kernarg_segment_size: 140
    .language:       OpenCL C
    .language_version:
      - 2
      - 0
    .max_flat_workgroup_size: 256
    .name:           _ZN12_GLOBAL__N_135rocblas_gemm_batched_general_kernelI19rocblas_complex_numIfELi16ELi16ELi32ELi32ELi8ELi32ELi8ELi8ELi32ELc78ELc67EKS2_S3_S2_EEvlllT_PT11_llS6_llS4_PT12_llPT13_lli
    .private_segment_fixed_size: 0
    .sgpr_count:     40
    .sgpr_spill_count: 0
    .symbol:         _ZN12_GLOBAL__N_135rocblas_gemm_batched_general_kernelI19rocblas_complex_numIfELi16ELi16ELi32ELi32ELi8ELi32ELi8ELi8ELi32ELc78ELc67EKS2_S3_S2_EEvlllT_PT11_llS6_llS4_PT12_llPT13_lli.kd
    .uniform_work_group_size: 1
    .uses_dynamic_stack: false
    .vgpr_count:     59
    .vgpr_spill_count: 0
    .wavefront_size: 32
    .workgroup_processor_mode: 1
  - .args:
      - .offset:         0
        .size:           8
        .value_kind:     by_value
      - .offset:         8
        .size:           8
        .value_kind:     by_value
      - .offset:         16
        .size:           8
        .value_kind:     by_value
      - .offset:         24
        .size:           8
        .value_kind:     by_value
      - .address_space:  global
        .offset:         32
        .size:           8
        .value_kind:     global_buffer
      - .offset:         40
        .size:           8
        .value_kind:     by_value
      - .offset:         48
        .size:           8
        .value_kind:     by_value
      - .address_space:  global
        .offset:         56
        .size:           8
        .value_kind:     global_buffer
      - .offset:         64
        .size:           8
        .value_kind:     by_value
      - .offset:         72
        .size:           8
        .value_kind:     by_value
      - .offset:         80
        .size:           8
        .value_kind:     by_value
      - .address_space:  global
        .offset:         88
        .size:           8
        .value_kind:     global_buffer
      - .offset:         96
        .size:           8
        .value_kind:     by_value
      - .offset:         104
        .size:           8
        .value_kind:     by_value
      - .address_space:  global
        .offset:         112
        .size:           8
        .value_kind:     global_buffer
      - .offset:         120
        .size:           8
        .value_kind:     by_value
      - .offset:         128
        .size:           8
        .value_kind:     by_value
      - .offset:         136
        .size:           4
        .value_kind:     by_value
    .group_segment_fixed_size: 4096
    .kernarg_segment_align: 8
    .kernarg_segment_size: 140
    .language:       OpenCL C
    .language_version:
      - 2
      - 0
    .max_flat_workgroup_size: 256
    .name:           _ZN12_GLOBAL__N_135rocblas_gemm_batched_general_kernelI19rocblas_complex_numIfELi16ELi16ELi32ELi32ELi8ELi32ELi8ELi8ELi32ELc84ELc67EKS2_S3_S2_EEvlllT_PT11_llS6_llS4_PT12_llPT13_lli
    .private_segment_fixed_size: 0
    .sgpr_count:     38
    .sgpr_spill_count: 0
    .symbol:         _ZN12_GLOBAL__N_135rocblas_gemm_batched_general_kernelI19rocblas_complex_numIfELi16ELi16ELi32ELi32ELi8ELi32ELi8ELi8ELi32ELc84ELc67EKS2_S3_S2_EEvlllT_PT11_llS6_llS4_PT12_llPT13_lli.kd
    .uniform_work_group_size: 1
    .uses_dynamic_stack: false
    .vgpr_count:     59
    .vgpr_spill_count: 0
    .wavefront_size: 32
    .workgroup_processor_mode: 1
  - .args:
      - .offset:         0
        .size:           4
        .value_kind:     by_value
      - .offset:         4
        .size:           4
        .value_kind:     by_value
      - .offset:         8
        .size:           16
        .value_kind:     by_value
      - .address_space:  global
        .offset:         24
        .size:           8
        .value_kind:     global_buffer
      - .offset:         32
        .size:           8
        .value_kind:     by_value
      - .offset:         40
        .size:           8
        .value_kind:     by_value
      - .offset:         48
        .size:           8
        .value_kind:     by_value
      - .address_space:  global
        .offset:         56
        .size:           8
        .value_kind:     global_buffer
      - .offset:         64
        .size:           8
        .value_kind:     by_value
      - .offset:         72
        .size:           8
        .value_kind:     by_value
      - .offset:         80
        .size:           8
        .value_kind:     by_value
      - .offset:         88
        .size:           4
        .value_kind:     by_value
    .group_segment_fixed_size: 0
    .kernarg_segment_align: 8
    .kernarg_segment_size: 92
    .language:       OpenCL C
    .language_version:
      - 2
      - 0
    .max_flat_workgroup_size: 1024
    .name:           _ZN12_GLOBAL__N_120gemm_ex_scale_kernelILi32ELi32E19rocblas_complex_numIdEPKS2_PS2_EEviiT1_T2_lllT3_llli
    .private_segment_fixed_size: 0
    .sgpr_count:     30
    .sgpr_spill_count: 0
    .symbol:         _ZN12_GLOBAL__N_120gemm_ex_scale_kernelILi32ELi32E19rocblas_complex_numIdEPKS2_PS2_EEviiT1_T2_lllT3_llli.kd
    .uniform_work_group_size: 1
    .uses_dynamic_stack: false
    .vgpr_count:     11
    .vgpr_spill_count: 0
    .wavefront_size: 32
    .workgroup_processor_mode: 1
  - .args:
      - .offset:         0
        .size:           8
        .value_kind:     by_value
      - .offset:         8
        .size:           8
        .value_kind:     by_value
      - .offset:         16
        .size:           8
        .value_kind:     by_value
      - .offset:         24
        .size:           16
        .value_kind:     by_value
      - .address_space:  global
        .offset:         40
        .size:           8
        .value_kind:     global_buffer
      - .offset:         48
        .size:           8
        .value_kind:     by_value
      - .offset:         56
        .size:           8
        .value_kind:     by_value
      - .address_space:  global
        .offset:         64
        .size:           8
        .value_kind:     global_buffer
      - .offset:         72
        .size:           8
        .value_kind:     by_value
      - .offset:         80
        .size:           8
        .value_kind:     by_value
      - .offset:         88
        .size:           16
        .value_kind:     by_value
      - .address_space:  global
        .offset:         104
        .size:           8
        .value_kind:     global_buffer
      - .offset:         112
        .size:           8
        .value_kind:     by_value
      - .offset:         120
        .size:           8
        .value_kind:     by_value
      - .address_space:  global
        .offset:         128
        .size:           8
        .value_kind:     global_buffer
      - .offset:         136
        .size:           8
        .value_kind:     by_value
      - .offset:         144
        .size:           8
        .value_kind:     by_value
      - .offset:         152
        .size:           4
        .value_kind:     by_value
    .group_segment_fixed_size: 8192
    .kernarg_segment_align: 8
    .kernarg_segment_size: 156
    .language:       OpenCL C
    .language_version:
      - 2
      - 0
    .max_flat_workgroup_size: 256
    .name:           _ZN12_GLOBAL__N_127rocblas_gemm_batched_kernelI19rocblas_complex_numIdELi16ELi16ELi64ELi64ELi4ELi64ELi4ELi4ELi64ELc78ELc78EKS2_S3_S2_EEvlllT_PT11_llS6_llS4_PT12_llPT13_lli
    .private_segment_fixed_size: 0
    .sgpr_count:     54
    .sgpr_spill_count: 0
    .symbol:         _ZN12_GLOBAL__N_127rocblas_gemm_batched_kernelI19rocblas_complex_numIdELi16ELi16ELi64ELi64ELi4ELi64ELi4ELi4ELi64ELc78ELc78EKS2_S3_S2_EEvlllT_PT11_llS6_llS4_PT12_llPT13_lli.kd
    .uniform_work_group_size: 1
    .uses_dynamic_stack: false
    .vgpr_count:     138
    .vgpr_spill_count: 0
    .wavefront_size: 32
    .workgroup_processor_mode: 1
  - .args:
      - .offset:         0
        .size:           8
        .value_kind:     by_value
      - .offset:         8
        .size:           8
        .value_kind:     by_value
      - .offset:         16
        .size:           8
        .value_kind:     by_value
      - .offset:         24
        .size:           16
        .value_kind:     by_value
      - .address_space:  global
        .offset:         40
        .size:           8
        .value_kind:     global_buffer
      - .offset:         48
        .size:           8
        .value_kind:     by_value
      - .offset:         56
        .size:           8
        .value_kind:     by_value
      - .address_space:  global
        .offset:         64
        .size:           8
        .value_kind:     global_buffer
      - .offset:         72
        .size:           8
        .value_kind:     by_value
      - .offset:         80
        .size:           8
        .value_kind:     by_value
      - .offset:         88
        .size:           16
        .value_kind:     by_value
      - .address_space:  global
        .offset:         104
        .size:           8
        .value_kind:     global_buffer
      - .offset:         112
        .size:           8
        .value_kind:     by_value
      - .offset:         120
        .size:           8
        .value_kind:     by_value
      - .address_space:  global
        .offset:         128
        .size:           8
        .value_kind:     global_buffer
      - .offset:         136
        .size:           8
        .value_kind:     by_value
      - .offset:         144
        .size:           8
        .value_kind:     by_value
      - .offset:         152
        .size:           4
        .value_kind:     by_value
    .group_segment_fixed_size: 8192
    .kernarg_segment_align: 8
    .kernarg_segment_size: 156
    .language:       OpenCL C
    .language_version:
      - 2
      - 0
    .max_flat_workgroup_size: 256
    .name:           _ZN12_GLOBAL__N_127rocblas_gemm_batched_kernelI19rocblas_complex_numIdELi16ELi16ELi64ELi64ELi4ELi64ELi4ELi4ELi64ELc84ELc78EKS2_S3_S2_EEvlllT_PT11_llS6_llS4_PT12_llPT13_lli
    .private_segment_fixed_size: 0
    .sgpr_count:     54
    .sgpr_spill_count: 0
    .symbol:         _ZN12_GLOBAL__N_127rocblas_gemm_batched_kernelI19rocblas_complex_numIdELi16ELi16ELi64ELi64ELi4ELi64ELi4ELi4ELi64ELc84ELc78EKS2_S3_S2_EEvlllT_PT11_llS6_llS4_PT12_llPT13_lli.kd
    .uniform_work_group_size: 1
    .uses_dynamic_stack: false
    .vgpr_count:     138
    .vgpr_spill_count: 0
    .wavefront_size: 32
    .workgroup_processor_mode: 1
  - .args:
      - .offset:         0
        .size:           8
        .value_kind:     by_value
      - .offset:         8
        .size:           8
        .value_kind:     by_value
      - .offset:         16
        .size:           8
        .value_kind:     by_value
      - .offset:         24
        .size:           16
        .value_kind:     by_value
      - .address_space:  global
        .offset:         40
        .size:           8
        .value_kind:     global_buffer
      - .offset:         48
        .size:           8
        .value_kind:     by_value
      - .offset:         56
        .size:           8
        .value_kind:     by_value
      - .address_space:  global
        .offset:         64
        .size:           8
        .value_kind:     global_buffer
      - .offset:         72
        .size:           8
        .value_kind:     by_value
      - .offset:         80
        .size:           8
        .value_kind:     by_value
      - .offset:         88
        .size:           16
        .value_kind:     by_value
      - .address_space:  global
        .offset:         104
        .size:           8
        .value_kind:     global_buffer
      - .offset:         112
        .size:           8
        .value_kind:     by_value
      - .offset:         120
        .size:           8
        .value_kind:     by_value
      - .address_space:  global
        .offset:         128
        .size:           8
        .value_kind:     global_buffer
      - .offset:         136
        .size:           8
        .value_kind:     by_value
      - .offset:         144
        .size:           8
        .value_kind:     by_value
      - .offset:         152
        .size:           4
        .value_kind:     by_value
    .group_segment_fixed_size: 8192
    .kernarg_segment_align: 8
    .kernarg_segment_size: 156
    .language:       OpenCL C
    .language_version:
      - 2
      - 0
    .max_flat_workgroup_size: 256
    .name:           _ZN12_GLOBAL__N_127rocblas_gemm_batched_kernelI19rocblas_complex_numIdELi16ELi16ELi64ELi64ELi4ELi64ELi4ELi4ELi64ELc78ELc84EKS2_S3_S2_EEvlllT_PT11_llS6_llS4_PT12_llPT13_lli
    .private_segment_fixed_size: 0
    .sgpr_count:     54
    .sgpr_spill_count: 0
    .symbol:         _ZN12_GLOBAL__N_127rocblas_gemm_batched_kernelI19rocblas_complex_numIdELi16ELi16ELi64ELi64ELi4ELi64ELi4ELi4ELi64ELc78ELc84EKS2_S3_S2_EEvlllT_PT11_llS6_llS4_PT12_llPT13_lli.kd
    .uniform_work_group_size: 1
    .uses_dynamic_stack: false
    .vgpr_count:     138
    .vgpr_spill_count: 0
    .wavefront_size: 32
    .workgroup_processor_mode: 1
  - .args:
      - .offset:         0
        .size:           8
        .value_kind:     by_value
      - .offset:         8
        .size:           8
        .value_kind:     by_value
      - .offset:         16
        .size:           8
        .value_kind:     by_value
      - .offset:         24
        .size:           16
        .value_kind:     by_value
      - .address_space:  global
        .offset:         40
        .size:           8
        .value_kind:     global_buffer
      - .offset:         48
        .size:           8
        .value_kind:     by_value
      - .offset:         56
        .size:           8
        .value_kind:     by_value
      - .address_space:  global
        .offset:         64
        .size:           8
        .value_kind:     global_buffer
      - .offset:         72
        .size:           8
        .value_kind:     by_value
      - .offset:         80
        .size:           8
        .value_kind:     by_value
      - .offset:         88
        .size:           16
        .value_kind:     by_value
      - .address_space:  global
        .offset:         104
        .size:           8
        .value_kind:     global_buffer
      - .offset:         112
        .size:           8
        .value_kind:     by_value
      - .offset:         120
        .size:           8
        .value_kind:     by_value
      - .address_space:  global
        .offset:         128
        .size:           8
        .value_kind:     global_buffer
      - .offset:         136
        .size:           8
        .value_kind:     by_value
      - .offset:         144
        .size:           8
        .value_kind:     by_value
      - .offset:         152
        .size:           4
        .value_kind:     by_value
    .group_segment_fixed_size: 8192
    .kernarg_segment_align: 8
    .kernarg_segment_size: 156
    .language:       OpenCL C
    .language_version:
      - 2
      - 0
    .max_flat_workgroup_size: 256
    .name:           _ZN12_GLOBAL__N_127rocblas_gemm_batched_kernelI19rocblas_complex_numIdELi16ELi16ELi64ELi64ELi4ELi64ELi4ELi4ELi64ELc84ELc84EKS2_S3_S2_EEvlllT_PT11_llS6_llS4_PT12_llPT13_lli
    .private_segment_fixed_size: 0
    .sgpr_count:     54
    .sgpr_spill_count: 0
    .symbol:         _ZN12_GLOBAL__N_127rocblas_gemm_batched_kernelI19rocblas_complex_numIdELi16ELi16ELi64ELi64ELi4ELi64ELi4ELi4ELi64ELc84ELc84EKS2_S3_S2_EEvlllT_PT11_llS6_llS4_PT12_llPT13_lli.kd
    .uniform_work_group_size: 1
    .uses_dynamic_stack: false
    .vgpr_count:     138
    .vgpr_spill_count: 0
    .wavefront_size: 32
    .workgroup_processor_mode: 1
  - .args:
      - .offset:         0
        .size:           8
        .value_kind:     by_value
      - .offset:         8
        .size:           8
        .value_kind:     by_value
      - .offset:         16
        .size:           8
        .value_kind:     by_value
      - .offset:         24
        .size:           16
        .value_kind:     by_value
      - .address_space:  global
        .offset:         40
        .size:           8
        .value_kind:     global_buffer
      - .offset:         48
        .size:           8
        .value_kind:     by_value
      - .offset:         56
        .size:           8
        .value_kind:     by_value
      - .address_space:  global
        .offset:         64
        .size:           8
        .value_kind:     global_buffer
      - .offset:         72
        .size:           8
        .value_kind:     by_value
      - .offset:         80
        .size:           8
        .value_kind:     by_value
      - .offset:         88
        .size:           16
        .value_kind:     by_value
      - .address_space:  global
        .offset:         104
        .size:           8
        .value_kind:     global_buffer
      - .offset:         112
        .size:           8
        .value_kind:     by_value
      - .offset:         120
        .size:           8
        .value_kind:     by_value
      - .address_space:  global
        .offset:         128
        .size:           8
        .value_kind:     global_buffer
      - .offset:         136
        .size:           8
        .value_kind:     by_value
      - .offset:         144
        .size:           8
        .value_kind:     by_value
      - .offset:         152
        .size:           4
        .value_kind:     by_value
    .group_segment_fixed_size: 8192
    .kernarg_segment_align: 8
    .kernarg_segment_size: 156
    .language:       OpenCL C
    .language_version:
      - 2
      - 0
    .max_flat_workgroup_size: 256
    .name:           _ZN12_GLOBAL__N_127rocblas_gemm_batched_kernelI19rocblas_complex_numIdELi16ELi16ELi64ELi64ELi4ELi64ELi4ELi4ELi64ELc67ELc67EKS2_S3_S2_EEvlllT_PT11_llS6_llS4_PT12_llPT13_lli
    .private_segment_fixed_size: 0
    .sgpr_count:     54
    .sgpr_spill_count: 0
    .symbol:         _ZN12_GLOBAL__N_127rocblas_gemm_batched_kernelI19rocblas_complex_numIdELi16ELi16ELi64ELi64ELi4ELi64ELi4ELi4ELi64ELc67ELc67EKS2_S3_S2_EEvlllT_PT11_llS6_llS4_PT12_llPT13_lli.kd
    .uniform_work_group_size: 1
    .uses_dynamic_stack: false
    .vgpr_count:     138
    .vgpr_spill_count: 0
    .wavefront_size: 32
    .workgroup_processor_mode: 1
  - .args:
      - .offset:         0
        .size:           8
        .value_kind:     by_value
      - .offset:         8
        .size:           8
        .value_kind:     by_value
      - .offset:         16
        .size:           8
        .value_kind:     by_value
      - .offset:         24
        .size:           16
        .value_kind:     by_value
      - .address_space:  global
        .offset:         40
        .size:           8
        .value_kind:     global_buffer
      - .offset:         48
        .size:           8
        .value_kind:     by_value
      - .offset:         56
        .size:           8
        .value_kind:     by_value
      - .address_space:  global
        .offset:         64
        .size:           8
        .value_kind:     global_buffer
      - .offset:         72
        .size:           8
        .value_kind:     by_value
      - .offset:         80
        .size:           8
        .value_kind:     by_value
      - .offset:         88
        .size:           16
        .value_kind:     by_value
      - .address_space:  global
        .offset:         104
        .size:           8
        .value_kind:     global_buffer
      - .offset:         112
        .size:           8
        .value_kind:     by_value
      - .offset:         120
        .size:           8
        .value_kind:     by_value
      - .address_space:  global
        .offset:         128
        .size:           8
        .value_kind:     global_buffer
      - .offset:         136
        .size:           8
        .value_kind:     by_value
      - .offset:         144
        .size:           8
        .value_kind:     by_value
      - .offset:         152
        .size:           4
        .value_kind:     by_value
    .group_segment_fixed_size: 8192
    .kernarg_segment_align: 8
    .kernarg_segment_size: 156
    .language:       OpenCL C
    .language_version:
      - 2
      - 0
    .max_flat_workgroup_size: 256
    .name:           _ZN12_GLOBAL__N_127rocblas_gemm_batched_kernelI19rocblas_complex_numIdELi16ELi16ELi64ELi64ELi4ELi64ELi4ELi4ELi64ELc67ELc78EKS2_S3_S2_EEvlllT_PT11_llS6_llS4_PT12_llPT13_lli
    .private_segment_fixed_size: 0
    .sgpr_count:     54
    .sgpr_spill_count: 0
    .symbol:         _ZN12_GLOBAL__N_127rocblas_gemm_batched_kernelI19rocblas_complex_numIdELi16ELi16ELi64ELi64ELi4ELi64ELi4ELi4ELi64ELc67ELc78EKS2_S3_S2_EEvlllT_PT11_llS6_llS4_PT12_llPT13_lli.kd
    .uniform_work_group_size: 1
    .uses_dynamic_stack: false
    .vgpr_count:     138
    .vgpr_spill_count: 0
    .wavefront_size: 32
    .workgroup_processor_mode: 1
  - .args:
      - .offset:         0
        .size:           8
        .value_kind:     by_value
      - .offset:         8
        .size:           8
        .value_kind:     by_value
      - .offset:         16
        .size:           8
        .value_kind:     by_value
      - .offset:         24
        .size:           16
        .value_kind:     by_value
      - .address_space:  global
        .offset:         40
        .size:           8
        .value_kind:     global_buffer
      - .offset:         48
        .size:           8
        .value_kind:     by_value
      - .offset:         56
        .size:           8
        .value_kind:     by_value
      - .address_space:  global
        .offset:         64
        .size:           8
        .value_kind:     global_buffer
      - .offset:         72
        .size:           8
        .value_kind:     by_value
      - .offset:         80
        .size:           8
        .value_kind:     by_value
      - .offset:         88
        .size:           16
        .value_kind:     by_value
      - .address_space:  global
        .offset:         104
        .size:           8
        .value_kind:     global_buffer
      - .offset:         112
        .size:           8
        .value_kind:     by_value
      - .offset:         120
        .size:           8
        .value_kind:     by_value
      - .address_space:  global
        .offset:         128
        .size:           8
        .value_kind:     global_buffer
      - .offset:         136
        .size:           8
        .value_kind:     by_value
      - .offset:         144
        .size:           8
        .value_kind:     by_value
      - .offset:         152
        .size:           4
        .value_kind:     by_value
    .group_segment_fixed_size: 8192
    .kernarg_segment_align: 8
    .kernarg_segment_size: 156
    .language:       OpenCL C
    .language_version:
      - 2
      - 0
    .max_flat_workgroup_size: 256
    .name:           _ZN12_GLOBAL__N_127rocblas_gemm_batched_kernelI19rocblas_complex_numIdELi16ELi16ELi64ELi64ELi4ELi64ELi4ELi4ELi64ELc67ELc84EKS2_S3_S2_EEvlllT_PT11_llS6_llS4_PT12_llPT13_lli
    .private_segment_fixed_size: 0
    .sgpr_count:     54
    .sgpr_spill_count: 0
    .symbol:         _ZN12_GLOBAL__N_127rocblas_gemm_batched_kernelI19rocblas_complex_numIdELi16ELi16ELi64ELi64ELi4ELi64ELi4ELi4ELi64ELc67ELc84EKS2_S3_S2_EEvlllT_PT11_llS6_llS4_PT12_llPT13_lli.kd
    .uniform_work_group_size: 1
    .uses_dynamic_stack: false
    .vgpr_count:     138
    .vgpr_spill_count: 0
    .wavefront_size: 32
    .workgroup_processor_mode: 1
  - .args:
      - .offset:         0
        .size:           8
        .value_kind:     by_value
      - .offset:         8
        .size:           8
        .value_kind:     by_value
      - .offset:         16
        .size:           8
        .value_kind:     by_value
      - .offset:         24
        .size:           16
        .value_kind:     by_value
      - .address_space:  global
        .offset:         40
        .size:           8
        .value_kind:     global_buffer
      - .offset:         48
        .size:           8
        .value_kind:     by_value
      - .offset:         56
        .size:           8
        .value_kind:     by_value
      - .address_space:  global
        .offset:         64
        .size:           8
        .value_kind:     global_buffer
      - .offset:         72
        .size:           8
        .value_kind:     by_value
      - .offset:         80
        .size:           8
        .value_kind:     by_value
      - .offset:         88
        .size:           16
        .value_kind:     by_value
      - .address_space:  global
        .offset:         104
        .size:           8
        .value_kind:     global_buffer
      - .offset:         112
        .size:           8
        .value_kind:     by_value
      - .offset:         120
        .size:           8
        .value_kind:     by_value
      - .address_space:  global
        .offset:         128
        .size:           8
        .value_kind:     global_buffer
      - .offset:         136
        .size:           8
        .value_kind:     by_value
      - .offset:         144
        .size:           8
        .value_kind:     by_value
      - .offset:         152
        .size:           4
        .value_kind:     by_value
    .group_segment_fixed_size: 8192
    .kernarg_segment_align: 8
    .kernarg_segment_size: 156
    .language:       OpenCL C
    .language_version:
      - 2
      - 0
    .max_flat_workgroup_size: 256
    .name:           _ZN12_GLOBAL__N_127rocblas_gemm_batched_kernelI19rocblas_complex_numIdELi16ELi16ELi64ELi64ELi4ELi64ELi4ELi4ELi64ELc78ELc67EKS2_S3_S2_EEvlllT_PT11_llS6_llS4_PT12_llPT13_lli
    .private_segment_fixed_size: 0
    .sgpr_count:     54
    .sgpr_spill_count: 0
    .symbol:         _ZN12_GLOBAL__N_127rocblas_gemm_batched_kernelI19rocblas_complex_numIdELi16ELi16ELi64ELi64ELi4ELi64ELi4ELi4ELi64ELc78ELc67EKS2_S3_S2_EEvlllT_PT11_llS6_llS4_PT12_llPT13_lli.kd
    .uniform_work_group_size: 1
    .uses_dynamic_stack: false
    .vgpr_count:     138
    .vgpr_spill_count: 0
    .wavefront_size: 32
    .workgroup_processor_mode: 1
  - .args:
      - .offset:         0
        .size:           8
        .value_kind:     by_value
      - .offset:         8
        .size:           8
        .value_kind:     by_value
      - .offset:         16
        .size:           8
        .value_kind:     by_value
      - .offset:         24
        .size:           16
        .value_kind:     by_value
      - .address_space:  global
        .offset:         40
        .size:           8
        .value_kind:     global_buffer
      - .offset:         48
        .size:           8
        .value_kind:     by_value
      - .offset:         56
        .size:           8
        .value_kind:     by_value
      - .address_space:  global
        .offset:         64
        .size:           8
        .value_kind:     global_buffer
      - .offset:         72
        .size:           8
        .value_kind:     by_value
      - .offset:         80
        .size:           8
        .value_kind:     by_value
      - .offset:         88
        .size:           16
        .value_kind:     by_value
      - .address_space:  global
        .offset:         104
        .size:           8
        .value_kind:     global_buffer
      - .offset:         112
        .size:           8
        .value_kind:     by_value
      - .offset:         120
        .size:           8
        .value_kind:     by_value
      - .address_space:  global
        .offset:         128
        .size:           8
        .value_kind:     global_buffer
      - .offset:         136
        .size:           8
        .value_kind:     by_value
      - .offset:         144
        .size:           8
        .value_kind:     by_value
      - .offset:         152
        .size:           4
        .value_kind:     by_value
    .group_segment_fixed_size: 8192
    .kernarg_segment_align: 8
    .kernarg_segment_size: 156
    .language:       OpenCL C
    .language_version:
      - 2
      - 0
    .max_flat_workgroup_size: 256
    .name:           _ZN12_GLOBAL__N_127rocblas_gemm_batched_kernelI19rocblas_complex_numIdELi16ELi16ELi64ELi64ELi4ELi64ELi4ELi4ELi64ELc84ELc67EKS2_S3_S2_EEvlllT_PT11_llS6_llS4_PT12_llPT13_lli
    .private_segment_fixed_size: 0
    .sgpr_count:     54
    .sgpr_spill_count: 0
    .symbol:         _ZN12_GLOBAL__N_127rocblas_gemm_batched_kernelI19rocblas_complex_numIdELi16ELi16ELi64ELi64ELi4ELi64ELi4ELi4ELi64ELc84ELc67EKS2_S3_S2_EEvlllT_PT11_llS6_llS4_PT12_llPT13_lli.kd
    .uniform_work_group_size: 1
    .uses_dynamic_stack: false
    .vgpr_count:     138
    .vgpr_spill_count: 0
    .wavefront_size: 32
    .workgroup_processor_mode: 1
  - .args:
      - .offset:         0
        .size:           8
        .value_kind:     by_value
      - .offset:         8
        .size:           8
        .value_kind:     by_value
      - .offset:         16
        .size:           8
        .value_kind:     by_value
      - .offset:         24
        .size:           16
        .value_kind:     by_value
      - .address_space:  global
        .offset:         40
        .size:           8
        .value_kind:     global_buffer
      - .offset:         48
        .size:           8
        .value_kind:     by_value
      - .offset:         56
        .size:           8
        .value_kind:     by_value
      - .address_space:  global
        .offset:         64
        .size:           8
        .value_kind:     global_buffer
      - .offset:         72
        .size:           8
        .value_kind:     by_value
      - .offset:         80
        .size:           8
        .value_kind:     by_value
      - .offset:         88
        .size:           16
        .value_kind:     by_value
      - .address_space:  global
        .offset:         104
        .size:           8
        .value_kind:     global_buffer
      - .offset:         112
        .size:           8
        .value_kind:     by_value
      - .offset:         120
        .size:           8
        .value_kind:     by_value
      - .address_space:  global
        .offset:         128
        .size:           8
        .value_kind:     global_buffer
      - .offset:         136
        .size:           8
        .value_kind:     by_value
      - .offset:         144
        .size:           8
        .value_kind:     by_value
      - .offset:         152
        .size:           4
        .value_kind:     by_value
    .group_segment_fixed_size: 8192
    .kernarg_segment_align: 8
    .kernarg_segment_size: 156
    .language:       OpenCL C
    .language_version:
      - 2
      - 0
    .max_flat_workgroup_size: 256
    .name:           _ZN12_GLOBAL__N_127rocblas_gemm_batched_kernelI19rocblas_complex_numIdELi16ELi16ELi32ELi32ELi8ELi32ELi8ELi8ELi32ELc78ELc78EKS2_S3_S2_EEvlllT_PT11_llS6_llS4_PT12_llPT13_lli
    .private_segment_fixed_size: 0
    .sgpr_count:     54
    .sgpr_spill_count: 0
    .symbol:         _ZN12_GLOBAL__N_127rocblas_gemm_batched_kernelI19rocblas_complex_numIdELi16ELi16ELi32ELi32ELi8ELi32ELi8ELi8ELi32ELc78ELc78EKS2_S3_S2_EEvlllT_PT11_llS6_llS4_PT12_llPT13_lli.kd
    .uniform_work_group_size: 1
    .uses_dynamic_stack: false
    .vgpr_count:     162
    .vgpr_spill_count: 0
    .wavefront_size: 32
    .workgroup_processor_mode: 1
  - .args:
      - .offset:         0
        .size:           8
        .value_kind:     by_value
      - .offset:         8
        .size:           8
        .value_kind:     by_value
      - .offset:         16
        .size:           8
        .value_kind:     by_value
      - .offset:         24
        .size:           16
        .value_kind:     by_value
      - .address_space:  global
        .offset:         40
        .size:           8
        .value_kind:     global_buffer
      - .offset:         48
        .size:           8
        .value_kind:     by_value
      - .offset:         56
        .size:           8
        .value_kind:     by_value
      - .address_space:  global
        .offset:         64
        .size:           8
        .value_kind:     global_buffer
      - .offset:         72
        .size:           8
        .value_kind:     by_value
      - .offset:         80
        .size:           8
        .value_kind:     by_value
      - .offset:         88
        .size:           16
        .value_kind:     by_value
      - .address_space:  global
        .offset:         104
        .size:           8
        .value_kind:     global_buffer
      - .offset:         112
        .size:           8
        .value_kind:     by_value
      - .offset:         120
        .size:           8
        .value_kind:     by_value
      - .address_space:  global
        .offset:         128
        .size:           8
        .value_kind:     global_buffer
      - .offset:         136
        .size:           8
        .value_kind:     by_value
      - .offset:         144
        .size:           8
        .value_kind:     by_value
      - .offset:         152
        .size:           4
        .value_kind:     by_value
    .group_segment_fixed_size: 8192
    .kernarg_segment_align: 8
    .kernarg_segment_size: 156
    .language:       OpenCL C
    .language_version:
      - 2
      - 0
    .max_flat_workgroup_size: 256
    .name:           _ZN12_GLOBAL__N_127rocblas_gemm_batched_kernelI19rocblas_complex_numIdELi16ELi16ELi32ELi32ELi8ELi32ELi8ELi8ELi32ELc84ELc78EKS2_S3_S2_EEvlllT_PT11_llS6_llS4_PT12_llPT13_lli
    .private_segment_fixed_size: 0
    .sgpr_count:     54
    .sgpr_spill_count: 0
    .symbol:         _ZN12_GLOBAL__N_127rocblas_gemm_batched_kernelI19rocblas_complex_numIdELi16ELi16ELi32ELi32ELi8ELi32ELi8ELi8ELi32ELc84ELc78EKS2_S3_S2_EEvlllT_PT11_llS6_llS4_PT12_llPT13_lli.kd
    .uniform_work_group_size: 1
    .uses_dynamic_stack: false
    .vgpr_count:     162
    .vgpr_spill_count: 0
    .wavefront_size: 32
    .workgroup_processor_mode: 1
  - .args:
      - .offset:         0
        .size:           8
        .value_kind:     by_value
      - .offset:         8
        .size:           8
        .value_kind:     by_value
      - .offset:         16
        .size:           8
        .value_kind:     by_value
      - .offset:         24
        .size:           16
        .value_kind:     by_value
      - .address_space:  global
        .offset:         40
        .size:           8
        .value_kind:     global_buffer
      - .offset:         48
        .size:           8
        .value_kind:     by_value
      - .offset:         56
        .size:           8
        .value_kind:     by_value
      - .address_space:  global
        .offset:         64
        .size:           8
        .value_kind:     global_buffer
      - .offset:         72
        .size:           8
        .value_kind:     by_value
      - .offset:         80
        .size:           8
        .value_kind:     by_value
      - .offset:         88
        .size:           16
        .value_kind:     by_value
      - .address_space:  global
        .offset:         104
        .size:           8
        .value_kind:     global_buffer
      - .offset:         112
        .size:           8
        .value_kind:     by_value
      - .offset:         120
        .size:           8
        .value_kind:     by_value
      - .address_space:  global
        .offset:         128
        .size:           8
        .value_kind:     global_buffer
      - .offset:         136
        .size:           8
        .value_kind:     by_value
      - .offset:         144
        .size:           8
        .value_kind:     by_value
      - .offset:         152
        .size:           4
        .value_kind:     by_value
    .group_segment_fixed_size: 8192
    .kernarg_segment_align: 8
    .kernarg_segment_size: 156
    .language:       OpenCL C
    .language_version:
      - 2
      - 0
    .max_flat_workgroup_size: 256
    .name:           _ZN12_GLOBAL__N_127rocblas_gemm_batched_kernelI19rocblas_complex_numIdELi16ELi16ELi32ELi32ELi8ELi32ELi8ELi8ELi32ELc78ELc84EKS2_S3_S2_EEvlllT_PT11_llS6_llS4_PT12_llPT13_lli
    .private_segment_fixed_size: 0
    .sgpr_count:     54
    .sgpr_spill_count: 0
    .symbol:         _ZN12_GLOBAL__N_127rocblas_gemm_batched_kernelI19rocblas_complex_numIdELi16ELi16ELi32ELi32ELi8ELi32ELi8ELi8ELi32ELc78ELc84EKS2_S3_S2_EEvlllT_PT11_llS6_llS4_PT12_llPT13_lli.kd
    .uniform_work_group_size: 1
    .uses_dynamic_stack: false
    .vgpr_count:     162
    .vgpr_spill_count: 0
    .wavefront_size: 32
    .workgroup_processor_mode: 1
  - .args:
      - .offset:         0
        .size:           8
        .value_kind:     by_value
      - .offset:         8
        .size:           8
        .value_kind:     by_value
      - .offset:         16
        .size:           8
        .value_kind:     by_value
      - .offset:         24
        .size:           16
        .value_kind:     by_value
      - .address_space:  global
        .offset:         40
        .size:           8
        .value_kind:     global_buffer
      - .offset:         48
        .size:           8
        .value_kind:     by_value
      - .offset:         56
        .size:           8
        .value_kind:     by_value
      - .address_space:  global
        .offset:         64
        .size:           8
        .value_kind:     global_buffer
      - .offset:         72
        .size:           8
        .value_kind:     by_value
      - .offset:         80
        .size:           8
        .value_kind:     by_value
      - .offset:         88
        .size:           16
        .value_kind:     by_value
      - .address_space:  global
        .offset:         104
        .size:           8
        .value_kind:     global_buffer
      - .offset:         112
        .size:           8
        .value_kind:     by_value
      - .offset:         120
        .size:           8
        .value_kind:     by_value
      - .address_space:  global
        .offset:         128
        .size:           8
        .value_kind:     global_buffer
      - .offset:         136
        .size:           8
        .value_kind:     by_value
      - .offset:         144
        .size:           8
        .value_kind:     by_value
      - .offset:         152
        .size:           4
        .value_kind:     by_value
    .group_segment_fixed_size: 8192
    .kernarg_segment_align: 8
    .kernarg_segment_size: 156
    .language:       OpenCL C
    .language_version:
      - 2
      - 0
    .max_flat_workgroup_size: 256
    .name:           _ZN12_GLOBAL__N_127rocblas_gemm_batched_kernelI19rocblas_complex_numIdELi16ELi16ELi32ELi32ELi8ELi32ELi8ELi8ELi32ELc84ELc84EKS2_S3_S2_EEvlllT_PT11_llS6_llS4_PT12_llPT13_lli
    .private_segment_fixed_size: 0
    .sgpr_count:     54
    .sgpr_spill_count: 0
    .symbol:         _ZN12_GLOBAL__N_127rocblas_gemm_batched_kernelI19rocblas_complex_numIdELi16ELi16ELi32ELi32ELi8ELi32ELi8ELi8ELi32ELc84ELc84EKS2_S3_S2_EEvlllT_PT11_llS6_llS4_PT12_llPT13_lli.kd
    .uniform_work_group_size: 1
    .uses_dynamic_stack: false
    .vgpr_count:     162
    .vgpr_spill_count: 0
    .wavefront_size: 32
    .workgroup_processor_mode: 1
  - .args:
      - .offset:         0
        .size:           8
        .value_kind:     by_value
      - .offset:         8
        .size:           8
        .value_kind:     by_value
      - .offset:         16
        .size:           8
        .value_kind:     by_value
      - .offset:         24
        .size:           16
        .value_kind:     by_value
      - .address_space:  global
        .offset:         40
        .size:           8
        .value_kind:     global_buffer
      - .offset:         48
        .size:           8
        .value_kind:     by_value
      - .offset:         56
        .size:           8
        .value_kind:     by_value
      - .address_space:  global
        .offset:         64
        .size:           8
        .value_kind:     global_buffer
      - .offset:         72
        .size:           8
        .value_kind:     by_value
      - .offset:         80
        .size:           8
        .value_kind:     by_value
      - .offset:         88
        .size:           16
        .value_kind:     by_value
      - .address_space:  global
        .offset:         104
        .size:           8
        .value_kind:     global_buffer
      - .offset:         112
        .size:           8
        .value_kind:     by_value
      - .offset:         120
        .size:           8
        .value_kind:     by_value
      - .address_space:  global
        .offset:         128
        .size:           8
        .value_kind:     global_buffer
      - .offset:         136
        .size:           8
        .value_kind:     by_value
      - .offset:         144
        .size:           8
        .value_kind:     by_value
      - .offset:         152
        .size:           4
        .value_kind:     by_value
    .group_segment_fixed_size: 8192
    .kernarg_segment_align: 8
    .kernarg_segment_size: 156
    .language:       OpenCL C
    .language_version:
      - 2
      - 0
    .max_flat_workgroup_size: 256
    .name:           _ZN12_GLOBAL__N_127rocblas_gemm_batched_kernelI19rocblas_complex_numIdELi16ELi16ELi32ELi32ELi8ELi32ELi8ELi8ELi32ELc67ELc67EKS2_S3_S2_EEvlllT_PT11_llS6_llS4_PT12_llPT13_lli
    .private_segment_fixed_size: 0
    .sgpr_count:     54
    .sgpr_spill_count: 0
    .symbol:         _ZN12_GLOBAL__N_127rocblas_gemm_batched_kernelI19rocblas_complex_numIdELi16ELi16ELi32ELi32ELi8ELi32ELi8ELi8ELi32ELc67ELc67EKS2_S3_S2_EEvlllT_PT11_llS6_llS4_PT12_llPT13_lli.kd
    .uniform_work_group_size: 1
    .uses_dynamic_stack: false
    .vgpr_count:     162
    .vgpr_spill_count: 0
    .wavefront_size: 32
    .workgroup_processor_mode: 1
  - .args:
      - .offset:         0
        .size:           8
        .value_kind:     by_value
      - .offset:         8
        .size:           8
        .value_kind:     by_value
      - .offset:         16
        .size:           8
        .value_kind:     by_value
      - .offset:         24
        .size:           16
        .value_kind:     by_value
      - .address_space:  global
        .offset:         40
        .size:           8
        .value_kind:     global_buffer
      - .offset:         48
        .size:           8
        .value_kind:     by_value
      - .offset:         56
        .size:           8
        .value_kind:     by_value
      - .address_space:  global
        .offset:         64
        .size:           8
        .value_kind:     global_buffer
      - .offset:         72
        .size:           8
        .value_kind:     by_value
      - .offset:         80
        .size:           8
        .value_kind:     by_value
      - .offset:         88
        .size:           16
        .value_kind:     by_value
      - .address_space:  global
        .offset:         104
        .size:           8
        .value_kind:     global_buffer
      - .offset:         112
        .size:           8
        .value_kind:     by_value
      - .offset:         120
        .size:           8
        .value_kind:     by_value
      - .address_space:  global
        .offset:         128
        .size:           8
        .value_kind:     global_buffer
      - .offset:         136
        .size:           8
        .value_kind:     by_value
      - .offset:         144
        .size:           8
        .value_kind:     by_value
      - .offset:         152
        .size:           4
        .value_kind:     by_value
    .group_segment_fixed_size: 8192
    .kernarg_segment_align: 8
    .kernarg_segment_size: 156
    .language:       OpenCL C
    .language_version:
      - 2
      - 0
    .max_flat_workgroup_size: 256
    .name:           _ZN12_GLOBAL__N_127rocblas_gemm_batched_kernelI19rocblas_complex_numIdELi16ELi16ELi32ELi32ELi8ELi32ELi8ELi8ELi32ELc67ELc78EKS2_S3_S2_EEvlllT_PT11_llS6_llS4_PT12_llPT13_lli
    .private_segment_fixed_size: 0
    .sgpr_count:     54
    .sgpr_spill_count: 0
    .symbol:         _ZN12_GLOBAL__N_127rocblas_gemm_batched_kernelI19rocblas_complex_numIdELi16ELi16ELi32ELi32ELi8ELi32ELi8ELi8ELi32ELc67ELc78EKS2_S3_S2_EEvlllT_PT11_llS6_llS4_PT12_llPT13_lli.kd
    .uniform_work_group_size: 1
    .uses_dynamic_stack: false
    .vgpr_count:     162
    .vgpr_spill_count: 0
    .wavefront_size: 32
    .workgroup_processor_mode: 1
  - .args:
      - .offset:         0
        .size:           8
        .value_kind:     by_value
      - .offset:         8
        .size:           8
        .value_kind:     by_value
      - .offset:         16
        .size:           8
        .value_kind:     by_value
      - .offset:         24
        .size:           16
        .value_kind:     by_value
      - .address_space:  global
        .offset:         40
        .size:           8
        .value_kind:     global_buffer
      - .offset:         48
        .size:           8
        .value_kind:     by_value
      - .offset:         56
        .size:           8
        .value_kind:     by_value
      - .address_space:  global
        .offset:         64
        .size:           8
        .value_kind:     global_buffer
      - .offset:         72
        .size:           8
        .value_kind:     by_value
      - .offset:         80
        .size:           8
        .value_kind:     by_value
      - .offset:         88
        .size:           16
        .value_kind:     by_value
      - .address_space:  global
        .offset:         104
        .size:           8
        .value_kind:     global_buffer
      - .offset:         112
        .size:           8
        .value_kind:     by_value
      - .offset:         120
        .size:           8
        .value_kind:     by_value
      - .address_space:  global
        .offset:         128
        .size:           8
        .value_kind:     global_buffer
      - .offset:         136
        .size:           8
        .value_kind:     by_value
      - .offset:         144
        .size:           8
        .value_kind:     by_value
      - .offset:         152
        .size:           4
        .value_kind:     by_value
    .group_segment_fixed_size: 8192
    .kernarg_segment_align: 8
    .kernarg_segment_size: 156
    .language:       OpenCL C
    .language_version:
      - 2
      - 0
    .max_flat_workgroup_size: 256
    .name:           _ZN12_GLOBAL__N_127rocblas_gemm_batched_kernelI19rocblas_complex_numIdELi16ELi16ELi32ELi32ELi8ELi32ELi8ELi8ELi32ELc67ELc84EKS2_S3_S2_EEvlllT_PT11_llS6_llS4_PT12_llPT13_lli
    .private_segment_fixed_size: 0
    .sgpr_count:     54
    .sgpr_spill_count: 0
    .symbol:         _ZN12_GLOBAL__N_127rocblas_gemm_batched_kernelI19rocblas_complex_numIdELi16ELi16ELi32ELi32ELi8ELi32ELi8ELi8ELi32ELc67ELc84EKS2_S3_S2_EEvlllT_PT11_llS6_llS4_PT12_llPT13_lli.kd
    .uniform_work_group_size: 1
    .uses_dynamic_stack: false
    .vgpr_count:     162
    .vgpr_spill_count: 0
    .wavefront_size: 32
    .workgroup_processor_mode: 1
  - .args:
      - .offset:         0
        .size:           8
        .value_kind:     by_value
      - .offset:         8
        .size:           8
        .value_kind:     by_value
      - .offset:         16
        .size:           8
        .value_kind:     by_value
      - .offset:         24
        .size:           16
        .value_kind:     by_value
      - .address_space:  global
        .offset:         40
        .size:           8
        .value_kind:     global_buffer
      - .offset:         48
        .size:           8
        .value_kind:     by_value
      - .offset:         56
        .size:           8
        .value_kind:     by_value
      - .address_space:  global
        .offset:         64
        .size:           8
        .value_kind:     global_buffer
      - .offset:         72
        .size:           8
        .value_kind:     by_value
      - .offset:         80
        .size:           8
        .value_kind:     by_value
      - .offset:         88
        .size:           16
        .value_kind:     by_value
      - .address_space:  global
        .offset:         104
        .size:           8
        .value_kind:     global_buffer
      - .offset:         112
        .size:           8
        .value_kind:     by_value
      - .offset:         120
        .size:           8
        .value_kind:     by_value
      - .address_space:  global
        .offset:         128
        .size:           8
        .value_kind:     global_buffer
      - .offset:         136
        .size:           8
        .value_kind:     by_value
      - .offset:         144
        .size:           8
        .value_kind:     by_value
      - .offset:         152
        .size:           4
        .value_kind:     by_value
    .group_segment_fixed_size: 8192
    .kernarg_segment_align: 8
    .kernarg_segment_size: 156
    .language:       OpenCL C
    .language_version:
      - 2
      - 0
    .max_flat_workgroup_size: 256
    .name:           _ZN12_GLOBAL__N_127rocblas_gemm_batched_kernelI19rocblas_complex_numIdELi16ELi16ELi32ELi32ELi8ELi32ELi8ELi8ELi32ELc78ELc67EKS2_S3_S2_EEvlllT_PT11_llS6_llS4_PT12_llPT13_lli
    .private_segment_fixed_size: 0
    .sgpr_count:     54
    .sgpr_spill_count: 0
    .symbol:         _ZN12_GLOBAL__N_127rocblas_gemm_batched_kernelI19rocblas_complex_numIdELi16ELi16ELi32ELi32ELi8ELi32ELi8ELi8ELi32ELc78ELc67EKS2_S3_S2_EEvlllT_PT11_llS6_llS4_PT12_llPT13_lli.kd
    .uniform_work_group_size: 1
    .uses_dynamic_stack: false
    .vgpr_count:     162
    .vgpr_spill_count: 0
    .wavefront_size: 32
    .workgroup_processor_mode: 1
  - .args:
      - .offset:         0
        .size:           8
        .value_kind:     by_value
      - .offset:         8
        .size:           8
        .value_kind:     by_value
      - .offset:         16
        .size:           8
        .value_kind:     by_value
      - .offset:         24
        .size:           16
        .value_kind:     by_value
      - .address_space:  global
        .offset:         40
        .size:           8
        .value_kind:     global_buffer
      - .offset:         48
        .size:           8
        .value_kind:     by_value
      - .offset:         56
        .size:           8
        .value_kind:     by_value
      - .address_space:  global
        .offset:         64
        .size:           8
        .value_kind:     global_buffer
      - .offset:         72
        .size:           8
        .value_kind:     by_value
      - .offset:         80
        .size:           8
        .value_kind:     by_value
      - .offset:         88
        .size:           16
        .value_kind:     by_value
      - .address_space:  global
        .offset:         104
        .size:           8
        .value_kind:     global_buffer
      - .offset:         112
        .size:           8
        .value_kind:     by_value
      - .offset:         120
        .size:           8
        .value_kind:     by_value
      - .address_space:  global
        .offset:         128
        .size:           8
        .value_kind:     global_buffer
      - .offset:         136
        .size:           8
        .value_kind:     by_value
      - .offset:         144
        .size:           8
        .value_kind:     by_value
      - .offset:         152
        .size:           4
        .value_kind:     by_value
    .group_segment_fixed_size: 8192
    .kernarg_segment_align: 8
    .kernarg_segment_size: 156
    .language:       OpenCL C
    .language_version:
      - 2
      - 0
    .max_flat_workgroup_size: 256
    .name:           _ZN12_GLOBAL__N_127rocblas_gemm_batched_kernelI19rocblas_complex_numIdELi16ELi16ELi32ELi32ELi8ELi32ELi8ELi8ELi32ELc84ELc67EKS2_S3_S2_EEvlllT_PT11_llS6_llS4_PT12_llPT13_lli
    .private_segment_fixed_size: 0
    .sgpr_count:     54
    .sgpr_spill_count: 0
    .symbol:         _ZN12_GLOBAL__N_127rocblas_gemm_batched_kernelI19rocblas_complex_numIdELi16ELi16ELi32ELi32ELi8ELi32ELi8ELi8ELi32ELc84ELc67EKS2_S3_S2_EEvlllT_PT11_llS6_llS4_PT12_llPT13_lli.kd
    .uniform_work_group_size: 1
    .uses_dynamic_stack: false
    .vgpr_count:     162
    .vgpr_spill_count: 0
    .wavefront_size: 32
    .workgroup_processor_mode: 1
  - .args:
      - .offset:         0
        .size:           8
        .value_kind:     by_value
      - .offset:         8
        .size:           8
        .value_kind:     by_value
      - .offset:         16
        .size:           8
        .value_kind:     by_value
      - .offset:         24
        .size:           16
        .value_kind:     by_value
      - .address_space:  global
        .offset:         40
        .size:           8
        .value_kind:     global_buffer
      - .offset:         48
        .size:           8
        .value_kind:     by_value
      - .offset:         56
        .size:           8
        .value_kind:     by_value
      - .address_space:  global
        .offset:         64
        .size:           8
        .value_kind:     global_buffer
      - .offset:         72
        .size:           8
        .value_kind:     by_value
      - .offset:         80
        .size:           8
        .value_kind:     by_value
      - .offset:         88
        .size:           16
        .value_kind:     by_value
      - .address_space:  global
        .offset:         104
        .size:           8
        .value_kind:     global_buffer
      - .offset:         112
        .size:           8
        .value_kind:     by_value
      - .offset:         120
        .size:           8
        .value_kind:     by_value
      - .address_space:  global
        .offset:         128
        .size:           8
        .value_kind:     global_buffer
      - .offset:         136
        .size:           8
        .value_kind:     by_value
      - .offset:         144
        .size:           8
        .value_kind:     by_value
      - .offset:         152
        .size:           4
        .value_kind:     by_value
    .group_segment_fixed_size: 8192
    .kernarg_segment_align: 8
    .kernarg_segment_size: 156
    .language:       OpenCL C
    .language_version:
      - 2
      - 0
    .max_flat_workgroup_size: 256
    .name:           _ZN12_GLOBAL__N_135rocblas_gemm_batched_general_kernelI19rocblas_complex_numIdELi16ELi16ELi32ELi32ELi8ELi32ELi8ELi8ELi32ELc78ELc78EKS2_S3_S2_EEvlllT_PT11_llS6_llS4_PT12_llPT13_lli
    .private_segment_fixed_size: 0
    .sgpr_count:     54
    .sgpr_spill_count: 0
    .symbol:         _ZN12_GLOBAL__N_135rocblas_gemm_batched_general_kernelI19rocblas_complex_numIdELi16ELi16ELi32ELi32ELi8ELi32ELi8ELi8ELi32ELc78ELc78EKS2_S3_S2_EEvlllT_PT11_llS6_llS4_PT12_llPT13_lli.kd
    .uniform_work_group_size: 1
    .uses_dynamic_stack: false
    .vgpr_count:     56
    .vgpr_spill_count: 0
    .wavefront_size: 32
    .workgroup_processor_mode: 1
  - .args:
      - .offset:         0
        .size:           8
        .value_kind:     by_value
      - .offset:         8
        .size:           8
        .value_kind:     by_value
      - .offset:         16
        .size:           8
        .value_kind:     by_value
      - .offset:         24
        .size:           16
        .value_kind:     by_value
      - .address_space:  global
        .offset:         40
        .size:           8
        .value_kind:     global_buffer
      - .offset:         48
        .size:           8
        .value_kind:     by_value
      - .offset:         56
        .size:           8
        .value_kind:     by_value
      - .address_space:  global
        .offset:         64
        .size:           8
        .value_kind:     global_buffer
      - .offset:         72
        .size:           8
        .value_kind:     by_value
      - .offset:         80
        .size:           8
        .value_kind:     by_value
      - .offset:         88
        .size:           16
        .value_kind:     by_value
      - .address_space:  global
        .offset:         104
        .size:           8
        .value_kind:     global_buffer
      - .offset:         112
        .size:           8
        .value_kind:     by_value
      - .offset:         120
        .size:           8
        .value_kind:     by_value
      - .address_space:  global
        .offset:         128
        .size:           8
        .value_kind:     global_buffer
      - .offset:         136
        .size:           8
        .value_kind:     by_value
      - .offset:         144
        .size:           8
        .value_kind:     by_value
      - .offset:         152
        .size:           4
        .value_kind:     by_value
    .group_segment_fixed_size: 8192
    .kernarg_segment_align: 8
    .kernarg_segment_size: 156
    .language:       OpenCL C
    .language_version:
      - 2
      - 0
    .max_flat_workgroup_size: 256
    .name:           _ZN12_GLOBAL__N_135rocblas_gemm_batched_general_kernelI19rocblas_complex_numIdELi16ELi16ELi32ELi32ELi8ELi32ELi8ELi8ELi32ELc84ELc78EKS2_S3_S2_EEvlllT_PT11_llS6_llS4_PT12_llPT13_lli
    .private_segment_fixed_size: 0
    .sgpr_count:     54
    .sgpr_spill_count: 0
    .symbol:         _ZN12_GLOBAL__N_135rocblas_gemm_batched_general_kernelI19rocblas_complex_numIdELi16ELi16ELi32ELi32ELi8ELi32ELi8ELi8ELi32ELc84ELc78EKS2_S3_S2_EEvlllT_PT11_llS6_llS4_PT12_llPT13_lli.kd
    .uniform_work_group_size: 1
    .uses_dynamic_stack: false
    .vgpr_count:     56
    .vgpr_spill_count: 0
    .wavefront_size: 32
    .workgroup_processor_mode: 1
  - .args:
      - .offset:         0
        .size:           8
        .value_kind:     by_value
      - .offset:         8
        .size:           8
        .value_kind:     by_value
      - .offset:         16
        .size:           8
        .value_kind:     by_value
      - .offset:         24
        .size:           16
        .value_kind:     by_value
      - .address_space:  global
        .offset:         40
        .size:           8
        .value_kind:     global_buffer
      - .offset:         48
        .size:           8
        .value_kind:     by_value
      - .offset:         56
        .size:           8
        .value_kind:     by_value
      - .address_space:  global
        .offset:         64
        .size:           8
        .value_kind:     global_buffer
      - .offset:         72
        .size:           8
        .value_kind:     by_value
      - .offset:         80
        .size:           8
        .value_kind:     by_value
      - .offset:         88
        .size:           16
        .value_kind:     by_value
      - .address_space:  global
        .offset:         104
        .size:           8
        .value_kind:     global_buffer
      - .offset:         112
        .size:           8
        .value_kind:     by_value
      - .offset:         120
        .size:           8
        .value_kind:     by_value
      - .address_space:  global
        .offset:         128
        .size:           8
        .value_kind:     global_buffer
      - .offset:         136
        .size:           8
        .value_kind:     by_value
      - .offset:         144
        .size:           8
        .value_kind:     by_value
      - .offset:         152
        .size:           4
        .value_kind:     by_value
    .group_segment_fixed_size: 8192
    .kernarg_segment_align: 8
    .kernarg_segment_size: 156
    .language:       OpenCL C
    .language_version:
      - 2
      - 0
    .max_flat_workgroup_size: 256
    .name:           _ZN12_GLOBAL__N_135rocblas_gemm_batched_general_kernelI19rocblas_complex_numIdELi16ELi16ELi32ELi32ELi8ELi32ELi8ELi8ELi32ELc78ELc84EKS2_S3_S2_EEvlllT_PT11_llS6_llS4_PT12_llPT13_lli
    .private_segment_fixed_size: 0
    .sgpr_count:     54
    .sgpr_spill_count: 0
    .symbol:         _ZN12_GLOBAL__N_135rocblas_gemm_batched_general_kernelI19rocblas_complex_numIdELi16ELi16ELi32ELi32ELi8ELi32ELi8ELi8ELi32ELc78ELc84EKS2_S3_S2_EEvlllT_PT11_llS6_llS4_PT12_llPT13_lli.kd
    .uniform_work_group_size: 1
    .uses_dynamic_stack: false
    .vgpr_count:     56
    .vgpr_spill_count: 0
    .wavefront_size: 32
    .workgroup_processor_mode: 1
  - .args:
      - .offset:         0
        .size:           8
        .value_kind:     by_value
      - .offset:         8
        .size:           8
        .value_kind:     by_value
      - .offset:         16
        .size:           8
        .value_kind:     by_value
      - .offset:         24
        .size:           16
        .value_kind:     by_value
      - .address_space:  global
        .offset:         40
        .size:           8
        .value_kind:     global_buffer
      - .offset:         48
        .size:           8
        .value_kind:     by_value
      - .offset:         56
        .size:           8
        .value_kind:     by_value
      - .address_space:  global
        .offset:         64
        .size:           8
        .value_kind:     global_buffer
      - .offset:         72
        .size:           8
        .value_kind:     by_value
      - .offset:         80
        .size:           8
        .value_kind:     by_value
      - .offset:         88
        .size:           16
        .value_kind:     by_value
      - .address_space:  global
        .offset:         104
        .size:           8
        .value_kind:     global_buffer
      - .offset:         112
        .size:           8
        .value_kind:     by_value
      - .offset:         120
        .size:           8
        .value_kind:     by_value
      - .address_space:  global
        .offset:         128
        .size:           8
        .value_kind:     global_buffer
      - .offset:         136
        .size:           8
        .value_kind:     by_value
      - .offset:         144
        .size:           8
        .value_kind:     by_value
      - .offset:         152
        .size:           4
        .value_kind:     by_value
    .group_segment_fixed_size: 8192
    .kernarg_segment_align: 8
    .kernarg_segment_size: 156
    .language:       OpenCL C
    .language_version:
      - 2
      - 0
    .max_flat_workgroup_size: 256
    .name:           _ZN12_GLOBAL__N_135rocblas_gemm_batched_general_kernelI19rocblas_complex_numIdELi16ELi16ELi32ELi32ELi8ELi32ELi8ELi8ELi32ELc84ELc84EKS2_S3_S2_EEvlllT_PT11_llS6_llS4_PT12_llPT13_lli
    .private_segment_fixed_size: 0
    .sgpr_count:     54
    .sgpr_spill_count: 0
    .symbol:         _ZN12_GLOBAL__N_135rocblas_gemm_batched_general_kernelI19rocblas_complex_numIdELi16ELi16ELi32ELi32ELi8ELi32ELi8ELi8ELi32ELc84ELc84EKS2_S3_S2_EEvlllT_PT11_llS6_llS4_PT12_llPT13_lli.kd
    .uniform_work_group_size: 1
    .uses_dynamic_stack: false
    .vgpr_count:     56
    .vgpr_spill_count: 0
    .wavefront_size: 32
    .workgroup_processor_mode: 1
  - .args:
      - .offset:         0
        .size:           8
        .value_kind:     by_value
      - .offset:         8
        .size:           8
        .value_kind:     by_value
      - .offset:         16
        .size:           8
        .value_kind:     by_value
      - .offset:         24
        .size:           16
        .value_kind:     by_value
      - .address_space:  global
        .offset:         40
        .size:           8
        .value_kind:     global_buffer
      - .offset:         48
        .size:           8
        .value_kind:     by_value
      - .offset:         56
        .size:           8
        .value_kind:     by_value
      - .address_space:  global
        .offset:         64
        .size:           8
        .value_kind:     global_buffer
      - .offset:         72
        .size:           8
        .value_kind:     by_value
      - .offset:         80
        .size:           8
        .value_kind:     by_value
      - .offset:         88
        .size:           16
        .value_kind:     by_value
      - .address_space:  global
        .offset:         104
        .size:           8
        .value_kind:     global_buffer
      - .offset:         112
        .size:           8
        .value_kind:     by_value
      - .offset:         120
        .size:           8
        .value_kind:     by_value
      - .address_space:  global
        .offset:         128
        .size:           8
        .value_kind:     global_buffer
      - .offset:         136
        .size:           8
        .value_kind:     by_value
      - .offset:         144
        .size:           8
        .value_kind:     by_value
      - .offset:         152
        .size:           4
        .value_kind:     by_value
    .group_segment_fixed_size: 8192
    .kernarg_segment_align: 8
    .kernarg_segment_size: 156
    .language:       OpenCL C
    .language_version:
      - 2
      - 0
    .max_flat_workgroup_size: 256
    .name:           _ZN12_GLOBAL__N_135rocblas_gemm_batched_general_kernelI19rocblas_complex_numIdELi16ELi16ELi32ELi32ELi8ELi32ELi8ELi8ELi32ELc67ELc67EKS2_S3_S2_EEvlllT_PT11_llS6_llS4_PT12_llPT13_lli
    .private_segment_fixed_size: 0
    .sgpr_count:     54
    .sgpr_spill_count: 0
    .symbol:         _ZN12_GLOBAL__N_135rocblas_gemm_batched_general_kernelI19rocblas_complex_numIdELi16ELi16ELi32ELi32ELi8ELi32ELi8ELi8ELi32ELc67ELc67EKS2_S3_S2_EEvlllT_PT11_llS6_llS4_PT12_llPT13_lli.kd
    .uniform_work_group_size: 1
    .uses_dynamic_stack: false
    .vgpr_count:     126
    .vgpr_spill_count: 0
    .wavefront_size: 32
    .workgroup_processor_mode: 1
  - .args:
      - .offset:         0
        .size:           8
        .value_kind:     by_value
      - .offset:         8
        .size:           8
        .value_kind:     by_value
      - .offset:         16
        .size:           8
        .value_kind:     by_value
      - .offset:         24
        .size:           16
        .value_kind:     by_value
      - .address_space:  global
        .offset:         40
        .size:           8
        .value_kind:     global_buffer
      - .offset:         48
        .size:           8
        .value_kind:     by_value
      - .offset:         56
        .size:           8
        .value_kind:     by_value
      - .address_space:  global
        .offset:         64
        .size:           8
        .value_kind:     global_buffer
      - .offset:         72
        .size:           8
        .value_kind:     by_value
      - .offset:         80
        .size:           8
        .value_kind:     by_value
      - .offset:         88
        .size:           16
        .value_kind:     by_value
      - .address_space:  global
        .offset:         104
        .size:           8
        .value_kind:     global_buffer
      - .offset:         112
        .size:           8
        .value_kind:     by_value
      - .offset:         120
        .size:           8
        .value_kind:     by_value
      - .address_space:  global
        .offset:         128
        .size:           8
        .value_kind:     global_buffer
      - .offset:         136
        .size:           8
        .value_kind:     by_value
      - .offset:         144
        .size:           8
        .value_kind:     by_value
      - .offset:         152
        .size:           4
        .value_kind:     by_value
    .group_segment_fixed_size: 8192
    .kernarg_segment_align: 8
    .kernarg_segment_size: 156
    .language:       OpenCL C
    .language_version:
      - 2
      - 0
    .max_flat_workgroup_size: 256
    .name:           _ZN12_GLOBAL__N_135rocblas_gemm_batched_general_kernelI19rocblas_complex_numIdELi16ELi16ELi32ELi32ELi8ELi32ELi8ELi8ELi32ELc67ELc78EKS2_S3_S2_EEvlllT_PT11_llS6_llS4_PT12_llPT13_lli
    .private_segment_fixed_size: 0
    .sgpr_count:     54
    .sgpr_spill_count: 0
    .symbol:         _ZN12_GLOBAL__N_135rocblas_gemm_batched_general_kernelI19rocblas_complex_numIdELi16ELi16ELi32ELi32ELi8ELi32ELi8ELi8ELi32ELc67ELc78EKS2_S3_S2_EEvlllT_PT11_llS6_llS4_PT12_llPT13_lli.kd
    .uniform_work_group_size: 1
    .uses_dynamic_stack: false
    .vgpr_count:     127
    .vgpr_spill_count: 0
    .wavefront_size: 32
    .workgroup_processor_mode: 1
  - .args:
      - .offset:         0
        .size:           8
        .value_kind:     by_value
      - .offset:         8
        .size:           8
        .value_kind:     by_value
      - .offset:         16
        .size:           8
        .value_kind:     by_value
      - .offset:         24
        .size:           16
        .value_kind:     by_value
      - .address_space:  global
        .offset:         40
        .size:           8
        .value_kind:     global_buffer
      - .offset:         48
        .size:           8
        .value_kind:     by_value
      - .offset:         56
        .size:           8
        .value_kind:     by_value
      - .address_space:  global
        .offset:         64
        .size:           8
        .value_kind:     global_buffer
      - .offset:         72
        .size:           8
        .value_kind:     by_value
      - .offset:         80
        .size:           8
        .value_kind:     by_value
      - .offset:         88
        .size:           16
        .value_kind:     by_value
      - .address_space:  global
        .offset:         104
        .size:           8
        .value_kind:     global_buffer
      - .offset:         112
        .size:           8
        .value_kind:     by_value
      - .offset:         120
        .size:           8
        .value_kind:     by_value
      - .address_space:  global
        .offset:         128
        .size:           8
        .value_kind:     global_buffer
      - .offset:         136
        .size:           8
        .value_kind:     by_value
      - .offset:         144
        .size:           8
        .value_kind:     by_value
      - .offset:         152
        .size:           4
        .value_kind:     by_value
    .group_segment_fixed_size: 8192
    .kernarg_segment_align: 8
    .kernarg_segment_size: 156
    .language:       OpenCL C
    .language_version:
      - 2
      - 0
    .max_flat_workgroup_size: 256
    .name:           _ZN12_GLOBAL__N_135rocblas_gemm_batched_general_kernelI19rocblas_complex_numIdELi16ELi16ELi32ELi32ELi8ELi32ELi8ELi8ELi32ELc67ELc84EKS2_S3_S2_EEvlllT_PT11_llS6_llS4_PT12_llPT13_lli
    .private_segment_fixed_size: 0
    .sgpr_count:     54
    .sgpr_spill_count: 0
    .symbol:         _ZN12_GLOBAL__N_135rocblas_gemm_batched_general_kernelI19rocblas_complex_numIdELi16ELi16ELi32ELi32ELi8ELi32ELi8ELi8ELi32ELc67ELc84EKS2_S3_S2_EEvlllT_PT11_llS6_llS4_PT12_llPT13_lli.kd
    .uniform_work_group_size: 1
    .uses_dynamic_stack: false
    .vgpr_count:     127
    .vgpr_spill_count: 0
    .wavefront_size: 32
    .workgroup_processor_mode: 1
  - .args:
      - .offset:         0
        .size:           8
        .value_kind:     by_value
      - .offset:         8
        .size:           8
        .value_kind:     by_value
      - .offset:         16
        .size:           8
        .value_kind:     by_value
      - .offset:         24
        .size:           16
        .value_kind:     by_value
      - .address_space:  global
        .offset:         40
        .size:           8
        .value_kind:     global_buffer
      - .offset:         48
        .size:           8
        .value_kind:     by_value
      - .offset:         56
        .size:           8
        .value_kind:     by_value
      - .address_space:  global
        .offset:         64
        .size:           8
        .value_kind:     global_buffer
      - .offset:         72
        .size:           8
        .value_kind:     by_value
      - .offset:         80
        .size:           8
        .value_kind:     by_value
      - .offset:         88
        .size:           16
        .value_kind:     by_value
      - .address_space:  global
        .offset:         104
        .size:           8
        .value_kind:     global_buffer
      - .offset:         112
        .size:           8
        .value_kind:     by_value
      - .offset:         120
        .size:           8
        .value_kind:     by_value
      - .address_space:  global
        .offset:         128
        .size:           8
        .value_kind:     global_buffer
      - .offset:         136
        .size:           8
        .value_kind:     by_value
      - .offset:         144
        .size:           8
        .value_kind:     by_value
      - .offset:         152
        .size:           4
        .value_kind:     by_value
    .group_segment_fixed_size: 8192
    .kernarg_segment_align: 8
    .kernarg_segment_size: 156
    .language:       OpenCL C
    .language_version:
      - 2
      - 0
    .max_flat_workgroup_size: 256
    .name:           _ZN12_GLOBAL__N_135rocblas_gemm_batched_general_kernelI19rocblas_complex_numIdELi16ELi16ELi32ELi32ELi8ELi32ELi8ELi8ELi32ELc78ELc67EKS2_S3_S2_EEvlllT_PT11_llS6_llS4_PT12_llPT13_lli
    .private_segment_fixed_size: 0
    .sgpr_count:     54
    .sgpr_spill_count: 0
    .symbol:         _ZN12_GLOBAL__N_135rocblas_gemm_batched_general_kernelI19rocblas_complex_numIdELi16ELi16ELi32ELi32ELi8ELi32ELi8ELi8ELi32ELc78ELc67EKS2_S3_S2_EEvlllT_PT11_llS6_llS4_PT12_llPT13_lli.kd
    .uniform_work_group_size: 1
    .uses_dynamic_stack: false
    .vgpr_count:     127
    .vgpr_spill_count: 0
    .wavefront_size: 32
    .workgroup_processor_mode: 1
  - .args:
      - .offset:         0
        .size:           8
        .value_kind:     by_value
      - .offset:         8
        .size:           8
        .value_kind:     by_value
      - .offset:         16
        .size:           8
        .value_kind:     by_value
      - .offset:         24
        .size:           16
        .value_kind:     by_value
      - .address_space:  global
        .offset:         40
        .size:           8
        .value_kind:     global_buffer
      - .offset:         48
        .size:           8
        .value_kind:     by_value
      - .offset:         56
        .size:           8
        .value_kind:     by_value
      - .address_space:  global
        .offset:         64
        .size:           8
        .value_kind:     global_buffer
      - .offset:         72
        .size:           8
        .value_kind:     by_value
      - .offset:         80
        .size:           8
        .value_kind:     by_value
      - .offset:         88
        .size:           16
        .value_kind:     by_value
      - .address_space:  global
        .offset:         104
        .size:           8
        .value_kind:     global_buffer
      - .offset:         112
        .size:           8
        .value_kind:     by_value
      - .offset:         120
        .size:           8
        .value_kind:     by_value
      - .address_space:  global
        .offset:         128
        .size:           8
        .value_kind:     global_buffer
      - .offset:         136
        .size:           8
        .value_kind:     by_value
      - .offset:         144
        .size:           8
        .value_kind:     by_value
      - .offset:         152
        .size:           4
        .value_kind:     by_value
    .group_segment_fixed_size: 8192
    .kernarg_segment_align: 8
    .kernarg_segment_size: 156
    .language:       OpenCL C
    .language_version:
      - 2
      - 0
    .max_flat_workgroup_size: 256
    .name:           _ZN12_GLOBAL__N_135rocblas_gemm_batched_general_kernelI19rocblas_complex_numIdELi16ELi16ELi32ELi32ELi8ELi32ELi8ELi8ELi32ELc84ELc67EKS2_S3_S2_EEvlllT_PT11_llS6_llS4_PT12_llPT13_lli
    .private_segment_fixed_size: 0
    .sgpr_count:     54
    .sgpr_spill_count: 0
    .symbol:         _ZN12_GLOBAL__N_135rocblas_gemm_batched_general_kernelI19rocblas_complex_numIdELi16ELi16ELi32ELi32ELi8ELi32ELi8ELi8ELi32ELc84ELc67EKS2_S3_S2_EEvlllT_PT11_llS6_llS4_PT12_llPT13_lli.kd
    .uniform_work_group_size: 1
    .uses_dynamic_stack: false
    .vgpr_count:     127
    .vgpr_spill_count: 0
    .wavefront_size: 32
    .workgroup_processor_mode: 1
amdhsa.target:   amdgcn-amd-amdhsa--gfx1030
amdhsa.version:
  - 1
  - 2
...

	.end_amdgpu_metadata
